;; amdgpu-corpus repo=ROCm/rocThrust kind=compiled arch=gfx1100 opt=O3
	.text
	.amdgcn_target "amdgcn-amd-amdhsa--gfx1100"
	.amdhsa_code_object_version 6
	.protected	_Z24AdjacentDifferenceKerneliPi ; -- Begin function _Z24AdjacentDifferenceKerneliPi
	.globl	_Z24AdjacentDifferenceKerneliPi
	.p2align	8
	.type	_Z24AdjacentDifferenceKerneliPi,@function
_Z24AdjacentDifferenceKerneliPi:        ; @_Z24AdjacentDifferenceKerneliPi
; %bb.0:
	s_mov_b32 s2, exec_lo
	v_cmpx_eq_u32_e32 0, v0
	s_cbranch_execz .LBB0_4
; %bb.1:
	s_load_b32 s2, s[0:1], 0x0
	s_waitcnt lgkmcnt(0)
	s_ashr_i32 s3, s2, 31
	s_delay_alu instid0(SALU_CYCLE_1) | instskip(SKIP_2) | instid1(SALU_CYCLE_1)
	s_cmp_eq_u64 s[2:3], 1
	s_cselect_b32 s4, -1, 0
	s_lshl_b64 s[2:3], s[2:3], 2
	s_cmp_eq_u64 s[2:3], 0
	s_cselect_b32 s5, -1, 0
	s_delay_alu instid0(SALU_CYCLE_1) | instskip(NEXT) | instid1(SALU_CYCLE_1)
	s_or_b32 s4, s5, s4
	s_and_b32 vcc_lo, exec_lo, s4
	s_cbranch_vccnz .LBB0_4
; %bb.2:
	s_load_b64 s[0:1], s[0:1], 0x8
	v_mov_b32_e32 v0, 0
	s_waitcnt lgkmcnt(0)
	s_load_b32 s4, s[0:1], 0x0
	s_add_u32 s0, s0, 4
	s_addc_u32 s1, s1, 0
	s_add_u32 s2, s2, -4
	s_addc_u32 s3, s3, -1
	s_waitcnt lgkmcnt(0)
	v_mov_b32_e32 v1, s4
.LBB0_3:                                ; =>This Inner Loop Header: Depth=1
	global_load_b32 v2, v0, s[0:1]
	s_waitcnt vmcnt(0)
	v_sub_nc_u32_e32 v3, v2, v1
	v_mov_b32_e32 v1, v2
	global_store_b32 v0, v3, s[0:1]
	s_add_u32 s0, s0, 4
	s_addc_u32 s1, s1, 0
	s_add_u32 s2, s2, -4
	s_addc_u32 s3, s3, -1
	s_delay_alu instid0(SALU_CYCLE_1)
	s_cmp_lg_u64 s[2:3], 0
	s_cbranch_scc1 .LBB0_3
.LBB0_4:
	s_nop 0
	s_sendmsg sendmsg(MSG_DEALLOC_VGPRS)
	s_endpgm
	.section	.rodata,"a",@progbits
	.p2align	6, 0x0
	.amdhsa_kernel _Z24AdjacentDifferenceKerneliPi
		.amdhsa_group_segment_fixed_size 0
		.amdhsa_private_segment_fixed_size 0
		.amdhsa_kernarg_size 16
		.amdhsa_user_sgpr_count 15
		.amdhsa_user_sgpr_dispatch_ptr 0
		.amdhsa_user_sgpr_queue_ptr 0
		.amdhsa_user_sgpr_kernarg_segment_ptr 1
		.amdhsa_user_sgpr_dispatch_id 0
		.amdhsa_user_sgpr_private_segment_size 0
		.amdhsa_wavefront_size32 1
		.amdhsa_uses_dynamic_stack 0
		.amdhsa_enable_private_segment 0
		.amdhsa_system_sgpr_workgroup_id_x 1
		.amdhsa_system_sgpr_workgroup_id_y 0
		.amdhsa_system_sgpr_workgroup_id_z 0
		.amdhsa_system_sgpr_workgroup_info 0
		.amdhsa_system_vgpr_workitem_id 0
		.amdhsa_next_free_vgpr 4
		.amdhsa_next_free_sgpr 6
		.amdhsa_reserve_vcc 1
		.amdhsa_float_round_mode_32 0
		.amdhsa_float_round_mode_16_64 0
		.amdhsa_float_denorm_mode_32 3
		.amdhsa_float_denorm_mode_16_64 3
		.amdhsa_dx10_clamp 1
		.amdhsa_ieee_mode 1
		.amdhsa_fp16_overflow 0
		.amdhsa_workgroup_processor_mode 1
		.amdhsa_memory_ordered 1
		.amdhsa_forward_progress 0
		.amdhsa_shared_vgpr_count 0
		.amdhsa_exception_fp_ieee_invalid_op 0
		.amdhsa_exception_fp_denorm_src 0
		.amdhsa_exception_fp_ieee_div_zero 0
		.amdhsa_exception_fp_ieee_overflow 0
		.amdhsa_exception_fp_ieee_underflow 0
		.amdhsa_exception_fp_ieee_inexact 0
		.amdhsa_exception_int_div_zero 0
	.end_amdhsa_kernel
	.text
.Lfunc_end0:
	.size	_Z24AdjacentDifferenceKerneliPi, .Lfunc_end0-_Z24AdjacentDifferenceKerneliPi
                                        ; -- End function
	.section	.AMDGPU.csdata,"",@progbits
; Kernel info:
; codeLenInByte = 184
; NumSgprs: 8
; NumVgprs: 4
; ScratchSize: 0
; MemoryBound: 0
; FloatMode: 240
; IeeeMode: 1
; LDSByteSize: 0 bytes/workgroup (compile time only)
; SGPRBlocks: 0
; VGPRBlocks: 0
; NumSGPRsForWavesPerEU: 8
; NumVGPRsForWavesPerEU: 4
; Occupancy: 16
; WaveLimiterHint : 0
; COMPUTE_PGM_RSRC2:SCRATCH_EN: 0
; COMPUTE_PGM_RSRC2:USER_SGPR: 15
; COMPUTE_PGM_RSRC2:TRAP_HANDLER: 0
; COMPUTE_PGM_RSRC2:TGID_X_EN: 1
; COMPUTE_PGM_RSRC2:TGID_Y_EN: 0
; COMPUTE_PGM_RSRC2:TGID_Z_EN: 0
; COMPUTE_PGM_RSRC2:TIDIG_COMP_CNT: 0
	.section	.text._ZN6thrust23THRUST_200600_302600_NS11hip_rocprim14__parallel_for6kernelILj256ENS1_20__uninitialized_fill7functorINS0_10device_ptrIdEEdEEmLj1EEEvT0_T1_SA_,"axG",@progbits,_ZN6thrust23THRUST_200600_302600_NS11hip_rocprim14__parallel_for6kernelILj256ENS1_20__uninitialized_fill7functorINS0_10device_ptrIdEEdEEmLj1EEEvT0_T1_SA_,comdat
	.protected	_ZN6thrust23THRUST_200600_302600_NS11hip_rocprim14__parallel_for6kernelILj256ENS1_20__uninitialized_fill7functorINS0_10device_ptrIdEEdEEmLj1EEEvT0_T1_SA_ ; -- Begin function _ZN6thrust23THRUST_200600_302600_NS11hip_rocprim14__parallel_for6kernelILj256ENS1_20__uninitialized_fill7functorINS0_10device_ptrIdEEdEEmLj1EEEvT0_T1_SA_
	.globl	_ZN6thrust23THRUST_200600_302600_NS11hip_rocprim14__parallel_for6kernelILj256ENS1_20__uninitialized_fill7functorINS0_10device_ptrIdEEdEEmLj1EEEvT0_T1_SA_
	.p2align	8
	.type	_ZN6thrust23THRUST_200600_302600_NS11hip_rocprim14__parallel_for6kernelILj256ENS1_20__uninitialized_fill7functorINS0_10device_ptrIdEEdEEmLj1EEEvT0_T1_SA_,@function
_ZN6thrust23THRUST_200600_302600_NS11hip_rocprim14__parallel_for6kernelILj256ENS1_20__uninitialized_fill7functorINS0_10device_ptrIdEEdEEmLj1EEEvT0_T1_SA_: ; @_ZN6thrust23THRUST_200600_302600_NS11hip_rocprim14__parallel_for6kernelILj256ENS1_20__uninitialized_fill7functorINS0_10device_ptrIdEEdEEmLj1EEEvT0_T1_SA_
; %bb.0:
	s_load_b256 s[0:7], s[0:1], 0x0
	s_lshl_b32 s8, s15, 8
	s_waitcnt lgkmcnt(0)
	s_add_u32 s6, s8, s6
	s_addc_u32 s7, 0, s7
	s_sub_u32 s4, s4, s6
	s_subb_u32 s5, s5, s7
	s_delay_alu instid0(SALU_CYCLE_1) | instskip(NEXT) | instid1(VALU_DEP_1)
	v_cmp_gt_u64_e64 s5, 0x100, s[4:5]
	s_and_b32 vcc_lo, exec_lo, s5
	s_mov_b32 s5, 0
	s_cbranch_vccz .LBB1_2
; %bb.1:
	v_cmp_gt_u32_e32 vcc_lo, s4, v0
	s_and_b32 s5, vcc_lo, exec_lo
	s_cbranch_execz .LBB1_3
	s_branch .LBB1_4
.LBB1_2:
.LBB1_3:
	s_or_b32 s5, s5, exec_lo
.LBB1_4:
	s_delay_alu instid0(SALU_CYCLE_1)
	s_and_saveexec_b32 s4, s5
	s_cbranch_execnz .LBB1_6
; %bb.5:
	s_endpgm
.LBB1_6:
	v_dual_mov_b32 v1, 0 :: v_dual_mov_b32 v2, s2
	s_lshl_b64 s[4:5], s[6:7], 3
	v_mov_b32_e32 v3, s3
	s_add_u32 s0, s0, s4
	s_delay_alu instid0(VALU_DEP_2) | instskip(SKIP_1) | instid1(VALU_DEP_1)
	v_lshlrev_b64 v[0:1], 3, v[0:1]
	s_addc_u32 s1, s1, s5
	v_add_co_u32 v0, vcc_lo, s0, v0
	s_delay_alu instid0(VALU_DEP_2)
	v_add_co_ci_u32_e32 v1, vcc_lo, s1, v1, vcc_lo
	flat_store_b64 v[0:1], v[2:3]
	s_endpgm
	.section	.rodata,"a",@progbits
	.p2align	6, 0x0
	.amdhsa_kernel _ZN6thrust23THRUST_200600_302600_NS11hip_rocprim14__parallel_for6kernelILj256ENS1_20__uninitialized_fill7functorINS0_10device_ptrIdEEdEEmLj1EEEvT0_T1_SA_
		.amdhsa_group_segment_fixed_size 0
		.amdhsa_private_segment_fixed_size 0
		.amdhsa_kernarg_size 32
		.amdhsa_user_sgpr_count 15
		.amdhsa_user_sgpr_dispatch_ptr 0
		.amdhsa_user_sgpr_queue_ptr 0
		.amdhsa_user_sgpr_kernarg_segment_ptr 1
		.amdhsa_user_sgpr_dispatch_id 0
		.amdhsa_user_sgpr_private_segment_size 0
		.amdhsa_wavefront_size32 1
		.amdhsa_uses_dynamic_stack 0
		.amdhsa_enable_private_segment 0
		.amdhsa_system_sgpr_workgroup_id_x 1
		.amdhsa_system_sgpr_workgroup_id_y 0
		.amdhsa_system_sgpr_workgroup_id_z 0
		.amdhsa_system_sgpr_workgroup_info 0
		.amdhsa_system_vgpr_workitem_id 0
		.amdhsa_next_free_vgpr 4
		.amdhsa_next_free_sgpr 16
		.amdhsa_reserve_vcc 1
		.amdhsa_float_round_mode_32 0
		.amdhsa_float_round_mode_16_64 0
		.amdhsa_float_denorm_mode_32 3
		.amdhsa_float_denorm_mode_16_64 3
		.amdhsa_dx10_clamp 1
		.amdhsa_ieee_mode 1
		.amdhsa_fp16_overflow 0
		.amdhsa_workgroup_processor_mode 1
		.amdhsa_memory_ordered 1
		.amdhsa_forward_progress 0
		.amdhsa_shared_vgpr_count 0
		.amdhsa_exception_fp_ieee_invalid_op 0
		.amdhsa_exception_fp_denorm_src 0
		.amdhsa_exception_fp_ieee_div_zero 0
		.amdhsa_exception_fp_ieee_overflow 0
		.amdhsa_exception_fp_ieee_underflow 0
		.amdhsa_exception_fp_ieee_inexact 0
		.amdhsa_exception_int_div_zero 0
	.end_amdhsa_kernel
	.section	.text._ZN6thrust23THRUST_200600_302600_NS11hip_rocprim14__parallel_for6kernelILj256ENS1_20__uninitialized_fill7functorINS0_10device_ptrIdEEdEEmLj1EEEvT0_T1_SA_,"axG",@progbits,_ZN6thrust23THRUST_200600_302600_NS11hip_rocprim14__parallel_for6kernelILj256ENS1_20__uninitialized_fill7functorINS0_10device_ptrIdEEdEEmLj1EEEvT0_T1_SA_,comdat
.Lfunc_end1:
	.size	_ZN6thrust23THRUST_200600_302600_NS11hip_rocprim14__parallel_for6kernelILj256ENS1_20__uninitialized_fill7functorINS0_10device_ptrIdEEdEEmLj1EEEvT0_T1_SA_, .Lfunc_end1-_ZN6thrust23THRUST_200600_302600_NS11hip_rocprim14__parallel_for6kernelILj256ENS1_20__uninitialized_fill7functorINS0_10device_ptrIdEEdEEmLj1EEEvT0_T1_SA_
                                        ; -- End function
	.section	.AMDGPU.csdata,"",@progbits
; Kernel info:
; codeLenInByte = 160
; NumSgprs: 18
; NumVgprs: 4
; ScratchSize: 0
; MemoryBound: 0
; FloatMode: 240
; IeeeMode: 1
; LDSByteSize: 0 bytes/workgroup (compile time only)
; SGPRBlocks: 2
; VGPRBlocks: 0
; NumSGPRsForWavesPerEU: 18
; NumVGPRsForWavesPerEU: 4
; Occupancy: 16
; WaveLimiterHint : 0
; COMPUTE_PGM_RSRC2:SCRATCH_EN: 0
; COMPUTE_PGM_RSRC2:USER_SGPR: 15
; COMPUTE_PGM_RSRC2:TRAP_HANDLER: 0
; COMPUTE_PGM_RSRC2:TGID_X_EN: 1
; COMPUTE_PGM_RSRC2:TGID_Y_EN: 0
; COMPUTE_PGM_RSRC2:TGID_Z_EN: 0
; COMPUTE_PGM_RSRC2:TIDIG_COMP_CNT: 0
	.section	.text._ZN7rocprim17ROCPRIM_400000_NS6detail17trampoline_kernelINS0_14default_configENS1_35adjacent_difference_config_selectorILb0EdEEZNS1_24adjacent_difference_implIS3_Lb0ELb0EPdS7_N6thrust23THRUST_200600_302600_NS5minusIdEEEE10hipError_tPvRmT2_T3_mT4_P12ihipStream_tbEUlT_E_NS1_11comp_targetILNS1_3genE0ELNS1_11target_archE4294967295ELNS1_3gpuE0ELNS1_3repE0EEENS1_30default_config_static_selectorELNS0_4arch9wavefront6targetE0EEEvT1_,"axG",@progbits,_ZN7rocprim17ROCPRIM_400000_NS6detail17trampoline_kernelINS0_14default_configENS1_35adjacent_difference_config_selectorILb0EdEEZNS1_24adjacent_difference_implIS3_Lb0ELb0EPdS7_N6thrust23THRUST_200600_302600_NS5minusIdEEEE10hipError_tPvRmT2_T3_mT4_P12ihipStream_tbEUlT_E_NS1_11comp_targetILNS1_3genE0ELNS1_11target_archE4294967295ELNS1_3gpuE0ELNS1_3repE0EEENS1_30default_config_static_selectorELNS0_4arch9wavefront6targetE0EEEvT1_,comdat
	.protected	_ZN7rocprim17ROCPRIM_400000_NS6detail17trampoline_kernelINS0_14default_configENS1_35adjacent_difference_config_selectorILb0EdEEZNS1_24adjacent_difference_implIS3_Lb0ELb0EPdS7_N6thrust23THRUST_200600_302600_NS5minusIdEEEE10hipError_tPvRmT2_T3_mT4_P12ihipStream_tbEUlT_E_NS1_11comp_targetILNS1_3genE0ELNS1_11target_archE4294967295ELNS1_3gpuE0ELNS1_3repE0EEENS1_30default_config_static_selectorELNS0_4arch9wavefront6targetE0EEEvT1_ ; -- Begin function _ZN7rocprim17ROCPRIM_400000_NS6detail17trampoline_kernelINS0_14default_configENS1_35adjacent_difference_config_selectorILb0EdEEZNS1_24adjacent_difference_implIS3_Lb0ELb0EPdS7_N6thrust23THRUST_200600_302600_NS5minusIdEEEE10hipError_tPvRmT2_T3_mT4_P12ihipStream_tbEUlT_E_NS1_11comp_targetILNS1_3genE0ELNS1_11target_archE4294967295ELNS1_3gpuE0ELNS1_3repE0EEENS1_30default_config_static_selectorELNS0_4arch9wavefront6targetE0EEEvT1_
	.globl	_ZN7rocprim17ROCPRIM_400000_NS6detail17trampoline_kernelINS0_14default_configENS1_35adjacent_difference_config_selectorILb0EdEEZNS1_24adjacent_difference_implIS3_Lb0ELb0EPdS7_N6thrust23THRUST_200600_302600_NS5minusIdEEEE10hipError_tPvRmT2_T3_mT4_P12ihipStream_tbEUlT_E_NS1_11comp_targetILNS1_3genE0ELNS1_11target_archE4294967295ELNS1_3gpuE0ELNS1_3repE0EEENS1_30default_config_static_selectorELNS0_4arch9wavefront6targetE0EEEvT1_
	.p2align	8
	.type	_ZN7rocprim17ROCPRIM_400000_NS6detail17trampoline_kernelINS0_14default_configENS1_35adjacent_difference_config_selectorILb0EdEEZNS1_24adjacent_difference_implIS3_Lb0ELb0EPdS7_N6thrust23THRUST_200600_302600_NS5minusIdEEEE10hipError_tPvRmT2_T3_mT4_P12ihipStream_tbEUlT_E_NS1_11comp_targetILNS1_3genE0ELNS1_11target_archE4294967295ELNS1_3gpuE0ELNS1_3repE0EEENS1_30default_config_static_selectorELNS0_4arch9wavefront6targetE0EEEvT1_,@function
_ZN7rocprim17ROCPRIM_400000_NS6detail17trampoline_kernelINS0_14default_configENS1_35adjacent_difference_config_selectorILb0EdEEZNS1_24adjacent_difference_implIS3_Lb0ELb0EPdS7_N6thrust23THRUST_200600_302600_NS5minusIdEEEE10hipError_tPvRmT2_T3_mT4_P12ihipStream_tbEUlT_E_NS1_11comp_targetILNS1_3genE0ELNS1_11target_archE4294967295ELNS1_3gpuE0ELNS1_3repE0EEENS1_30default_config_static_selectorELNS0_4arch9wavefront6targetE0EEEvT1_: ; @_ZN7rocprim17ROCPRIM_400000_NS6detail17trampoline_kernelINS0_14default_configENS1_35adjacent_difference_config_selectorILb0EdEEZNS1_24adjacent_difference_implIS3_Lb0ELb0EPdS7_N6thrust23THRUST_200600_302600_NS5minusIdEEEE10hipError_tPvRmT2_T3_mT4_P12ihipStream_tbEUlT_E_NS1_11comp_targetILNS1_3genE0ELNS1_11target_archE4294967295ELNS1_3gpuE0ELNS1_3repE0EEENS1_30default_config_static_selectorELNS0_4arch9wavefront6targetE0EEEvT1_
; %bb.0:
	.section	.rodata,"a",@progbits
	.p2align	6, 0x0
	.amdhsa_kernel _ZN7rocprim17ROCPRIM_400000_NS6detail17trampoline_kernelINS0_14default_configENS1_35adjacent_difference_config_selectorILb0EdEEZNS1_24adjacent_difference_implIS3_Lb0ELb0EPdS7_N6thrust23THRUST_200600_302600_NS5minusIdEEEE10hipError_tPvRmT2_T3_mT4_P12ihipStream_tbEUlT_E_NS1_11comp_targetILNS1_3genE0ELNS1_11target_archE4294967295ELNS1_3gpuE0ELNS1_3repE0EEENS1_30default_config_static_selectorELNS0_4arch9wavefront6targetE0EEEvT1_
		.amdhsa_group_segment_fixed_size 0
		.amdhsa_private_segment_fixed_size 0
		.amdhsa_kernarg_size 56
		.amdhsa_user_sgpr_count 15
		.amdhsa_user_sgpr_dispatch_ptr 0
		.amdhsa_user_sgpr_queue_ptr 0
		.amdhsa_user_sgpr_kernarg_segment_ptr 1
		.amdhsa_user_sgpr_dispatch_id 0
		.amdhsa_user_sgpr_private_segment_size 0
		.amdhsa_wavefront_size32 1
		.amdhsa_uses_dynamic_stack 0
		.amdhsa_enable_private_segment 0
		.amdhsa_system_sgpr_workgroup_id_x 1
		.amdhsa_system_sgpr_workgroup_id_y 0
		.amdhsa_system_sgpr_workgroup_id_z 0
		.amdhsa_system_sgpr_workgroup_info 0
		.amdhsa_system_vgpr_workitem_id 0
		.amdhsa_next_free_vgpr 1
		.amdhsa_next_free_sgpr 1
		.amdhsa_reserve_vcc 0
		.amdhsa_float_round_mode_32 0
		.amdhsa_float_round_mode_16_64 0
		.amdhsa_float_denorm_mode_32 3
		.amdhsa_float_denorm_mode_16_64 3
		.amdhsa_dx10_clamp 1
		.amdhsa_ieee_mode 1
		.amdhsa_fp16_overflow 0
		.amdhsa_workgroup_processor_mode 1
		.amdhsa_memory_ordered 1
		.amdhsa_forward_progress 0
		.amdhsa_shared_vgpr_count 0
		.amdhsa_exception_fp_ieee_invalid_op 0
		.amdhsa_exception_fp_denorm_src 0
		.amdhsa_exception_fp_ieee_div_zero 0
		.amdhsa_exception_fp_ieee_overflow 0
		.amdhsa_exception_fp_ieee_underflow 0
		.amdhsa_exception_fp_ieee_inexact 0
		.amdhsa_exception_int_div_zero 0
	.end_amdhsa_kernel
	.section	.text._ZN7rocprim17ROCPRIM_400000_NS6detail17trampoline_kernelINS0_14default_configENS1_35adjacent_difference_config_selectorILb0EdEEZNS1_24adjacent_difference_implIS3_Lb0ELb0EPdS7_N6thrust23THRUST_200600_302600_NS5minusIdEEEE10hipError_tPvRmT2_T3_mT4_P12ihipStream_tbEUlT_E_NS1_11comp_targetILNS1_3genE0ELNS1_11target_archE4294967295ELNS1_3gpuE0ELNS1_3repE0EEENS1_30default_config_static_selectorELNS0_4arch9wavefront6targetE0EEEvT1_,"axG",@progbits,_ZN7rocprim17ROCPRIM_400000_NS6detail17trampoline_kernelINS0_14default_configENS1_35adjacent_difference_config_selectorILb0EdEEZNS1_24adjacent_difference_implIS3_Lb0ELb0EPdS7_N6thrust23THRUST_200600_302600_NS5minusIdEEEE10hipError_tPvRmT2_T3_mT4_P12ihipStream_tbEUlT_E_NS1_11comp_targetILNS1_3genE0ELNS1_11target_archE4294967295ELNS1_3gpuE0ELNS1_3repE0EEENS1_30default_config_static_selectorELNS0_4arch9wavefront6targetE0EEEvT1_,comdat
.Lfunc_end2:
	.size	_ZN7rocprim17ROCPRIM_400000_NS6detail17trampoline_kernelINS0_14default_configENS1_35adjacent_difference_config_selectorILb0EdEEZNS1_24adjacent_difference_implIS3_Lb0ELb0EPdS7_N6thrust23THRUST_200600_302600_NS5minusIdEEEE10hipError_tPvRmT2_T3_mT4_P12ihipStream_tbEUlT_E_NS1_11comp_targetILNS1_3genE0ELNS1_11target_archE4294967295ELNS1_3gpuE0ELNS1_3repE0EEENS1_30default_config_static_selectorELNS0_4arch9wavefront6targetE0EEEvT1_, .Lfunc_end2-_ZN7rocprim17ROCPRIM_400000_NS6detail17trampoline_kernelINS0_14default_configENS1_35adjacent_difference_config_selectorILb0EdEEZNS1_24adjacent_difference_implIS3_Lb0ELb0EPdS7_N6thrust23THRUST_200600_302600_NS5minusIdEEEE10hipError_tPvRmT2_T3_mT4_P12ihipStream_tbEUlT_E_NS1_11comp_targetILNS1_3genE0ELNS1_11target_archE4294967295ELNS1_3gpuE0ELNS1_3repE0EEENS1_30default_config_static_selectorELNS0_4arch9wavefront6targetE0EEEvT1_
                                        ; -- End function
	.section	.AMDGPU.csdata,"",@progbits
; Kernel info:
; codeLenInByte = 0
; NumSgprs: 0
; NumVgprs: 0
; ScratchSize: 0
; MemoryBound: 0
; FloatMode: 240
; IeeeMode: 1
; LDSByteSize: 0 bytes/workgroup (compile time only)
; SGPRBlocks: 0
; VGPRBlocks: 0
; NumSGPRsForWavesPerEU: 1
; NumVGPRsForWavesPerEU: 1
; Occupancy: 16
; WaveLimiterHint : 0
; COMPUTE_PGM_RSRC2:SCRATCH_EN: 0
; COMPUTE_PGM_RSRC2:USER_SGPR: 15
; COMPUTE_PGM_RSRC2:TRAP_HANDLER: 0
; COMPUTE_PGM_RSRC2:TGID_X_EN: 1
; COMPUTE_PGM_RSRC2:TGID_Y_EN: 0
; COMPUTE_PGM_RSRC2:TGID_Z_EN: 0
; COMPUTE_PGM_RSRC2:TIDIG_COMP_CNT: 0
	.section	.text._ZN7rocprim17ROCPRIM_400000_NS6detail17trampoline_kernelINS0_14default_configENS1_35adjacent_difference_config_selectorILb0EdEEZNS1_24adjacent_difference_implIS3_Lb0ELb0EPdS7_N6thrust23THRUST_200600_302600_NS5minusIdEEEE10hipError_tPvRmT2_T3_mT4_P12ihipStream_tbEUlT_E_NS1_11comp_targetILNS1_3genE10ELNS1_11target_archE1201ELNS1_3gpuE5ELNS1_3repE0EEENS1_30default_config_static_selectorELNS0_4arch9wavefront6targetE0EEEvT1_,"axG",@progbits,_ZN7rocprim17ROCPRIM_400000_NS6detail17trampoline_kernelINS0_14default_configENS1_35adjacent_difference_config_selectorILb0EdEEZNS1_24adjacent_difference_implIS3_Lb0ELb0EPdS7_N6thrust23THRUST_200600_302600_NS5minusIdEEEE10hipError_tPvRmT2_T3_mT4_P12ihipStream_tbEUlT_E_NS1_11comp_targetILNS1_3genE10ELNS1_11target_archE1201ELNS1_3gpuE5ELNS1_3repE0EEENS1_30default_config_static_selectorELNS0_4arch9wavefront6targetE0EEEvT1_,comdat
	.protected	_ZN7rocprim17ROCPRIM_400000_NS6detail17trampoline_kernelINS0_14default_configENS1_35adjacent_difference_config_selectorILb0EdEEZNS1_24adjacent_difference_implIS3_Lb0ELb0EPdS7_N6thrust23THRUST_200600_302600_NS5minusIdEEEE10hipError_tPvRmT2_T3_mT4_P12ihipStream_tbEUlT_E_NS1_11comp_targetILNS1_3genE10ELNS1_11target_archE1201ELNS1_3gpuE5ELNS1_3repE0EEENS1_30default_config_static_selectorELNS0_4arch9wavefront6targetE0EEEvT1_ ; -- Begin function _ZN7rocprim17ROCPRIM_400000_NS6detail17trampoline_kernelINS0_14default_configENS1_35adjacent_difference_config_selectorILb0EdEEZNS1_24adjacent_difference_implIS3_Lb0ELb0EPdS7_N6thrust23THRUST_200600_302600_NS5minusIdEEEE10hipError_tPvRmT2_T3_mT4_P12ihipStream_tbEUlT_E_NS1_11comp_targetILNS1_3genE10ELNS1_11target_archE1201ELNS1_3gpuE5ELNS1_3repE0EEENS1_30default_config_static_selectorELNS0_4arch9wavefront6targetE0EEEvT1_
	.globl	_ZN7rocprim17ROCPRIM_400000_NS6detail17trampoline_kernelINS0_14default_configENS1_35adjacent_difference_config_selectorILb0EdEEZNS1_24adjacent_difference_implIS3_Lb0ELb0EPdS7_N6thrust23THRUST_200600_302600_NS5minusIdEEEE10hipError_tPvRmT2_T3_mT4_P12ihipStream_tbEUlT_E_NS1_11comp_targetILNS1_3genE10ELNS1_11target_archE1201ELNS1_3gpuE5ELNS1_3repE0EEENS1_30default_config_static_selectorELNS0_4arch9wavefront6targetE0EEEvT1_
	.p2align	8
	.type	_ZN7rocprim17ROCPRIM_400000_NS6detail17trampoline_kernelINS0_14default_configENS1_35adjacent_difference_config_selectorILb0EdEEZNS1_24adjacent_difference_implIS3_Lb0ELb0EPdS7_N6thrust23THRUST_200600_302600_NS5minusIdEEEE10hipError_tPvRmT2_T3_mT4_P12ihipStream_tbEUlT_E_NS1_11comp_targetILNS1_3genE10ELNS1_11target_archE1201ELNS1_3gpuE5ELNS1_3repE0EEENS1_30default_config_static_selectorELNS0_4arch9wavefront6targetE0EEEvT1_,@function
_ZN7rocprim17ROCPRIM_400000_NS6detail17trampoline_kernelINS0_14default_configENS1_35adjacent_difference_config_selectorILb0EdEEZNS1_24adjacent_difference_implIS3_Lb0ELb0EPdS7_N6thrust23THRUST_200600_302600_NS5minusIdEEEE10hipError_tPvRmT2_T3_mT4_P12ihipStream_tbEUlT_E_NS1_11comp_targetILNS1_3genE10ELNS1_11target_archE1201ELNS1_3gpuE5ELNS1_3repE0EEENS1_30default_config_static_selectorELNS0_4arch9wavefront6targetE0EEEvT1_: ; @_ZN7rocprim17ROCPRIM_400000_NS6detail17trampoline_kernelINS0_14default_configENS1_35adjacent_difference_config_selectorILb0EdEEZNS1_24adjacent_difference_implIS3_Lb0ELb0EPdS7_N6thrust23THRUST_200600_302600_NS5minusIdEEEE10hipError_tPvRmT2_T3_mT4_P12ihipStream_tbEUlT_E_NS1_11comp_targetILNS1_3genE10ELNS1_11target_archE1201ELNS1_3gpuE5ELNS1_3repE0EEENS1_30default_config_static_selectorELNS0_4arch9wavefront6targetE0EEEvT1_
; %bb.0:
	.section	.rodata,"a",@progbits
	.p2align	6, 0x0
	.amdhsa_kernel _ZN7rocprim17ROCPRIM_400000_NS6detail17trampoline_kernelINS0_14default_configENS1_35adjacent_difference_config_selectorILb0EdEEZNS1_24adjacent_difference_implIS3_Lb0ELb0EPdS7_N6thrust23THRUST_200600_302600_NS5minusIdEEEE10hipError_tPvRmT2_T3_mT4_P12ihipStream_tbEUlT_E_NS1_11comp_targetILNS1_3genE10ELNS1_11target_archE1201ELNS1_3gpuE5ELNS1_3repE0EEENS1_30default_config_static_selectorELNS0_4arch9wavefront6targetE0EEEvT1_
		.amdhsa_group_segment_fixed_size 0
		.amdhsa_private_segment_fixed_size 0
		.amdhsa_kernarg_size 56
		.amdhsa_user_sgpr_count 15
		.amdhsa_user_sgpr_dispatch_ptr 0
		.amdhsa_user_sgpr_queue_ptr 0
		.amdhsa_user_sgpr_kernarg_segment_ptr 1
		.amdhsa_user_sgpr_dispatch_id 0
		.amdhsa_user_sgpr_private_segment_size 0
		.amdhsa_wavefront_size32 1
		.amdhsa_uses_dynamic_stack 0
		.amdhsa_enable_private_segment 0
		.amdhsa_system_sgpr_workgroup_id_x 1
		.amdhsa_system_sgpr_workgroup_id_y 0
		.amdhsa_system_sgpr_workgroup_id_z 0
		.amdhsa_system_sgpr_workgroup_info 0
		.amdhsa_system_vgpr_workitem_id 0
		.amdhsa_next_free_vgpr 1
		.amdhsa_next_free_sgpr 1
		.amdhsa_reserve_vcc 0
		.amdhsa_float_round_mode_32 0
		.amdhsa_float_round_mode_16_64 0
		.amdhsa_float_denorm_mode_32 3
		.amdhsa_float_denorm_mode_16_64 3
		.amdhsa_dx10_clamp 1
		.amdhsa_ieee_mode 1
		.amdhsa_fp16_overflow 0
		.amdhsa_workgroup_processor_mode 1
		.amdhsa_memory_ordered 1
		.amdhsa_forward_progress 0
		.amdhsa_shared_vgpr_count 0
		.amdhsa_exception_fp_ieee_invalid_op 0
		.amdhsa_exception_fp_denorm_src 0
		.amdhsa_exception_fp_ieee_div_zero 0
		.amdhsa_exception_fp_ieee_overflow 0
		.amdhsa_exception_fp_ieee_underflow 0
		.amdhsa_exception_fp_ieee_inexact 0
		.amdhsa_exception_int_div_zero 0
	.end_amdhsa_kernel
	.section	.text._ZN7rocprim17ROCPRIM_400000_NS6detail17trampoline_kernelINS0_14default_configENS1_35adjacent_difference_config_selectorILb0EdEEZNS1_24adjacent_difference_implIS3_Lb0ELb0EPdS7_N6thrust23THRUST_200600_302600_NS5minusIdEEEE10hipError_tPvRmT2_T3_mT4_P12ihipStream_tbEUlT_E_NS1_11comp_targetILNS1_3genE10ELNS1_11target_archE1201ELNS1_3gpuE5ELNS1_3repE0EEENS1_30default_config_static_selectorELNS0_4arch9wavefront6targetE0EEEvT1_,"axG",@progbits,_ZN7rocprim17ROCPRIM_400000_NS6detail17trampoline_kernelINS0_14default_configENS1_35adjacent_difference_config_selectorILb0EdEEZNS1_24adjacent_difference_implIS3_Lb0ELb0EPdS7_N6thrust23THRUST_200600_302600_NS5minusIdEEEE10hipError_tPvRmT2_T3_mT4_P12ihipStream_tbEUlT_E_NS1_11comp_targetILNS1_3genE10ELNS1_11target_archE1201ELNS1_3gpuE5ELNS1_3repE0EEENS1_30default_config_static_selectorELNS0_4arch9wavefront6targetE0EEEvT1_,comdat
.Lfunc_end3:
	.size	_ZN7rocprim17ROCPRIM_400000_NS6detail17trampoline_kernelINS0_14default_configENS1_35adjacent_difference_config_selectorILb0EdEEZNS1_24adjacent_difference_implIS3_Lb0ELb0EPdS7_N6thrust23THRUST_200600_302600_NS5minusIdEEEE10hipError_tPvRmT2_T3_mT4_P12ihipStream_tbEUlT_E_NS1_11comp_targetILNS1_3genE10ELNS1_11target_archE1201ELNS1_3gpuE5ELNS1_3repE0EEENS1_30default_config_static_selectorELNS0_4arch9wavefront6targetE0EEEvT1_, .Lfunc_end3-_ZN7rocprim17ROCPRIM_400000_NS6detail17trampoline_kernelINS0_14default_configENS1_35adjacent_difference_config_selectorILb0EdEEZNS1_24adjacent_difference_implIS3_Lb0ELb0EPdS7_N6thrust23THRUST_200600_302600_NS5minusIdEEEE10hipError_tPvRmT2_T3_mT4_P12ihipStream_tbEUlT_E_NS1_11comp_targetILNS1_3genE10ELNS1_11target_archE1201ELNS1_3gpuE5ELNS1_3repE0EEENS1_30default_config_static_selectorELNS0_4arch9wavefront6targetE0EEEvT1_
                                        ; -- End function
	.section	.AMDGPU.csdata,"",@progbits
; Kernel info:
; codeLenInByte = 0
; NumSgprs: 0
; NumVgprs: 0
; ScratchSize: 0
; MemoryBound: 0
; FloatMode: 240
; IeeeMode: 1
; LDSByteSize: 0 bytes/workgroup (compile time only)
; SGPRBlocks: 0
; VGPRBlocks: 0
; NumSGPRsForWavesPerEU: 1
; NumVGPRsForWavesPerEU: 1
; Occupancy: 16
; WaveLimiterHint : 0
; COMPUTE_PGM_RSRC2:SCRATCH_EN: 0
; COMPUTE_PGM_RSRC2:USER_SGPR: 15
; COMPUTE_PGM_RSRC2:TRAP_HANDLER: 0
; COMPUTE_PGM_RSRC2:TGID_X_EN: 1
; COMPUTE_PGM_RSRC2:TGID_Y_EN: 0
; COMPUTE_PGM_RSRC2:TGID_Z_EN: 0
; COMPUTE_PGM_RSRC2:TIDIG_COMP_CNT: 0
	.section	.text._ZN7rocprim17ROCPRIM_400000_NS6detail17trampoline_kernelINS0_14default_configENS1_35adjacent_difference_config_selectorILb0EdEEZNS1_24adjacent_difference_implIS3_Lb0ELb0EPdS7_N6thrust23THRUST_200600_302600_NS5minusIdEEEE10hipError_tPvRmT2_T3_mT4_P12ihipStream_tbEUlT_E_NS1_11comp_targetILNS1_3genE5ELNS1_11target_archE942ELNS1_3gpuE9ELNS1_3repE0EEENS1_30default_config_static_selectorELNS0_4arch9wavefront6targetE0EEEvT1_,"axG",@progbits,_ZN7rocprim17ROCPRIM_400000_NS6detail17trampoline_kernelINS0_14default_configENS1_35adjacent_difference_config_selectorILb0EdEEZNS1_24adjacent_difference_implIS3_Lb0ELb0EPdS7_N6thrust23THRUST_200600_302600_NS5minusIdEEEE10hipError_tPvRmT2_T3_mT4_P12ihipStream_tbEUlT_E_NS1_11comp_targetILNS1_3genE5ELNS1_11target_archE942ELNS1_3gpuE9ELNS1_3repE0EEENS1_30default_config_static_selectorELNS0_4arch9wavefront6targetE0EEEvT1_,comdat
	.protected	_ZN7rocprim17ROCPRIM_400000_NS6detail17trampoline_kernelINS0_14default_configENS1_35adjacent_difference_config_selectorILb0EdEEZNS1_24adjacent_difference_implIS3_Lb0ELb0EPdS7_N6thrust23THRUST_200600_302600_NS5minusIdEEEE10hipError_tPvRmT2_T3_mT4_P12ihipStream_tbEUlT_E_NS1_11comp_targetILNS1_3genE5ELNS1_11target_archE942ELNS1_3gpuE9ELNS1_3repE0EEENS1_30default_config_static_selectorELNS0_4arch9wavefront6targetE0EEEvT1_ ; -- Begin function _ZN7rocprim17ROCPRIM_400000_NS6detail17trampoline_kernelINS0_14default_configENS1_35adjacent_difference_config_selectorILb0EdEEZNS1_24adjacent_difference_implIS3_Lb0ELb0EPdS7_N6thrust23THRUST_200600_302600_NS5minusIdEEEE10hipError_tPvRmT2_T3_mT4_P12ihipStream_tbEUlT_E_NS1_11comp_targetILNS1_3genE5ELNS1_11target_archE942ELNS1_3gpuE9ELNS1_3repE0EEENS1_30default_config_static_selectorELNS0_4arch9wavefront6targetE0EEEvT1_
	.globl	_ZN7rocprim17ROCPRIM_400000_NS6detail17trampoline_kernelINS0_14default_configENS1_35adjacent_difference_config_selectorILb0EdEEZNS1_24adjacent_difference_implIS3_Lb0ELb0EPdS7_N6thrust23THRUST_200600_302600_NS5minusIdEEEE10hipError_tPvRmT2_T3_mT4_P12ihipStream_tbEUlT_E_NS1_11comp_targetILNS1_3genE5ELNS1_11target_archE942ELNS1_3gpuE9ELNS1_3repE0EEENS1_30default_config_static_selectorELNS0_4arch9wavefront6targetE0EEEvT1_
	.p2align	8
	.type	_ZN7rocprim17ROCPRIM_400000_NS6detail17trampoline_kernelINS0_14default_configENS1_35adjacent_difference_config_selectorILb0EdEEZNS1_24adjacent_difference_implIS3_Lb0ELb0EPdS7_N6thrust23THRUST_200600_302600_NS5minusIdEEEE10hipError_tPvRmT2_T3_mT4_P12ihipStream_tbEUlT_E_NS1_11comp_targetILNS1_3genE5ELNS1_11target_archE942ELNS1_3gpuE9ELNS1_3repE0EEENS1_30default_config_static_selectorELNS0_4arch9wavefront6targetE0EEEvT1_,@function
_ZN7rocprim17ROCPRIM_400000_NS6detail17trampoline_kernelINS0_14default_configENS1_35adjacent_difference_config_selectorILb0EdEEZNS1_24adjacent_difference_implIS3_Lb0ELb0EPdS7_N6thrust23THRUST_200600_302600_NS5minusIdEEEE10hipError_tPvRmT2_T3_mT4_P12ihipStream_tbEUlT_E_NS1_11comp_targetILNS1_3genE5ELNS1_11target_archE942ELNS1_3gpuE9ELNS1_3repE0EEENS1_30default_config_static_selectorELNS0_4arch9wavefront6targetE0EEEvT1_: ; @_ZN7rocprim17ROCPRIM_400000_NS6detail17trampoline_kernelINS0_14default_configENS1_35adjacent_difference_config_selectorILb0EdEEZNS1_24adjacent_difference_implIS3_Lb0ELb0EPdS7_N6thrust23THRUST_200600_302600_NS5minusIdEEEE10hipError_tPvRmT2_T3_mT4_P12ihipStream_tbEUlT_E_NS1_11comp_targetILNS1_3genE5ELNS1_11target_archE942ELNS1_3gpuE9ELNS1_3repE0EEENS1_30default_config_static_selectorELNS0_4arch9wavefront6targetE0EEEvT1_
; %bb.0:
	.section	.rodata,"a",@progbits
	.p2align	6, 0x0
	.amdhsa_kernel _ZN7rocprim17ROCPRIM_400000_NS6detail17trampoline_kernelINS0_14default_configENS1_35adjacent_difference_config_selectorILb0EdEEZNS1_24adjacent_difference_implIS3_Lb0ELb0EPdS7_N6thrust23THRUST_200600_302600_NS5minusIdEEEE10hipError_tPvRmT2_T3_mT4_P12ihipStream_tbEUlT_E_NS1_11comp_targetILNS1_3genE5ELNS1_11target_archE942ELNS1_3gpuE9ELNS1_3repE0EEENS1_30default_config_static_selectorELNS0_4arch9wavefront6targetE0EEEvT1_
		.amdhsa_group_segment_fixed_size 0
		.amdhsa_private_segment_fixed_size 0
		.amdhsa_kernarg_size 56
		.amdhsa_user_sgpr_count 15
		.amdhsa_user_sgpr_dispatch_ptr 0
		.amdhsa_user_sgpr_queue_ptr 0
		.amdhsa_user_sgpr_kernarg_segment_ptr 1
		.amdhsa_user_sgpr_dispatch_id 0
		.amdhsa_user_sgpr_private_segment_size 0
		.amdhsa_wavefront_size32 1
		.amdhsa_uses_dynamic_stack 0
		.amdhsa_enable_private_segment 0
		.amdhsa_system_sgpr_workgroup_id_x 1
		.amdhsa_system_sgpr_workgroup_id_y 0
		.amdhsa_system_sgpr_workgroup_id_z 0
		.amdhsa_system_sgpr_workgroup_info 0
		.amdhsa_system_vgpr_workitem_id 0
		.amdhsa_next_free_vgpr 1
		.amdhsa_next_free_sgpr 1
		.amdhsa_reserve_vcc 0
		.amdhsa_float_round_mode_32 0
		.amdhsa_float_round_mode_16_64 0
		.amdhsa_float_denorm_mode_32 3
		.amdhsa_float_denorm_mode_16_64 3
		.amdhsa_dx10_clamp 1
		.amdhsa_ieee_mode 1
		.amdhsa_fp16_overflow 0
		.amdhsa_workgroup_processor_mode 1
		.amdhsa_memory_ordered 1
		.amdhsa_forward_progress 0
		.amdhsa_shared_vgpr_count 0
		.amdhsa_exception_fp_ieee_invalid_op 0
		.amdhsa_exception_fp_denorm_src 0
		.amdhsa_exception_fp_ieee_div_zero 0
		.amdhsa_exception_fp_ieee_overflow 0
		.amdhsa_exception_fp_ieee_underflow 0
		.amdhsa_exception_fp_ieee_inexact 0
		.amdhsa_exception_int_div_zero 0
	.end_amdhsa_kernel
	.section	.text._ZN7rocprim17ROCPRIM_400000_NS6detail17trampoline_kernelINS0_14default_configENS1_35adjacent_difference_config_selectorILb0EdEEZNS1_24adjacent_difference_implIS3_Lb0ELb0EPdS7_N6thrust23THRUST_200600_302600_NS5minusIdEEEE10hipError_tPvRmT2_T3_mT4_P12ihipStream_tbEUlT_E_NS1_11comp_targetILNS1_3genE5ELNS1_11target_archE942ELNS1_3gpuE9ELNS1_3repE0EEENS1_30default_config_static_selectorELNS0_4arch9wavefront6targetE0EEEvT1_,"axG",@progbits,_ZN7rocprim17ROCPRIM_400000_NS6detail17trampoline_kernelINS0_14default_configENS1_35adjacent_difference_config_selectorILb0EdEEZNS1_24adjacent_difference_implIS3_Lb0ELb0EPdS7_N6thrust23THRUST_200600_302600_NS5minusIdEEEE10hipError_tPvRmT2_T3_mT4_P12ihipStream_tbEUlT_E_NS1_11comp_targetILNS1_3genE5ELNS1_11target_archE942ELNS1_3gpuE9ELNS1_3repE0EEENS1_30default_config_static_selectorELNS0_4arch9wavefront6targetE0EEEvT1_,comdat
.Lfunc_end4:
	.size	_ZN7rocprim17ROCPRIM_400000_NS6detail17trampoline_kernelINS0_14default_configENS1_35adjacent_difference_config_selectorILb0EdEEZNS1_24adjacent_difference_implIS3_Lb0ELb0EPdS7_N6thrust23THRUST_200600_302600_NS5minusIdEEEE10hipError_tPvRmT2_T3_mT4_P12ihipStream_tbEUlT_E_NS1_11comp_targetILNS1_3genE5ELNS1_11target_archE942ELNS1_3gpuE9ELNS1_3repE0EEENS1_30default_config_static_selectorELNS0_4arch9wavefront6targetE0EEEvT1_, .Lfunc_end4-_ZN7rocprim17ROCPRIM_400000_NS6detail17trampoline_kernelINS0_14default_configENS1_35adjacent_difference_config_selectorILb0EdEEZNS1_24adjacent_difference_implIS3_Lb0ELb0EPdS7_N6thrust23THRUST_200600_302600_NS5minusIdEEEE10hipError_tPvRmT2_T3_mT4_P12ihipStream_tbEUlT_E_NS1_11comp_targetILNS1_3genE5ELNS1_11target_archE942ELNS1_3gpuE9ELNS1_3repE0EEENS1_30default_config_static_selectorELNS0_4arch9wavefront6targetE0EEEvT1_
                                        ; -- End function
	.section	.AMDGPU.csdata,"",@progbits
; Kernel info:
; codeLenInByte = 0
; NumSgprs: 0
; NumVgprs: 0
; ScratchSize: 0
; MemoryBound: 0
; FloatMode: 240
; IeeeMode: 1
; LDSByteSize: 0 bytes/workgroup (compile time only)
; SGPRBlocks: 0
; VGPRBlocks: 0
; NumSGPRsForWavesPerEU: 1
; NumVGPRsForWavesPerEU: 1
; Occupancy: 16
; WaveLimiterHint : 0
; COMPUTE_PGM_RSRC2:SCRATCH_EN: 0
; COMPUTE_PGM_RSRC2:USER_SGPR: 15
; COMPUTE_PGM_RSRC2:TRAP_HANDLER: 0
; COMPUTE_PGM_RSRC2:TGID_X_EN: 1
; COMPUTE_PGM_RSRC2:TGID_Y_EN: 0
; COMPUTE_PGM_RSRC2:TGID_Z_EN: 0
; COMPUTE_PGM_RSRC2:TIDIG_COMP_CNT: 0
	.section	.text._ZN7rocprim17ROCPRIM_400000_NS6detail17trampoline_kernelINS0_14default_configENS1_35adjacent_difference_config_selectorILb0EdEEZNS1_24adjacent_difference_implIS3_Lb0ELb0EPdS7_N6thrust23THRUST_200600_302600_NS5minusIdEEEE10hipError_tPvRmT2_T3_mT4_P12ihipStream_tbEUlT_E_NS1_11comp_targetILNS1_3genE4ELNS1_11target_archE910ELNS1_3gpuE8ELNS1_3repE0EEENS1_30default_config_static_selectorELNS0_4arch9wavefront6targetE0EEEvT1_,"axG",@progbits,_ZN7rocprim17ROCPRIM_400000_NS6detail17trampoline_kernelINS0_14default_configENS1_35adjacent_difference_config_selectorILb0EdEEZNS1_24adjacent_difference_implIS3_Lb0ELb0EPdS7_N6thrust23THRUST_200600_302600_NS5minusIdEEEE10hipError_tPvRmT2_T3_mT4_P12ihipStream_tbEUlT_E_NS1_11comp_targetILNS1_3genE4ELNS1_11target_archE910ELNS1_3gpuE8ELNS1_3repE0EEENS1_30default_config_static_selectorELNS0_4arch9wavefront6targetE0EEEvT1_,comdat
	.protected	_ZN7rocprim17ROCPRIM_400000_NS6detail17trampoline_kernelINS0_14default_configENS1_35adjacent_difference_config_selectorILb0EdEEZNS1_24adjacent_difference_implIS3_Lb0ELb0EPdS7_N6thrust23THRUST_200600_302600_NS5minusIdEEEE10hipError_tPvRmT2_T3_mT4_P12ihipStream_tbEUlT_E_NS1_11comp_targetILNS1_3genE4ELNS1_11target_archE910ELNS1_3gpuE8ELNS1_3repE0EEENS1_30default_config_static_selectorELNS0_4arch9wavefront6targetE0EEEvT1_ ; -- Begin function _ZN7rocprim17ROCPRIM_400000_NS6detail17trampoline_kernelINS0_14default_configENS1_35adjacent_difference_config_selectorILb0EdEEZNS1_24adjacent_difference_implIS3_Lb0ELb0EPdS7_N6thrust23THRUST_200600_302600_NS5minusIdEEEE10hipError_tPvRmT2_T3_mT4_P12ihipStream_tbEUlT_E_NS1_11comp_targetILNS1_3genE4ELNS1_11target_archE910ELNS1_3gpuE8ELNS1_3repE0EEENS1_30default_config_static_selectorELNS0_4arch9wavefront6targetE0EEEvT1_
	.globl	_ZN7rocprim17ROCPRIM_400000_NS6detail17trampoline_kernelINS0_14default_configENS1_35adjacent_difference_config_selectorILb0EdEEZNS1_24adjacent_difference_implIS3_Lb0ELb0EPdS7_N6thrust23THRUST_200600_302600_NS5minusIdEEEE10hipError_tPvRmT2_T3_mT4_P12ihipStream_tbEUlT_E_NS1_11comp_targetILNS1_3genE4ELNS1_11target_archE910ELNS1_3gpuE8ELNS1_3repE0EEENS1_30default_config_static_selectorELNS0_4arch9wavefront6targetE0EEEvT1_
	.p2align	8
	.type	_ZN7rocprim17ROCPRIM_400000_NS6detail17trampoline_kernelINS0_14default_configENS1_35adjacent_difference_config_selectorILb0EdEEZNS1_24adjacent_difference_implIS3_Lb0ELb0EPdS7_N6thrust23THRUST_200600_302600_NS5minusIdEEEE10hipError_tPvRmT2_T3_mT4_P12ihipStream_tbEUlT_E_NS1_11comp_targetILNS1_3genE4ELNS1_11target_archE910ELNS1_3gpuE8ELNS1_3repE0EEENS1_30default_config_static_selectorELNS0_4arch9wavefront6targetE0EEEvT1_,@function
_ZN7rocprim17ROCPRIM_400000_NS6detail17trampoline_kernelINS0_14default_configENS1_35adjacent_difference_config_selectorILb0EdEEZNS1_24adjacent_difference_implIS3_Lb0ELb0EPdS7_N6thrust23THRUST_200600_302600_NS5minusIdEEEE10hipError_tPvRmT2_T3_mT4_P12ihipStream_tbEUlT_E_NS1_11comp_targetILNS1_3genE4ELNS1_11target_archE910ELNS1_3gpuE8ELNS1_3repE0EEENS1_30default_config_static_selectorELNS0_4arch9wavefront6targetE0EEEvT1_: ; @_ZN7rocprim17ROCPRIM_400000_NS6detail17trampoline_kernelINS0_14default_configENS1_35adjacent_difference_config_selectorILb0EdEEZNS1_24adjacent_difference_implIS3_Lb0ELb0EPdS7_N6thrust23THRUST_200600_302600_NS5minusIdEEEE10hipError_tPvRmT2_T3_mT4_P12ihipStream_tbEUlT_E_NS1_11comp_targetILNS1_3genE4ELNS1_11target_archE910ELNS1_3gpuE8ELNS1_3repE0EEENS1_30default_config_static_selectorELNS0_4arch9wavefront6targetE0EEEvT1_
; %bb.0:
	.section	.rodata,"a",@progbits
	.p2align	6, 0x0
	.amdhsa_kernel _ZN7rocprim17ROCPRIM_400000_NS6detail17trampoline_kernelINS0_14default_configENS1_35adjacent_difference_config_selectorILb0EdEEZNS1_24adjacent_difference_implIS3_Lb0ELb0EPdS7_N6thrust23THRUST_200600_302600_NS5minusIdEEEE10hipError_tPvRmT2_T3_mT4_P12ihipStream_tbEUlT_E_NS1_11comp_targetILNS1_3genE4ELNS1_11target_archE910ELNS1_3gpuE8ELNS1_3repE0EEENS1_30default_config_static_selectorELNS0_4arch9wavefront6targetE0EEEvT1_
		.amdhsa_group_segment_fixed_size 0
		.amdhsa_private_segment_fixed_size 0
		.amdhsa_kernarg_size 56
		.amdhsa_user_sgpr_count 15
		.amdhsa_user_sgpr_dispatch_ptr 0
		.amdhsa_user_sgpr_queue_ptr 0
		.amdhsa_user_sgpr_kernarg_segment_ptr 1
		.amdhsa_user_sgpr_dispatch_id 0
		.amdhsa_user_sgpr_private_segment_size 0
		.amdhsa_wavefront_size32 1
		.amdhsa_uses_dynamic_stack 0
		.amdhsa_enable_private_segment 0
		.amdhsa_system_sgpr_workgroup_id_x 1
		.amdhsa_system_sgpr_workgroup_id_y 0
		.amdhsa_system_sgpr_workgroup_id_z 0
		.amdhsa_system_sgpr_workgroup_info 0
		.amdhsa_system_vgpr_workitem_id 0
		.amdhsa_next_free_vgpr 1
		.amdhsa_next_free_sgpr 1
		.amdhsa_reserve_vcc 0
		.amdhsa_float_round_mode_32 0
		.amdhsa_float_round_mode_16_64 0
		.amdhsa_float_denorm_mode_32 3
		.amdhsa_float_denorm_mode_16_64 3
		.amdhsa_dx10_clamp 1
		.amdhsa_ieee_mode 1
		.amdhsa_fp16_overflow 0
		.amdhsa_workgroup_processor_mode 1
		.amdhsa_memory_ordered 1
		.amdhsa_forward_progress 0
		.amdhsa_shared_vgpr_count 0
		.amdhsa_exception_fp_ieee_invalid_op 0
		.amdhsa_exception_fp_denorm_src 0
		.amdhsa_exception_fp_ieee_div_zero 0
		.amdhsa_exception_fp_ieee_overflow 0
		.amdhsa_exception_fp_ieee_underflow 0
		.amdhsa_exception_fp_ieee_inexact 0
		.amdhsa_exception_int_div_zero 0
	.end_amdhsa_kernel
	.section	.text._ZN7rocprim17ROCPRIM_400000_NS6detail17trampoline_kernelINS0_14default_configENS1_35adjacent_difference_config_selectorILb0EdEEZNS1_24adjacent_difference_implIS3_Lb0ELb0EPdS7_N6thrust23THRUST_200600_302600_NS5minusIdEEEE10hipError_tPvRmT2_T3_mT4_P12ihipStream_tbEUlT_E_NS1_11comp_targetILNS1_3genE4ELNS1_11target_archE910ELNS1_3gpuE8ELNS1_3repE0EEENS1_30default_config_static_selectorELNS0_4arch9wavefront6targetE0EEEvT1_,"axG",@progbits,_ZN7rocprim17ROCPRIM_400000_NS6detail17trampoline_kernelINS0_14default_configENS1_35adjacent_difference_config_selectorILb0EdEEZNS1_24adjacent_difference_implIS3_Lb0ELb0EPdS7_N6thrust23THRUST_200600_302600_NS5minusIdEEEE10hipError_tPvRmT2_T3_mT4_P12ihipStream_tbEUlT_E_NS1_11comp_targetILNS1_3genE4ELNS1_11target_archE910ELNS1_3gpuE8ELNS1_3repE0EEENS1_30default_config_static_selectorELNS0_4arch9wavefront6targetE0EEEvT1_,comdat
.Lfunc_end5:
	.size	_ZN7rocprim17ROCPRIM_400000_NS6detail17trampoline_kernelINS0_14default_configENS1_35adjacent_difference_config_selectorILb0EdEEZNS1_24adjacent_difference_implIS3_Lb0ELb0EPdS7_N6thrust23THRUST_200600_302600_NS5minusIdEEEE10hipError_tPvRmT2_T3_mT4_P12ihipStream_tbEUlT_E_NS1_11comp_targetILNS1_3genE4ELNS1_11target_archE910ELNS1_3gpuE8ELNS1_3repE0EEENS1_30default_config_static_selectorELNS0_4arch9wavefront6targetE0EEEvT1_, .Lfunc_end5-_ZN7rocprim17ROCPRIM_400000_NS6detail17trampoline_kernelINS0_14default_configENS1_35adjacent_difference_config_selectorILb0EdEEZNS1_24adjacent_difference_implIS3_Lb0ELb0EPdS7_N6thrust23THRUST_200600_302600_NS5minusIdEEEE10hipError_tPvRmT2_T3_mT4_P12ihipStream_tbEUlT_E_NS1_11comp_targetILNS1_3genE4ELNS1_11target_archE910ELNS1_3gpuE8ELNS1_3repE0EEENS1_30default_config_static_selectorELNS0_4arch9wavefront6targetE0EEEvT1_
                                        ; -- End function
	.section	.AMDGPU.csdata,"",@progbits
; Kernel info:
; codeLenInByte = 0
; NumSgprs: 0
; NumVgprs: 0
; ScratchSize: 0
; MemoryBound: 0
; FloatMode: 240
; IeeeMode: 1
; LDSByteSize: 0 bytes/workgroup (compile time only)
; SGPRBlocks: 0
; VGPRBlocks: 0
; NumSGPRsForWavesPerEU: 1
; NumVGPRsForWavesPerEU: 1
; Occupancy: 16
; WaveLimiterHint : 0
; COMPUTE_PGM_RSRC2:SCRATCH_EN: 0
; COMPUTE_PGM_RSRC2:USER_SGPR: 15
; COMPUTE_PGM_RSRC2:TRAP_HANDLER: 0
; COMPUTE_PGM_RSRC2:TGID_X_EN: 1
; COMPUTE_PGM_RSRC2:TGID_Y_EN: 0
; COMPUTE_PGM_RSRC2:TGID_Z_EN: 0
; COMPUTE_PGM_RSRC2:TIDIG_COMP_CNT: 0
	.section	.text._ZN7rocprim17ROCPRIM_400000_NS6detail17trampoline_kernelINS0_14default_configENS1_35adjacent_difference_config_selectorILb0EdEEZNS1_24adjacent_difference_implIS3_Lb0ELb0EPdS7_N6thrust23THRUST_200600_302600_NS5minusIdEEEE10hipError_tPvRmT2_T3_mT4_P12ihipStream_tbEUlT_E_NS1_11comp_targetILNS1_3genE3ELNS1_11target_archE908ELNS1_3gpuE7ELNS1_3repE0EEENS1_30default_config_static_selectorELNS0_4arch9wavefront6targetE0EEEvT1_,"axG",@progbits,_ZN7rocprim17ROCPRIM_400000_NS6detail17trampoline_kernelINS0_14default_configENS1_35adjacent_difference_config_selectorILb0EdEEZNS1_24adjacent_difference_implIS3_Lb0ELb0EPdS7_N6thrust23THRUST_200600_302600_NS5minusIdEEEE10hipError_tPvRmT2_T3_mT4_P12ihipStream_tbEUlT_E_NS1_11comp_targetILNS1_3genE3ELNS1_11target_archE908ELNS1_3gpuE7ELNS1_3repE0EEENS1_30default_config_static_selectorELNS0_4arch9wavefront6targetE0EEEvT1_,comdat
	.protected	_ZN7rocprim17ROCPRIM_400000_NS6detail17trampoline_kernelINS0_14default_configENS1_35adjacent_difference_config_selectorILb0EdEEZNS1_24adjacent_difference_implIS3_Lb0ELb0EPdS7_N6thrust23THRUST_200600_302600_NS5minusIdEEEE10hipError_tPvRmT2_T3_mT4_P12ihipStream_tbEUlT_E_NS1_11comp_targetILNS1_3genE3ELNS1_11target_archE908ELNS1_3gpuE7ELNS1_3repE0EEENS1_30default_config_static_selectorELNS0_4arch9wavefront6targetE0EEEvT1_ ; -- Begin function _ZN7rocprim17ROCPRIM_400000_NS6detail17trampoline_kernelINS0_14default_configENS1_35adjacent_difference_config_selectorILb0EdEEZNS1_24adjacent_difference_implIS3_Lb0ELb0EPdS7_N6thrust23THRUST_200600_302600_NS5minusIdEEEE10hipError_tPvRmT2_T3_mT4_P12ihipStream_tbEUlT_E_NS1_11comp_targetILNS1_3genE3ELNS1_11target_archE908ELNS1_3gpuE7ELNS1_3repE0EEENS1_30default_config_static_selectorELNS0_4arch9wavefront6targetE0EEEvT1_
	.globl	_ZN7rocprim17ROCPRIM_400000_NS6detail17trampoline_kernelINS0_14default_configENS1_35adjacent_difference_config_selectorILb0EdEEZNS1_24adjacent_difference_implIS3_Lb0ELb0EPdS7_N6thrust23THRUST_200600_302600_NS5minusIdEEEE10hipError_tPvRmT2_T3_mT4_P12ihipStream_tbEUlT_E_NS1_11comp_targetILNS1_3genE3ELNS1_11target_archE908ELNS1_3gpuE7ELNS1_3repE0EEENS1_30default_config_static_selectorELNS0_4arch9wavefront6targetE0EEEvT1_
	.p2align	8
	.type	_ZN7rocprim17ROCPRIM_400000_NS6detail17trampoline_kernelINS0_14default_configENS1_35adjacent_difference_config_selectorILb0EdEEZNS1_24adjacent_difference_implIS3_Lb0ELb0EPdS7_N6thrust23THRUST_200600_302600_NS5minusIdEEEE10hipError_tPvRmT2_T3_mT4_P12ihipStream_tbEUlT_E_NS1_11comp_targetILNS1_3genE3ELNS1_11target_archE908ELNS1_3gpuE7ELNS1_3repE0EEENS1_30default_config_static_selectorELNS0_4arch9wavefront6targetE0EEEvT1_,@function
_ZN7rocprim17ROCPRIM_400000_NS6detail17trampoline_kernelINS0_14default_configENS1_35adjacent_difference_config_selectorILb0EdEEZNS1_24adjacent_difference_implIS3_Lb0ELb0EPdS7_N6thrust23THRUST_200600_302600_NS5minusIdEEEE10hipError_tPvRmT2_T3_mT4_P12ihipStream_tbEUlT_E_NS1_11comp_targetILNS1_3genE3ELNS1_11target_archE908ELNS1_3gpuE7ELNS1_3repE0EEENS1_30default_config_static_selectorELNS0_4arch9wavefront6targetE0EEEvT1_: ; @_ZN7rocprim17ROCPRIM_400000_NS6detail17trampoline_kernelINS0_14default_configENS1_35adjacent_difference_config_selectorILb0EdEEZNS1_24adjacent_difference_implIS3_Lb0ELb0EPdS7_N6thrust23THRUST_200600_302600_NS5minusIdEEEE10hipError_tPvRmT2_T3_mT4_P12ihipStream_tbEUlT_E_NS1_11comp_targetILNS1_3genE3ELNS1_11target_archE908ELNS1_3gpuE7ELNS1_3repE0EEENS1_30default_config_static_selectorELNS0_4arch9wavefront6targetE0EEEvT1_
; %bb.0:
	.section	.rodata,"a",@progbits
	.p2align	6, 0x0
	.amdhsa_kernel _ZN7rocprim17ROCPRIM_400000_NS6detail17trampoline_kernelINS0_14default_configENS1_35adjacent_difference_config_selectorILb0EdEEZNS1_24adjacent_difference_implIS3_Lb0ELb0EPdS7_N6thrust23THRUST_200600_302600_NS5minusIdEEEE10hipError_tPvRmT2_T3_mT4_P12ihipStream_tbEUlT_E_NS1_11comp_targetILNS1_3genE3ELNS1_11target_archE908ELNS1_3gpuE7ELNS1_3repE0EEENS1_30default_config_static_selectorELNS0_4arch9wavefront6targetE0EEEvT1_
		.amdhsa_group_segment_fixed_size 0
		.amdhsa_private_segment_fixed_size 0
		.amdhsa_kernarg_size 56
		.amdhsa_user_sgpr_count 15
		.amdhsa_user_sgpr_dispatch_ptr 0
		.amdhsa_user_sgpr_queue_ptr 0
		.amdhsa_user_sgpr_kernarg_segment_ptr 1
		.amdhsa_user_sgpr_dispatch_id 0
		.amdhsa_user_sgpr_private_segment_size 0
		.amdhsa_wavefront_size32 1
		.amdhsa_uses_dynamic_stack 0
		.amdhsa_enable_private_segment 0
		.amdhsa_system_sgpr_workgroup_id_x 1
		.amdhsa_system_sgpr_workgroup_id_y 0
		.amdhsa_system_sgpr_workgroup_id_z 0
		.amdhsa_system_sgpr_workgroup_info 0
		.amdhsa_system_vgpr_workitem_id 0
		.amdhsa_next_free_vgpr 1
		.amdhsa_next_free_sgpr 1
		.amdhsa_reserve_vcc 0
		.amdhsa_float_round_mode_32 0
		.amdhsa_float_round_mode_16_64 0
		.amdhsa_float_denorm_mode_32 3
		.amdhsa_float_denorm_mode_16_64 3
		.amdhsa_dx10_clamp 1
		.amdhsa_ieee_mode 1
		.amdhsa_fp16_overflow 0
		.amdhsa_workgroup_processor_mode 1
		.amdhsa_memory_ordered 1
		.amdhsa_forward_progress 0
		.amdhsa_shared_vgpr_count 0
		.amdhsa_exception_fp_ieee_invalid_op 0
		.amdhsa_exception_fp_denorm_src 0
		.amdhsa_exception_fp_ieee_div_zero 0
		.amdhsa_exception_fp_ieee_overflow 0
		.amdhsa_exception_fp_ieee_underflow 0
		.amdhsa_exception_fp_ieee_inexact 0
		.amdhsa_exception_int_div_zero 0
	.end_amdhsa_kernel
	.section	.text._ZN7rocprim17ROCPRIM_400000_NS6detail17trampoline_kernelINS0_14default_configENS1_35adjacent_difference_config_selectorILb0EdEEZNS1_24adjacent_difference_implIS3_Lb0ELb0EPdS7_N6thrust23THRUST_200600_302600_NS5minusIdEEEE10hipError_tPvRmT2_T3_mT4_P12ihipStream_tbEUlT_E_NS1_11comp_targetILNS1_3genE3ELNS1_11target_archE908ELNS1_3gpuE7ELNS1_3repE0EEENS1_30default_config_static_selectorELNS0_4arch9wavefront6targetE0EEEvT1_,"axG",@progbits,_ZN7rocprim17ROCPRIM_400000_NS6detail17trampoline_kernelINS0_14default_configENS1_35adjacent_difference_config_selectorILb0EdEEZNS1_24adjacent_difference_implIS3_Lb0ELb0EPdS7_N6thrust23THRUST_200600_302600_NS5minusIdEEEE10hipError_tPvRmT2_T3_mT4_P12ihipStream_tbEUlT_E_NS1_11comp_targetILNS1_3genE3ELNS1_11target_archE908ELNS1_3gpuE7ELNS1_3repE0EEENS1_30default_config_static_selectorELNS0_4arch9wavefront6targetE0EEEvT1_,comdat
.Lfunc_end6:
	.size	_ZN7rocprim17ROCPRIM_400000_NS6detail17trampoline_kernelINS0_14default_configENS1_35adjacent_difference_config_selectorILb0EdEEZNS1_24adjacent_difference_implIS3_Lb0ELb0EPdS7_N6thrust23THRUST_200600_302600_NS5minusIdEEEE10hipError_tPvRmT2_T3_mT4_P12ihipStream_tbEUlT_E_NS1_11comp_targetILNS1_3genE3ELNS1_11target_archE908ELNS1_3gpuE7ELNS1_3repE0EEENS1_30default_config_static_selectorELNS0_4arch9wavefront6targetE0EEEvT1_, .Lfunc_end6-_ZN7rocprim17ROCPRIM_400000_NS6detail17trampoline_kernelINS0_14default_configENS1_35adjacent_difference_config_selectorILb0EdEEZNS1_24adjacent_difference_implIS3_Lb0ELb0EPdS7_N6thrust23THRUST_200600_302600_NS5minusIdEEEE10hipError_tPvRmT2_T3_mT4_P12ihipStream_tbEUlT_E_NS1_11comp_targetILNS1_3genE3ELNS1_11target_archE908ELNS1_3gpuE7ELNS1_3repE0EEENS1_30default_config_static_selectorELNS0_4arch9wavefront6targetE0EEEvT1_
                                        ; -- End function
	.section	.AMDGPU.csdata,"",@progbits
; Kernel info:
; codeLenInByte = 0
; NumSgprs: 0
; NumVgprs: 0
; ScratchSize: 0
; MemoryBound: 0
; FloatMode: 240
; IeeeMode: 1
; LDSByteSize: 0 bytes/workgroup (compile time only)
; SGPRBlocks: 0
; VGPRBlocks: 0
; NumSGPRsForWavesPerEU: 1
; NumVGPRsForWavesPerEU: 1
; Occupancy: 16
; WaveLimiterHint : 0
; COMPUTE_PGM_RSRC2:SCRATCH_EN: 0
; COMPUTE_PGM_RSRC2:USER_SGPR: 15
; COMPUTE_PGM_RSRC2:TRAP_HANDLER: 0
; COMPUTE_PGM_RSRC2:TGID_X_EN: 1
; COMPUTE_PGM_RSRC2:TGID_Y_EN: 0
; COMPUTE_PGM_RSRC2:TGID_Z_EN: 0
; COMPUTE_PGM_RSRC2:TIDIG_COMP_CNT: 0
	.section	.text._ZN7rocprim17ROCPRIM_400000_NS6detail17trampoline_kernelINS0_14default_configENS1_35adjacent_difference_config_selectorILb0EdEEZNS1_24adjacent_difference_implIS3_Lb0ELb0EPdS7_N6thrust23THRUST_200600_302600_NS5minusIdEEEE10hipError_tPvRmT2_T3_mT4_P12ihipStream_tbEUlT_E_NS1_11comp_targetILNS1_3genE2ELNS1_11target_archE906ELNS1_3gpuE6ELNS1_3repE0EEENS1_30default_config_static_selectorELNS0_4arch9wavefront6targetE0EEEvT1_,"axG",@progbits,_ZN7rocprim17ROCPRIM_400000_NS6detail17trampoline_kernelINS0_14default_configENS1_35adjacent_difference_config_selectorILb0EdEEZNS1_24adjacent_difference_implIS3_Lb0ELb0EPdS7_N6thrust23THRUST_200600_302600_NS5minusIdEEEE10hipError_tPvRmT2_T3_mT4_P12ihipStream_tbEUlT_E_NS1_11comp_targetILNS1_3genE2ELNS1_11target_archE906ELNS1_3gpuE6ELNS1_3repE0EEENS1_30default_config_static_selectorELNS0_4arch9wavefront6targetE0EEEvT1_,comdat
	.protected	_ZN7rocprim17ROCPRIM_400000_NS6detail17trampoline_kernelINS0_14default_configENS1_35adjacent_difference_config_selectorILb0EdEEZNS1_24adjacent_difference_implIS3_Lb0ELb0EPdS7_N6thrust23THRUST_200600_302600_NS5minusIdEEEE10hipError_tPvRmT2_T3_mT4_P12ihipStream_tbEUlT_E_NS1_11comp_targetILNS1_3genE2ELNS1_11target_archE906ELNS1_3gpuE6ELNS1_3repE0EEENS1_30default_config_static_selectorELNS0_4arch9wavefront6targetE0EEEvT1_ ; -- Begin function _ZN7rocprim17ROCPRIM_400000_NS6detail17trampoline_kernelINS0_14default_configENS1_35adjacent_difference_config_selectorILb0EdEEZNS1_24adjacent_difference_implIS3_Lb0ELb0EPdS7_N6thrust23THRUST_200600_302600_NS5minusIdEEEE10hipError_tPvRmT2_T3_mT4_P12ihipStream_tbEUlT_E_NS1_11comp_targetILNS1_3genE2ELNS1_11target_archE906ELNS1_3gpuE6ELNS1_3repE0EEENS1_30default_config_static_selectorELNS0_4arch9wavefront6targetE0EEEvT1_
	.globl	_ZN7rocprim17ROCPRIM_400000_NS6detail17trampoline_kernelINS0_14default_configENS1_35adjacent_difference_config_selectorILb0EdEEZNS1_24adjacent_difference_implIS3_Lb0ELb0EPdS7_N6thrust23THRUST_200600_302600_NS5minusIdEEEE10hipError_tPvRmT2_T3_mT4_P12ihipStream_tbEUlT_E_NS1_11comp_targetILNS1_3genE2ELNS1_11target_archE906ELNS1_3gpuE6ELNS1_3repE0EEENS1_30default_config_static_selectorELNS0_4arch9wavefront6targetE0EEEvT1_
	.p2align	8
	.type	_ZN7rocprim17ROCPRIM_400000_NS6detail17trampoline_kernelINS0_14default_configENS1_35adjacent_difference_config_selectorILb0EdEEZNS1_24adjacent_difference_implIS3_Lb0ELb0EPdS7_N6thrust23THRUST_200600_302600_NS5minusIdEEEE10hipError_tPvRmT2_T3_mT4_P12ihipStream_tbEUlT_E_NS1_11comp_targetILNS1_3genE2ELNS1_11target_archE906ELNS1_3gpuE6ELNS1_3repE0EEENS1_30default_config_static_selectorELNS0_4arch9wavefront6targetE0EEEvT1_,@function
_ZN7rocprim17ROCPRIM_400000_NS6detail17trampoline_kernelINS0_14default_configENS1_35adjacent_difference_config_selectorILb0EdEEZNS1_24adjacent_difference_implIS3_Lb0ELb0EPdS7_N6thrust23THRUST_200600_302600_NS5minusIdEEEE10hipError_tPvRmT2_T3_mT4_P12ihipStream_tbEUlT_E_NS1_11comp_targetILNS1_3genE2ELNS1_11target_archE906ELNS1_3gpuE6ELNS1_3repE0EEENS1_30default_config_static_selectorELNS0_4arch9wavefront6targetE0EEEvT1_: ; @_ZN7rocprim17ROCPRIM_400000_NS6detail17trampoline_kernelINS0_14default_configENS1_35adjacent_difference_config_selectorILb0EdEEZNS1_24adjacent_difference_implIS3_Lb0ELb0EPdS7_N6thrust23THRUST_200600_302600_NS5minusIdEEEE10hipError_tPvRmT2_T3_mT4_P12ihipStream_tbEUlT_E_NS1_11comp_targetILNS1_3genE2ELNS1_11target_archE906ELNS1_3gpuE6ELNS1_3repE0EEENS1_30default_config_static_selectorELNS0_4arch9wavefront6targetE0EEEvT1_
; %bb.0:
	.section	.rodata,"a",@progbits
	.p2align	6, 0x0
	.amdhsa_kernel _ZN7rocprim17ROCPRIM_400000_NS6detail17trampoline_kernelINS0_14default_configENS1_35adjacent_difference_config_selectorILb0EdEEZNS1_24adjacent_difference_implIS3_Lb0ELb0EPdS7_N6thrust23THRUST_200600_302600_NS5minusIdEEEE10hipError_tPvRmT2_T3_mT4_P12ihipStream_tbEUlT_E_NS1_11comp_targetILNS1_3genE2ELNS1_11target_archE906ELNS1_3gpuE6ELNS1_3repE0EEENS1_30default_config_static_selectorELNS0_4arch9wavefront6targetE0EEEvT1_
		.amdhsa_group_segment_fixed_size 0
		.amdhsa_private_segment_fixed_size 0
		.amdhsa_kernarg_size 56
		.amdhsa_user_sgpr_count 15
		.amdhsa_user_sgpr_dispatch_ptr 0
		.amdhsa_user_sgpr_queue_ptr 0
		.amdhsa_user_sgpr_kernarg_segment_ptr 1
		.amdhsa_user_sgpr_dispatch_id 0
		.amdhsa_user_sgpr_private_segment_size 0
		.amdhsa_wavefront_size32 1
		.amdhsa_uses_dynamic_stack 0
		.amdhsa_enable_private_segment 0
		.amdhsa_system_sgpr_workgroup_id_x 1
		.amdhsa_system_sgpr_workgroup_id_y 0
		.amdhsa_system_sgpr_workgroup_id_z 0
		.amdhsa_system_sgpr_workgroup_info 0
		.amdhsa_system_vgpr_workitem_id 0
		.amdhsa_next_free_vgpr 1
		.amdhsa_next_free_sgpr 1
		.amdhsa_reserve_vcc 0
		.amdhsa_float_round_mode_32 0
		.amdhsa_float_round_mode_16_64 0
		.amdhsa_float_denorm_mode_32 3
		.amdhsa_float_denorm_mode_16_64 3
		.amdhsa_dx10_clamp 1
		.amdhsa_ieee_mode 1
		.amdhsa_fp16_overflow 0
		.amdhsa_workgroup_processor_mode 1
		.amdhsa_memory_ordered 1
		.amdhsa_forward_progress 0
		.amdhsa_shared_vgpr_count 0
		.amdhsa_exception_fp_ieee_invalid_op 0
		.amdhsa_exception_fp_denorm_src 0
		.amdhsa_exception_fp_ieee_div_zero 0
		.amdhsa_exception_fp_ieee_overflow 0
		.amdhsa_exception_fp_ieee_underflow 0
		.amdhsa_exception_fp_ieee_inexact 0
		.amdhsa_exception_int_div_zero 0
	.end_amdhsa_kernel
	.section	.text._ZN7rocprim17ROCPRIM_400000_NS6detail17trampoline_kernelINS0_14default_configENS1_35adjacent_difference_config_selectorILb0EdEEZNS1_24adjacent_difference_implIS3_Lb0ELb0EPdS7_N6thrust23THRUST_200600_302600_NS5minusIdEEEE10hipError_tPvRmT2_T3_mT4_P12ihipStream_tbEUlT_E_NS1_11comp_targetILNS1_3genE2ELNS1_11target_archE906ELNS1_3gpuE6ELNS1_3repE0EEENS1_30default_config_static_selectorELNS0_4arch9wavefront6targetE0EEEvT1_,"axG",@progbits,_ZN7rocprim17ROCPRIM_400000_NS6detail17trampoline_kernelINS0_14default_configENS1_35adjacent_difference_config_selectorILb0EdEEZNS1_24adjacent_difference_implIS3_Lb0ELb0EPdS7_N6thrust23THRUST_200600_302600_NS5minusIdEEEE10hipError_tPvRmT2_T3_mT4_P12ihipStream_tbEUlT_E_NS1_11comp_targetILNS1_3genE2ELNS1_11target_archE906ELNS1_3gpuE6ELNS1_3repE0EEENS1_30default_config_static_selectorELNS0_4arch9wavefront6targetE0EEEvT1_,comdat
.Lfunc_end7:
	.size	_ZN7rocprim17ROCPRIM_400000_NS6detail17trampoline_kernelINS0_14default_configENS1_35adjacent_difference_config_selectorILb0EdEEZNS1_24adjacent_difference_implIS3_Lb0ELb0EPdS7_N6thrust23THRUST_200600_302600_NS5minusIdEEEE10hipError_tPvRmT2_T3_mT4_P12ihipStream_tbEUlT_E_NS1_11comp_targetILNS1_3genE2ELNS1_11target_archE906ELNS1_3gpuE6ELNS1_3repE0EEENS1_30default_config_static_selectorELNS0_4arch9wavefront6targetE0EEEvT1_, .Lfunc_end7-_ZN7rocprim17ROCPRIM_400000_NS6detail17trampoline_kernelINS0_14default_configENS1_35adjacent_difference_config_selectorILb0EdEEZNS1_24adjacent_difference_implIS3_Lb0ELb0EPdS7_N6thrust23THRUST_200600_302600_NS5minusIdEEEE10hipError_tPvRmT2_T3_mT4_P12ihipStream_tbEUlT_E_NS1_11comp_targetILNS1_3genE2ELNS1_11target_archE906ELNS1_3gpuE6ELNS1_3repE0EEENS1_30default_config_static_selectorELNS0_4arch9wavefront6targetE0EEEvT1_
                                        ; -- End function
	.section	.AMDGPU.csdata,"",@progbits
; Kernel info:
; codeLenInByte = 0
; NumSgprs: 0
; NumVgprs: 0
; ScratchSize: 0
; MemoryBound: 0
; FloatMode: 240
; IeeeMode: 1
; LDSByteSize: 0 bytes/workgroup (compile time only)
; SGPRBlocks: 0
; VGPRBlocks: 0
; NumSGPRsForWavesPerEU: 1
; NumVGPRsForWavesPerEU: 1
; Occupancy: 16
; WaveLimiterHint : 0
; COMPUTE_PGM_RSRC2:SCRATCH_EN: 0
; COMPUTE_PGM_RSRC2:USER_SGPR: 15
; COMPUTE_PGM_RSRC2:TRAP_HANDLER: 0
; COMPUTE_PGM_RSRC2:TGID_X_EN: 1
; COMPUTE_PGM_RSRC2:TGID_Y_EN: 0
; COMPUTE_PGM_RSRC2:TGID_Z_EN: 0
; COMPUTE_PGM_RSRC2:TIDIG_COMP_CNT: 0
	.section	.text._ZN7rocprim17ROCPRIM_400000_NS6detail17trampoline_kernelINS0_14default_configENS1_35adjacent_difference_config_selectorILb0EdEEZNS1_24adjacent_difference_implIS3_Lb0ELb0EPdS7_N6thrust23THRUST_200600_302600_NS5minusIdEEEE10hipError_tPvRmT2_T3_mT4_P12ihipStream_tbEUlT_E_NS1_11comp_targetILNS1_3genE9ELNS1_11target_archE1100ELNS1_3gpuE3ELNS1_3repE0EEENS1_30default_config_static_selectorELNS0_4arch9wavefront6targetE0EEEvT1_,"axG",@progbits,_ZN7rocprim17ROCPRIM_400000_NS6detail17trampoline_kernelINS0_14default_configENS1_35adjacent_difference_config_selectorILb0EdEEZNS1_24adjacent_difference_implIS3_Lb0ELb0EPdS7_N6thrust23THRUST_200600_302600_NS5minusIdEEEE10hipError_tPvRmT2_T3_mT4_P12ihipStream_tbEUlT_E_NS1_11comp_targetILNS1_3genE9ELNS1_11target_archE1100ELNS1_3gpuE3ELNS1_3repE0EEENS1_30default_config_static_selectorELNS0_4arch9wavefront6targetE0EEEvT1_,comdat
	.protected	_ZN7rocprim17ROCPRIM_400000_NS6detail17trampoline_kernelINS0_14default_configENS1_35adjacent_difference_config_selectorILb0EdEEZNS1_24adjacent_difference_implIS3_Lb0ELb0EPdS7_N6thrust23THRUST_200600_302600_NS5minusIdEEEE10hipError_tPvRmT2_T3_mT4_P12ihipStream_tbEUlT_E_NS1_11comp_targetILNS1_3genE9ELNS1_11target_archE1100ELNS1_3gpuE3ELNS1_3repE0EEENS1_30default_config_static_selectorELNS0_4arch9wavefront6targetE0EEEvT1_ ; -- Begin function _ZN7rocprim17ROCPRIM_400000_NS6detail17trampoline_kernelINS0_14default_configENS1_35adjacent_difference_config_selectorILb0EdEEZNS1_24adjacent_difference_implIS3_Lb0ELb0EPdS7_N6thrust23THRUST_200600_302600_NS5minusIdEEEE10hipError_tPvRmT2_T3_mT4_P12ihipStream_tbEUlT_E_NS1_11comp_targetILNS1_3genE9ELNS1_11target_archE1100ELNS1_3gpuE3ELNS1_3repE0EEENS1_30default_config_static_selectorELNS0_4arch9wavefront6targetE0EEEvT1_
	.globl	_ZN7rocprim17ROCPRIM_400000_NS6detail17trampoline_kernelINS0_14default_configENS1_35adjacent_difference_config_selectorILb0EdEEZNS1_24adjacent_difference_implIS3_Lb0ELb0EPdS7_N6thrust23THRUST_200600_302600_NS5minusIdEEEE10hipError_tPvRmT2_T3_mT4_P12ihipStream_tbEUlT_E_NS1_11comp_targetILNS1_3genE9ELNS1_11target_archE1100ELNS1_3gpuE3ELNS1_3repE0EEENS1_30default_config_static_selectorELNS0_4arch9wavefront6targetE0EEEvT1_
	.p2align	8
	.type	_ZN7rocprim17ROCPRIM_400000_NS6detail17trampoline_kernelINS0_14default_configENS1_35adjacent_difference_config_selectorILb0EdEEZNS1_24adjacent_difference_implIS3_Lb0ELb0EPdS7_N6thrust23THRUST_200600_302600_NS5minusIdEEEE10hipError_tPvRmT2_T3_mT4_P12ihipStream_tbEUlT_E_NS1_11comp_targetILNS1_3genE9ELNS1_11target_archE1100ELNS1_3gpuE3ELNS1_3repE0EEENS1_30default_config_static_selectorELNS0_4arch9wavefront6targetE0EEEvT1_,@function
_ZN7rocprim17ROCPRIM_400000_NS6detail17trampoline_kernelINS0_14default_configENS1_35adjacent_difference_config_selectorILb0EdEEZNS1_24adjacent_difference_implIS3_Lb0ELb0EPdS7_N6thrust23THRUST_200600_302600_NS5minusIdEEEE10hipError_tPvRmT2_T3_mT4_P12ihipStream_tbEUlT_E_NS1_11comp_targetILNS1_3genE9ELNS1_11target_archE1100ELNS1_3gpuE3ELNS1_3repE0EEENS1_30default_config_static_selectorELNS0_4arch9wavefront6targetE0EEEvT1_: ; @_ZN7rocprim17ROCPRIM_400000_NS6detail17trampoline_kernelINS0_14default_configENS1_35adjacent_difference_config_selectorILb0EdEEZNS1_24adjacent_difference_implIS3_Lb0ELb0EPdS7_N6thrust23THRUST_200600_302600_NS5minusIdEEEE10hipError_tPvRmT2_T3_mT4_P12ihipStream_tbEUlT_E_NS1_11comp_targetILNS1_3genE9ELNS1_11target_archE1100ELNS1_3gpuE3ELNS1_3repE0EEENS1_30default_config_static_selectorELNS0_4arch9wavefront6targetE0EEEvT1_
; %bb.0:
	s_load_b256 s[4:11], s[0:1], 0x0
	s_mov_b32 s3, 0
	s_load_b64 s[0:1], s[0:1], 0x30
	s_mov_b32 s13, s3
	s_waitcnt lgkmcnt(0)
	s_lshl_b64 s[6:7], s[6:7], 3
	s_delay_alu instid0(SALU_CYCLE_1)
	s_add_u32 s16, s4, s6
	s_addc_u32 s17, s5, s7
	s_and_b32 s12, s10, 0x7ff
	s_lshl_b32 s2, s15, 11
	s_lshr_b64 s[4:5], s[10:11], 11
	s_cmp_lg_u64 s[12:13], 0
	s_cselect_b32 s11, -1, 0
	s_delay_alu instid0(SALU_CYCLE_1) | instskip(NEXT) | instid1(VALU_DEP_1)
	v_cndmask_b32_e64 v1, 0, 1, s11
	v_readfirstlane_b32 s11, v1
	s_delay_alu instid0(VALU_DEP_1)
	s_add_u32 s12, s4, s11
	s_addc_u32 s13, s5, 0
	s_add_u32 s0, s0, s15
	s_addc_u32 s1, s1, 0
	s_add_u32 s4, s12, -1
	s_addc_u32 s5, s13, -1
	s_delay_alu instid0(SALU_CYCLE_1) | instskip(NEXT) | instid1(VALU_DEP_1)
	v_cmp_ge_u64_e64 s11, s[0:1], s[4:5]
	s_and_b32 vcc_lo, exec_lo, s11
	s_cbranch_vccz .LBB8_6
; %bb.1:
	s_lshl_b32 s14, s4, 11
                                        ; implicit-def: $vgpr1_vgpr2_vgpr3_vgpr4
	s_delay_alu instid0(SALU_CYCLE_1)
	s_sub_i32 s18, s10, s14
	s_lshl_b64 s[14:15], s[2:3], 3
	s_mov_b32 s3, exec_lo
	s_add_u32 s14, s16, s14
	s_addc_u32 s15, s17, s15
	v_cmpx_gt_u32_e64 s18, v0
	s_cbranch_execz .LBB8_3
; %bb.2:
	v_lshlrev_b32_e32 v1, 3, v0
	global_load_b64 v[1:2], v1, s[14:15]
.LBB8_3:
	s_or_b32 exec_lo, exec_lo, s3
	v_or_b32_e32 v5, 0x400, v0
	s_mov_b32 s3, exec_lo
	s_delay_alu instid0(VALU_DEP_1)
	v_cmpx_gt_u32_e64 s18, v5
	s_cbranch_execz .LBB8_5
; %bb.4:
	v_lshlrev_b32_e32 v3, 3, v5
	global_load_b64 v[3:4], v3, s[14:15]
.LBB8_5:
	s_or_b32 exec_lo, exec_lo, s3
	v_lshrrev_b32_e32 v6, 2, v0
	v_lshrrev_b32_e32 v5, 2, v5
	v_lshlrev_b32_e32 v7, 3, v0
	s_delay_alu instid0(VALU_DEP_3) | instskip(NEXT) | instid1(VALU_DEP_3)
	v_and_b32_e32 v6, 0xf8, v6
	v_and_b32_e32 v5, 0x1f8, v5
	s_delay_alu instid0(VALU_DEP_2) | instskip(NEXT) | instid1(VALU_DEP_2)
	v_add_nc_u32_e32 v6, v6, v7
	v_add_nc_u32_e32 v5, v5, v7
	s_waitcnt vmcnt(0)
	ds_store_b64 v6, v[1:2]
	ds_store_b64 v5, v[3:4] offset:8192
	s_waitcnt lgkmcnt(0)
	s_barrier
	v_lshlrev_b32_e32 v11, 3, v0
	v_or_b32_e32 v12, 0x400, v0
	s_branch .LBB8_8
.LBB8_6:
	v_lshlrev_b32_e32 v11, 3, v0
	v_or_b32_e32 v12, 0x400, v0
	s_cbranch_execz .LBB8_8
; %bb.7:
	s_mov_b32 s3, 0
	v_lshrrev_b32_e32 v5, 2, v0
	s_lshl_b64 s[14:15], s[2:3], 3
	v_lshrrev_b32_e32 v6, 2, v12
	s_add_u32 s14, s16, s14
	s_addc_u32 s15, s17, s15
	v_add_co_u32 v1, s3, s14, v11
	s_delay_alu instid0(VALU_DEP_1) | instskip(SKIP_1) | instid1(VALU_DEP_3)
	v_add_co_ci_u32_e64 v2, null, s15, 0, s3
	v_and_b32_e32 v5, 0xf8, v5
	v_add_co_u32 v1, vcc_lo, 0x2000, v1
	s_delay_alu instid0(VALU_DEP_3) | instskip(SKIP_1) | instid1(VALU_DEP_4)
	v_add_co_ci_u32_e32 v2, vcc_lo, 0, v2, vcc_lo
	v_and_b32_e32 v6, 0x1f8, v6
	v_add_nc_u32_e32 v5, v5, v11
	s_clause 0x1
	global_load_b64 v[3:4], v11, s[14:15]
	global_load_b64 v[1:2], v[1:2], off
	v_add_nc_u32_e32 v6, v6, v11
	s_waitcnt vmcnt(1)
	ds_store_b64 v5, v[3:4]
	s_waitcnt vmcnt(0)
	ds_store_b64 v6, v[1:2] offset:8192
	s_waitcnt lgkmcnt(0)
	s_barrier
.LBB8_8:
	v_lshlrev_b32_e32 v1, 1, v0
	v_lshrrev_b32_e32 v2, 4, v0
	buffer_gl0_inv
	s_cmp_eq_u64 s[0:1], 0
	v_add_lshl_u32 v1, v2, v1, 3
	ds_load_2addr_b64 v[1:4], v1 offset1:1
	s_waitcnt lgkmcnt(0)
	s_barrier
	buffer_gl0_inv
	s_cbranch_scc1 .LBB8_13
; %bb.9:
	s_mov_b32 s3, 0
	s_delay_alu instid0(SALU_CYCLE_1) | instskip(NEXT) | instid1(SALU_CYCLE_1)
	s_lshl_b64 s[14:15], s[2:3], 3
	s_add_u32 s3, s16, s14
	s_addc_u32 s15, s17, s15
	s_add_u32 s14, s3, -8
	s_addc_u32 s15, s15, -1
	s_cmp_eq_u64 s[0:1], s[4:5]
	s_load_b64 s[14:15], s[14:15], 0x0
	s_cbranch_scc1 .LBB8_14
; %bb.10:
	s_waitcnt lgkmcnt(0)
	v_dual_mov_b32 v5, s14 :: v_dual_mov_b32 v6, s15
	s_mov_b32 s1, exec_lo
	ds_store_b64 v11, v[3:4]
	s_waitcnt lgkmcnt(0)
	s_barrier
	buffer_gl0_inv
	v_cmpx_ne_u32_e32 0, v0
	s_cbranch_execz .LBB8_12
; %bb.11:
	v_add_nc_u32_e32 v5, -8, v11
	ds_load_b64 v[5:6], v5
.LBB8_12:
	s_or_b32 exec_lo, exec_lo, s1
	v_add_f64 v[9:10], v[3:4], -v[1:2]
	s_waitcnt lgkmcnt(0)
	v_add_f64 v[5:6], v[1:2], -v[5:6]
	s_branch .LBB8_18
.LBB8_13:
                                        ; implicit-def: $vgpr9_vgpr10
                                        ; implicit-def: $vgpr5_vgpr6_vgpr7_vgpr8
	s_branch .LBB8_19
.LBB8_14:
                                        ; implicit-def: $vgpr9_vgpr10
                                        ; implicit-def: $vgpr5_vgpr6_vgpr7_vgpr8
	s_cbranch_execz .LBB8_18
; %bb.15:
	s_waitcnt lgkmcnt(0)
	v_dual_mov_b32 v5, s14 :: v_dual_mov_b32 v6, s15
	s_mov_b32 s1, exec_lo
	ds_store_b64 v11, v[3:4]
	s_waitcnt lgkmcnt(0)
	s_barrier
	buffer_gl0_inv
	v_cmpx_ne_u32_e32 0, v0
	s_cbranch_execz .LBB8_17
; %bb.16:
	v_add_nc_u32_e32 v5, -8, v11
	ds_load_b64 v[5:6], v5
.LBB8_17:
	s_or_b32 exec_lo, exec_lo, s1
	v_add_f64 v[7:8], v[3:4], -v[1:2]
	s_waitcnt lgkmcnt(0)
	v_add_f64 v[5:6], v[1:2], -v[5:6]
	v_lshlrev_b32_e32 v9, 1, v0
	s_lshl_b32 s0, s0, 11
	s_delay_alu instid0(SALU_CYCLE_1) | instskip(NEXT) | instid1(VALU_DEP_1)
	s_sub_i32 s0, s10, s0
	v_or_b32_e32 v10, 1, v9
	s_delay_alu instid0(VALU_DEP_1) | instskip(SKIP_2) | instid1(VALU_DEP_2)
	v_cmp_gt_u32_e32 vcc_lo, s0, v10
	v_cmp_gt_u32_e64 s0, s0, v9
	v_dual_cndmask_b32 v10, v4, v8 :: v_dual_cndmask_b32 v9, v3, v7
	v_cndmask_b32_e64 v6, v2, v6, s0
	v_cndmask_b32_e64 v5, v1, v5, s0
.LBB8_18:
	s_cbranch_execnz .LBB8_27
.LBB8_19:
	v_add_f64 v[9:10], v[3:4], -v[1:2]
	v_cmp_ne_u32_e32 vcc_lo, 0, v0
	s_cmp_eq_u64 s[12:13], 1
	s_cbranch_scc1 .LBB8_23
; %bb.20:
	v_dual_mov_b32 v6, v2 :: v_dual_mov_b32 v5, v1
	s_mov_b32 s0, 0
	ds_store_b64 v11, v[3:4]
	s_waitcnt lgkmcnt(0)
	s_barrier
	buffer_gl0_inv
	s_and_saveexec_b32 s1, vcc_lo
	s_cbranch_execz .LBB8_22
; %bb.21:
	v_add_nc_u32_e32 v5, -8, v11
	ds_load_b64 v[5:6], v5
	s_waitcnt lgkmcnt(0)
	v_add_f64 v[5:6], v[1:2], -v[5:6]
.LBB8_22:
	s_or_b32 exec_lo, exec_lo, s1
	s_delay_alu instid0(SALU_CYCLE_1)
	s_and_not1_b32 vcc_lo, exec_lo, s0
	s_cbranch_vccz .LBB8_24
	s_branch .LBB8_27
.LBB8_23:
                                        ; implicit-def: $vgpr5_vgpr6_vgpr7_vgpr8
.LBB8_24:
	v_lshlrev_b32_e32 v5, 1, v0
	v_cmp_ne_u32_e64 s0, 0, v0
	ds_store_b64 v11, v[3:4]
	s_waitcnt lgkmcnt(0)
	s_barrier
	v_or_b32_e32 v6, 1, v5
	buffer_gl0_inv
	v_cmp_gt_u32_e32 vcc_lo, s10, v6
	v_cndmask_b32_e32 v10, v4, v10, vcc_lo
	v_cmp_gt_u32_e64 s1, s10, v5
	v_cndmask_b32_e32 v9, v3, v9, vcc_lo
	s_delay_alu instid0(VALU_DEP_2) | instskip(NEXT) | instid1(SALU_CYCLE_1)
	s_and_b32 s1, s0, s1
	s_and_saveexec_b32 s0, s1
	s_cbranch_execz .LBB8_26
; %bb.25:
	v_add_nc_u32_e32 v3, -8, v11
	ds_load_b64 v[3:4], v3
	s_waitcnt lgkmcnt(0)
	v_add_f64 v[1:2], v[1:2], -v[3:4]
.LBB8_26:
	s_or_b32 exec_lo, exec_lo, s0
	s_delay_alu instid0(VALU_DEP_1)
	v_dual_mov_b32 v6, v2 :: v_dual_mov_b32 v5, v1
.LBB8_27:
	v_lshrrev_b32_e32 v7, 1, v0
	s_add_u32 s0, s8, s6
	s_addc_u32 s1, s9, s7
	s_and_b32 vcc_lo, exec_lo, s11
	s_waitcnt lgkmcnt(0)
	s_barrier
	buffer_gl0_inv
	s_cbranch_vccz .LBB8_31
; %bb.28:
	v_and_b32_e32 v1, 0x1f8, v7
	v_lshrrev_b32_e32 v2, 5, v12
	s_mov_b32 s3, 0
	s_lshl_b32 s4, s4, 11
	s_lshl_b64 s[6:7], s[2:3], 3
	v_lshl_add_u32 v1, v0, 4, v1
	v_add_lshl_u32 v2, v2, v0, 3
	s_sub_i32 s4, s10, s4
	s_add_u32 s5, s0, s6
	s_addc_u32 s6, s1, s7
	ds_store_2addr_b64 v1, v[5:6], v[9:10] offset1:1
	s_waitcnt lgkmcnt(0)
	s_barrier
	buffer_gl0_inv
	ds_load_b64 v[1:2], v2 offset:8192
	v_add_co_u32 v3, s5, s5, v11
	s_delay_alu instid0(VALU_DEP_1)
	v_add_co_ci_u32_e64 v4, null, s6, 0, s5
	s_mov_b32 s5, exec_lo
	v_cmpx_gt_u32_e64 s4, v0
	s_cbranch_execz .LBB8_30
; %bb.29:
	v_lshrrev_b32_e32 v8, 5, v0
	s_delay_alu instid0(VALU_DEP_1)
	v_add_lshl_u32 v8, v8, v0, 3
	ds_load_b64 v[13:14], v8
	s_waitcnt lgkmcnt(0)
	global_store_b64 v[3:4], v[13:14], off
.LBB8_30:
	s_or_b32 exec_lo, exec_lo, s5
	v_cmp_gt_u32_e64 s4, s4, v12
	s_and_b32 vcc_lo, exec_lo, s3
	s_cbranch_vccnz .LBB8_32
	s_branch .LBB8_33
.LBB8_31:
	s_mov_b32 s4, 0
                                        ; implicit-def: $vgpr1_vgpr2
                                        ; implicit-def: $vgpr3_vgpr4
	s_cbranch_execz .LBB8_33
.LBB8_32:
	s_waitcnt lgkmcnt(0)
	v_and_b32_e32 v1, 0x1f8, v7
	v_lshrrev_b32_e32 v2, 5, v0
	v_lshrrev_b32_e32 v3, 5, v12
	s_mov_b32 s3, 0
	s_delay_alu instid0(SALU_CYCLE_1)
	s_lshl_b64 s[2:3], s[2:3], 3
	v_lshl_add_u32 v1, v0, 4, v1
	v_add_lshl_u32 v2, v2, v0, 3
	v_add_lshl_u32 v0, v3, v0, 3
	s_add_u32 s0, s0, s2
	s_addc_u32 s1, s1, s3
	ds_store_2addr_b64 v1, v[5:6], v[9:10] offset1:1
	s_waitcnt lgkmcnt(0)
	s_waitcnt_vscnt null, 0x0
	s_barrier
	buffer_gl0_inv
	ds_load_b64 v[5:6], v2
	ds_load_b64 v[1:2], v0 offset:8192
	v_add_co_u32 v3, s2, s0, v11
	s_delay_alu instid0(VALU_DEP_1)
	v_add_co_ci_u32_e64 v4, null, s1, 0, s2
	s_or_b32 s4, s4, exec_lo
	s_waitcnt lgkmcnt(1)
	global_store_b64 v11, v[5:6], s[0:1]
.LBB8_33:
	s_delay_alu instid0(VALU_DEP_1)
	s_and_saveexec_b32 s0, s4
	s_cbranch_execnz .LBB8_35
; %bb.34:
	s_nop 0
	s_sendmsg sendmsg(MSG_DEALLOC_VGPRS)
	s_endpgm
.LBB8_35:
	v_add_co_u32 v3, vcc_lo, 0x2000, v3
	v_add_co_ci_u32_e32 v4, vcc_lo, 0, v4, vcc_lo
	s_waitcnt lgkmcnt(0)
	global_store_b64 v[3:4], v[1:2], off
	s_nop 0
	s_sendmsg sendmsg(MSG_DEALLOC_VGPRS)
	s_endpgm
	.section	.rodata,"a",@progbits
	.p2align	6, 0x0
	.amdhsa_kernel _ZN7rocprim17ROCPRIM_400000_NS6detail17trampoline_kernelINS0_14default_configENS1_35adjacent_difference_config_selectorILb0EdEEZNS1_24adjacent_difference_implIS3_Lb0ELb0EPdS7_N6thrust23THRUST_200600_302600_NS5minusIdEEEE10hipError_tPvRmT2_T3_mT4_P12ihipStream_tbEUlT_E_NS1_11comp_targetILNS1_3genE9ELNS1_11target_archE1100ELNS1_3gpuE3ELNS1_3repE0EEENS1_30default_config_static_selectorELNS0_4arch9wavefront6targetE0EEEvT1_
		.amdhsa_group_segment_fixed_size 16896
		.amdhsa_private_segment_fixed_size 0
		.amdhsa_kernarg_size 56
		.amdhsa_user_sgpr_count 15
		.amdhsa_user_sgpr_dispatch_ptr 0
		.amdhsa_user_sgpr_queue_ptr 0
		.amdhsa_user_sgpr_kernarg_segment_ptr 1
		.amdhsa_user_sgpr_dispatch_id 0
		.amdhsa_user_sgpr_private_segment_size 0
		.amdhsa_wavefront_size32 1
		.amdhsa_uses_dynamic_stack 0
		.amdhsa_enable_private_segment 0
		.amdhsa_system_sgpr_workgroup_id_x 1
		.amdhsa_system_sgpr_workgroup_id_y 0
		.amdhsa_system_sgpr_workgroup_id_z 0
		.amdhsa_system_sgpr_workgroup_info 0
		.amdhsa_system_vgpr_workitem_id 0
		.amdhsa_next_free_vgpr 15
		.amdhsa_next_free_sgpr 19
		.amdhsa_reserve_vcc 1
		.amdhsa_float_round_mode_32 0
		.amdhsa_float_round_mode_16_64 0
		.amdhsa_float_denorm_mode_32 3
		.amdhsa_float_denorm_mode_16_64 3
		.amdhsa_dx10_clamp 1
		.amdhsa_ieee_mode 1
		.amdhsa_fp16_overflow 0
		.amdhsa_workgroup_processor_mode 1
		.amdhsa_memory_ordered 1
		.amdhsa_forward_progress 0
		.amdhsa_shared_vgpr_count 0
		.amdhsa_exception_fp_ieee_invalid_op 0
		.amdhsa_exception_fp_denorm_src 0
		.amdhsa_exception_fp_ieee_div_zero 0
		.amdhsa_exception_fp_ieee_overflow 0
		.amdhsa_exception_fp_ieee_underflow 0
		.amdhsa_exception_fp_ieee_inexact 0
		.amdhsa_exception_int_div_zero 0
	.end_amdhsa_kernel
	.section	.text._ZN7rocprim17ROCPRIM_400000_NS6detail17trampoline_kernelINS0_14default_configENS1_35adjacent_difference_config_selectorILb0EdEEZNS1_24adjacent_difference_implIS3_Lb0ELb0EPdS7_N6thrust23THRUST_200600_302600_NS5minusIdEEEE10hipError_tPvRmT2_T3_mT4_P12ihipStream_tbEUlT_E_NS1_11comp_targetILNS1_3genE9ELNS1_11target_archE1100ELNS1_3gpuE3ELNS1_3repE0EEENS1_30default_config_static_selectorELNS0_4arch9wavefront6targetE0EEEvT1_,"axG",@progbits,_ZN7rocprim17ROCPRIM_400000_NS6detail17trampoline_kernelINS0_14default_configENS1_35adjacent_difference_config_selectorILb0EdEEZNS1_24adjacent_difference_implIS3_Lb0ELb0EPdS7_N6thrust23THRUST_200600_302600_NS5minusIdEEEE10hipError_tPvRmT2_T3_mT4_P12ihipStream_tbEUlT_E_NS1_11comp_targetILNS1_3genE9ELNS1_11target_archE1100ELNS1_3gpuE3ELNS1_3repE0EEENS1_30default_config_static_selectorELNS0_4arch9wavefront6targetE0EEEvT1_,comdat
.Lfunc_end8:
	.size	_ZN7rocprim17ROCPRIM_400000_NS6detail17trampoline_kernelINS0_14default_configENS1_35adjacent_difference_config_selectorILb0EdEEZNS1_24adjacent_difference_implIS3_Lb0ELb0EPdS7_N6thrust23THRUST_200600_302600_NS5minusIdEEEE10hipError_tPvRmT2_T3_mT4_P12ihipStream_tbEUlT_E_NS1_11comp_targetILNS1_3genE9ELNS1_11target_archE1100ELNS1_3gpuE3ELNS1_3repE0EEENS1_30default_config_static_selectorELNS0_4arch9wavefront6targetE0EEEvT1_, .Lfunc_end8-_ZN7rocprim17ROCPRIM_400000_NS6detail17trampoline_kernelINS0_14default_configENS1_35adjacent_difference_config_selectorILb0EdEEZNS1_24adjacent_difference_implIS3_Lb0ELb0EPdS7_N6thrust23THRUST_200600_302600_NS5minusIdEEEE10hipError_tPvRmT2_T3_mT4_P12ihipStream_tbEUlT_E_NS1_11comp_targetILNS1_3genE9ELNS1_11target_archE1100ELNS1_3gpuE3ELNS1_3repE0EEENS1_30default_config_static_selectorELNS0_4arch9wavefront6targetE0EEEvT1_
                                        ; -- End function
	.section	.AMDGPU.csdata,"",@progbits
; Kernel info:
; codeLenInByte = 1476
; NumSgprs: 21
; NumVgprs: 15
; ScratchSize: 0
; MemoryBound: 0
; FloatMode: 240
; IeeeMode: 1
; LDSByteSize: 16896 bytes/workgroup (compile time only)
; SGPRBlocks: 2
; VGPRBlocks: 1
; NumSGPRsForWavesPerEU: 21
; NumVGPRsForWavesPerEU: 15
; Occupancy: 16
; WaveLimiterHint : 1
; COMPUTE_PGM_RSRC2:SCRATCH_EN: 0
; COMPUTE_PGM_RSRC2:USER_SGPR: 15
; COMPUTE_PGM_RSRC2:TRAP_HANDLER: 0
; COMPUTE_PGM_RSRC2:TGID_X_EN: 1
; COMPUTE_PGM_RSRC2:TGID_Y_EN: 0
; COMPUTE_PGM_RSRC2:TGID_Z_EN: 0
; COMPUTE_PGM_RSRC2:TIDIG_COMP_CNT: 0
	.section	.text._ZN7rocprim17ROCPRIM_400000_NS6detail17trampoline_kernelINS0_14default_configENS1_35adjacent_difference_config_selectorILb0EdEEZNS1_24adjacent_difference_implIS3_Lb0ELb0EPdS7_N6thrust23THRUST_200600_302600_NS5minusIdEEEE10hipError_tPvRmT2_T3_mT4_P12ihipStream_tbEUlT_E_NS1_11comp_targetILNS1_3genE8ELNS1_11target_archE1030ELNS1_3gpuE2ELNS1_3repE0EEENS1_30default_config_static_selectorELNS0_4arch9wavefront6targetE0EEEvT1_,"axG",@progbits,_ZN7rocprim17ROCPRIM_400000_NS6detail17trampoline_kernelINS0_14default_configENS1_35adjacent_difference_config_selectorILb0EdEEZNS1_24adjacent_difference_implIS3_Lb0ELb0EPdS7_N6thrust23THRUST_200600_302600_NS5minusIdEEEE10hipError_tPvRmT2_T3_mT4_P12ihipStream_tbEUlT_E_NS1_11comp_targetILNS1_3genE8ELNS1_11target_archE1030ELNS1_3gpuE2ELNS1_3repE0EEENS1_30default_config_static_selectorELNS0_4arch9wavefront6targetE0EEEvT1_,comdat
	.protected	_ZN7rocprim17ROCPRIM_400000_NS6detail17trampoline_kernelINS0_14default_configENS1_35adjacent_difference_config_selectorILb0EdEEZNS1_24adjacent_difference_implIS3_Lb0ELb0EPdS7_N6thrust23THRUST_200600_302600_NS5minusIdEEEE10hipError_tPvRmT2_T3_mT4_P12ihipStream_tbEUlT_E_NS1_11comp_targetILNS1_3genE8ELNS1_11target_archE1030ELNS1_3gpuE2ELNS1_3repE0EEENS1_30default_config_static_selectorELNS0_4arch9wavefront6targetE0EEEvT1_ ; -- Begin function _ZN7rocprim17ROCPRIM_400000_NS6detail17trampoline_kernelINS0_14default_configENS1_35adjacent_difference_config_selectorILb0EdEEZNS1_24adjacent_difference_implIS3_Lb0ELb0EPdS7_N6thrust23THRUST_200600_302600_NS5minusIdEEEE10hipError_tPvRmT2_T3_mT4_P12ihipStream_tbEUlT_E_NS1_11comp_targetILNS1_3genE8ELNS1_11target_archE1030ELNS1_3gpuE2ELNS1_3repE0EEENS1_30default_config_static_selectorELNS0_4arch9wavefront6targetE0EEEvT1_
	.globl	_ZN7rocprim17ROCPRIM_400000_NS6detail17trampoline_kernelINS0_14default_configENS1_35adjacent_difference_config_selectorILb0EdEEZNS1_24adjacent_difference_implIS3_Lb0ELb0EPdS7_N6thrust23THRUST_200600_302600_NS5minusIdEEEE10hipError_tPvRmT2_T3_mT4_P12ihipStream_tbEUlT_E_NS1_11comp_targetILNS1_3genE8ELNS1_11target_archE1030ELNS1_3gpuE2ELNS1_3repE0EEENS1_30default_config_static_selectorELNS0_4arch9wavefront6targetE0EEEvT1_
	.p2align	8
	.type	_ZN7rocprim17ROCPRIM_400000_NS6detail17trampoline_kernelINS0_14default_configENS1_35adjacent_difference_config_selectorILb0EdEEZNS1_24adjacent_difference_implIS3_Lb0ELb0EPdS7_N6thrust23THRUST_200600_302600_NS5minusIdEEEE10hipError_tPvRmT2_T3_mT4_P12ihipStream_tbEUlT_E_NS1_11comp_targetILNS1_3genE8ELNS1_11target_archE1030ELNS1_3gpuE2ELNS1_3repE0EEENS1_30default_config_static_selectorELNS0_4arch9wavefront6targetE0EEEvT1_,@function
_ZN7rocprim17ROCPRIM_400000_NS6detail17trampoline_kernelINS0_14default_configENS1_35adjacent_difference_config_selectorILb0EdEEZNS1_24adjacent_difference_implIS3_Lb0ELb0EPdS7_N6thrust23THRUST_200600_302600_NS5minusIdEEEE10hipError_tPvRmT2_T3_mT4_P12ihipStream_tbEUlT_E_NS1_11comp_targetILNS1_3genE8ELNS1_11target_archE1030ELNS1_3gpuE2ELNS1_3repE0EEENS1_30default_config_static_selectorELNS0_4arch9wavefront6targetE0EEEvT1_: ; @_ZN7rocprim17ROCPRIM_400000_NS6detail17trampoline_kernelINS0_14default_configENS1_35adjacent_difference_config_selectorILb0EdEEZNS1_24adjacent_difference_implIS3_Lb0ELb0EPdS7_N6thrust23THRUST_200600_302600_NS5minusIdEEEE10hipError_tPvRmT2_T3_mT4_P12ihipStream_tbEUlT_E_NS1_11comp_targetILNS1_3genE8ELNS1_11target_archE1030ELNS1_3gpuE2ELNS1_3repE0EEENS1_30default_config_static_selectorELNS0_4arch9wavefront6targetE0EEEvT1_
; %bb.0:
	.section	.rodata,"a",@progbits
	.p2align	6, 0x0
	.amdhsa_kernel _ZN7rocprim17ROCPRIM_400000_NS6detail17trampoline_kernelINS0_14default_configENS1_35adjacent_difference_config_selectorILb0EdEEZNS1_24adjacent_difference_implIS3_Lb0ELb0EPdS7_N6thrust23THRUST_200600_302600_NS5minusIdEEEE10hipError_tPvRmT2_T3_mT4_P12ihipStream_tbEUlT_E_NS1_11comp_targetILNS1_3genE8ELNS1_11target_archE1030ELNS1_3gpuE2ELNS1_3repE0EEENS1_30default_config_static_selectorELNS0_4arch9wavefront6targetE0EEEvT1_
		.amdhsa_group_segment_fixed_size 0
		.amdhsa_private_segment_fixed_size 0
		.amdhsa_kernarg_size 56
		.amdhsa_user_sgpr_count 15
		.amdhsa_user_sgpr_dispatch_ptr 0
		.amdhsa_user_sgpr_queue_ptr 0
		.amdhsa_user_sgpr_kernarg_segment_ptr 1
		.amdhsa_user_sgpr_dispatch_id 0
		.amdhsa_user_sgpr_private_segment_size 0
		.amdhsa_wavefront_size32 1
		.amdhsa_uses_dynamic_stack 0
		.amdhsa_enable_private_segment 0
		.amdhsa_system_sgpr_workgroup_id_x 1
		.amdhsa_system_sgpr_workgroup_id_y 0
		.amdhsa_system_sgpr_workgroup_id_z 0
		.amdhsa_system_sgpr_workgroup_info 0
		.amdhsa_system_vgpr_workitem_id 0
		.amdhsa_next_free_vgpr 1
		.amdhsa_next_free_sgpr 1
		.amdhsa_reserve_vcc 0
		.amdhsa_float_round_mode_32 0
		.amdhsa_float_round_mode_16_64 0
		.amdhsa_float_denorm_mode_32 3
		.amdhsa_float_denorm_mode_16_64 3
		.amdhsa_dx10_clamp 1
		.amdhsa_ieee_mode 1
		.amdhsa_fp16_overflow 0
		.amdhsa_workgroup_processor_mode 1
		.amdhsa_memory_ordered 1
		.amdhsa_forward_progress 0
		.amdhsa_shared_vgpr_count 0
		.amdhsa_exception_fp_ieee_invalid_op 0
		.amdhsa_exception_fp_denorm_src 0
		.amdhsa_exception_fp_ieee_div_zero 0
		.amdhsa_exception_fp_ieee_overflow 0
		.amdhsa_exception_fp_ieee_underflow 0
		.amdhsa_exception_fp_ieee_inexact 0
		.amdhsa_exception_int_div_zero 0
	.end_amdhsa_kernel
	.section	.text._ZN7rocprim17ROCPRIM_400000_NS6detail17trampoline_kernelINS0_14default_configENS1_35adjacent_difference_config_selectorILb0EdEEZNS1_24adjacent_difference_implIS3_Lb0ELb0EPdS7_N6thrust23THRUST_200600_302600_NS5minusIdEEEE10hipError_tPvRmT2_T3_mT4_P12ihipStream_tbEUlT_E_NS1_11comp_targetILNS1_3genE8ELNS1_11target_archE1030ELNS1_3gpuE2ELNS1_3repE0EEENS1_30default_config_static_selectorELNS0_4arch9wavefront6targetE0EEEvT1_,"axG",@progbits,_ZN7rocprim17ROCPRIM_400000_NS6detail17trampoline_kernelINS0_14default_configENS1_35adjacent_difference_config_selectorILb0EdEEZNS1_24adjacent_difference_implIS3_Lb0ELb0EPdS7_N6thrust23THRUST_200600_302600_NS5minusIdEEEE10hipError_tPvRmT2_T3_mT4_P12ihipStream_tbEUlT_E_NS1_11comp_targetILNS1_3genE8ELNS1_11target_archE1030ELNS1_3gpuE2ELNS1_3repE0EEENS1_30default_config_static_selectorELNS0_4arch9wavefront6targetE0EEEvT1_,comdat
.Lfunc_end9:
	.size	_ZN7rocprim17ROCPRIM_400000_NS6detail17trampoline_kernelINS0_14default_configENS1_35adjacent_difference_config_selectorILb0EdEEZNS1_24adjacent_difference_implIS3_Lb0ELb0EPdS7_N6thrust23THRUST_200600_302600_NS5minusIdEEEE10hipError_tPvRmT2_T3_mT4_P12ihipStream_tbEUlT_E_NS1_11comp_targetILNS1_3genE8ELNS1_11target_archE1030ELNS1_3gpuE2ELNS1_3repE0EEENS1_30default_config_static_selectorELNS0_4arch9wavefront6targetE0EEEvT1_, .Lfunc_end9-_ZN7rocprim17ROCPRIM_400000_NS6detail17trampoline_kernelINS0_14default_configENS1_35adjacent_difference_config_selectorILb0EdEEZNS1_24adjacent_difference_implIS3_Lb0ELb0EPdS7_N6thrust23THRUST_200600_302600_NS5minusIdEEEE10hipError_tPvRmT2_T3_mT4_P12ihipStream_tbEUlT_E_NS1_11comp_targetILNS1_3genE8ELNS1_11target_archE1030ELNS1_3gpuE2ELNS1_3repE0EEENS1_30default_config_static_selectorELNS0_4arch9wavefront6targetE0EEEvT1_
                                        ; -- End function
	.section	.AMDGPU.csdata,"",@progbits
; Kernel info:
; codeLenInByte = 0
; NumSgprs: 0
; NumVgprs: 0
; ScratchSize: 0
; MemoryBound: 0
; FloatMode: 240
; IeeeMode: 1
; LDSByteSize: 0 bytes/workgroup (compile time only)
; SGPRBlocks: 0
; VGPRBlocks: 0
; NumSGPRsForWavesPerEU: 1
; NumVGPRsForWavesPerEU: 1
; Occupancy: 16
; WaveLimiterHint : 0
; COMPUTE_PGM_RSRC2:SCRATCH_EN: 0
; COMPUTE_PGM_RSRC2:USER_SGPR: 15
; COMPUTE_PGM_RSRC2:TRAP_HANDLER: 0
; COMPUTE_PGM_RSRC2:TGID_X_EN: 1
; COMPUTE_PGM_RSRC2:TGID_Y_EN: 0
; COMPUTE_PGM_RSRC2:TGID_Z_EN: 0
; COMPUTE_PGM_RSRC2:TIDIG_COMP_CNT: 0
	.section	.text._ZN7rocprim17ROCPRIM_400000_NS6detail17trampoline_kernelINS0_14default_configENS1_25transform_config_selectorIdLb0EEEZNS1_14transform_implILb0ES3_S5_NS0_18transform_iteratorINS0_17counting_iteratorImlEEZNS1_24adjacent_difference_implIS3_Lb1ELb0EPdSB_N6thrust23THRUST_200600_302600_NS5minusIdEEEE10hipError_tPvRmT2_T3_mT4_P12ihipStream_tbEUlmE_dEESB_NS0_8identityIvEEEESG_SJ_SK_mSL_SN_bEUlT_E_NS1_11comp_targetILNS1_3genE0ELNS1_11target_archE4294967295ELNS1_3gpuE0ELNS1_3repE0EEENS1_30default_config_static_selectorELNS0_4arch9wavefront6targetE0EEEvT1_,"axG",@progbits,_ZN7rocprim17ROCPRIM_400000_NS6detail17trampoline_kernelINS0_14default_configENS1_25transform_config_selectorIdLb0EEEZNS1_14transform_implILb0ES3_S5_NS0_18transform_iteratorINS0_17counting_iteratorImlEEZNS1_24adjacent_difference_implIS3_Lb1ELb0EPdSB_N6thrust23THRUST_200600_302600_NS5minusIdEEEE10hipError_tPvRmT2_T3_mT4_P12ihipStream_tbEUlmE_dEESB_NS0_8identityIvEEEESG_SJ_SK_mSL_SN_bEUlT_E_NS1_11comp_targetILNS1_3genE0ELNS1_11target_archE4294967295ELNS1_3gpuE0ELNS1_3repE0EEENS1_30default_config_static_selectorELNS0_4arch9wavefront6targetE0EEEvT1_,comdat
	.protected	_ZN7rocprim17ROCPRIM_400000_NS6detail17trampoline_kernelINS0_14default_configENS1_25transform_config_selectorIdLb0EEEZNS1_14transform_implILb0ES3_S5_NS0_18transform_iteratorINS0_17counting_iteratorImlEEZNS1_24adjacent_difference_implIS3_Lb1ELb0EPdSB_N6thrust23THRUST_200600_302600_NS5minusIdEEEE10hipError_tPvRmT2_T3_mT4_P12ihipStream_tbEUlmE_dEESB_NS0_8identityIvEEEESG_SJ_SK_mSL_SN_bEUlT_E_NS1_11comp_targetILNS1_3genE0ELNS1_11target_archE4294967295ELNS1_3gpuE0ELNS1_3repE0EEENS1_30default_config_static_selectorELNS0_4arch9wavefront6targetE0EEEvT1_ ; -- Begin function _ZN7rocprim17ROCPRIM_400000_NS6detail17trampoline_kernelINS0_14default_configENS1_25transform_config_selectorIdLb0EEEZNS1_14transform_implILb0ES3_S5_NS0_18transform_iteratorINS0_17counting_iteratorImlEEZNS1_24adjacent_difference_implIS3_Lb1ELb0EPdSB_N6thrust23THRUST_200600_302600_NS5minusIdEEEE10hipError_tPvRmT2_T3_mT4_P12ihipStream_tbEUlmE_dEESB_NS0_8identityIvEEEESG_SJ_SK_mSL_SN_bEUlT_E_NS1_11comp_targetILNS1_3genE0ELNS1_11target_archE4294967295ELNS1_3gpuE0ELNS1_3repE0EEENS1_30default_config_static_selectorELNS0_4arch9wavefront6targetE0EEEvT1_
	.globl	_ZN7rocprim17ROCPRIM_400000_NS6detail17trampoline_kernelINS0_14default_configENS1_25transform_config_selectorIdLb0EEEZNS1_14transform_implILb0ES3_S5_NS0_18transform_iteratorINS0_17counting_iteratorImlEEZNS1_24adjacent_difference_implIS3_Lb1ELb0EPdSB_N6thrust23THRUST_200600_302600_NS5minusIdEEEE10hipError_tPvRmT2_T3_mT4_P12ihipStream_tbEUlmE_dEESB_NS0_8identityIvEEEESG_SJ_SK_mSL_SN_bEUlT_E_NS1_11comp_targetILNS1_3genE0ELNS1_11target_archE4294967295ELNS1_3gpuE0ELNS1_3repE0EEENS1_30default_config_static_selectorELNS0_4arch9wavefront6targetE0EEEvT1_
	.p2align	8
	.type	_ZN7rocprim17ROCPRIM_400000_NS6detail17trampoline_kernelINS0_14default_configENS1_25transform_config_selectorIdLb0EEEZNS1_14transform_implILb0ES3_S5_NS0_18transform_iteratorINS0_17counting_iteratorImlEEZNS1_24adjacent_difference_implIS3_Lb1ELb0EPdSB_N6thrust23THRUST_200600_302600_NS5minusIdEEEE10hipError_tPvRmT2_T3_mT4_P12ihipStream_tbEUlmE_dEESB_NS0_8identityIvEEEESG_SJ_SK_mSL_SN_bEUlT_E_NS1_11comp_targetILNS1_3genE0ELNS1_11target_archE4294967295ELNS1_3gpuE0ELNS1_3repE0EEENS1_30default_config_static_selectorELNS0_4arch9wavefront6targetE0EEEvT1_,@function
_ZN7rocprim17ROCPRIM_400000_NS6detail17trampoline_kernelINS0_14default_configENS1_25transform_config_selectorIdLb0EEEZNS1_14transform_implILb0ES3_S5_NS0_18transform_iteratorINS0_17counting_iteratorImlEEZNS1_24adjacent_difference_implIS3_Lb1ELb0EPdSB_N6thrust23THRUST_200600_302600_NS5minusIdEEEE10hipError_tPvRmT2_T3_mT4_P12ihipStream_tbEUlmE_dEESB_NS0_8identityIvEEEESG_SJ_SK_mSL_SN_bEUlT_E_NS1_11comp_targetILNS1_3genE0ELNS1_11target_archE4294967295ELNS1_3gpuE0ELNS1_3repE0EEENS1_30default_config_static_selectorELNS0_4arch9wavefront6targetE0EEEvT1_: ; @_ZN7rocprim17ROCPRIM_400000_NS6detail17trampoline_kernelINS0_14default_configENS1_25transform_config_selectorIdLb0EEEZNS1_14transform_implILb0ES3_S5_NS0_18transform_iteratorINS0_17counting_iteratorImlEEZNS1_24adjacent_difference_implIS3_Lb1ELb0EPdSB_N6thrust23THRUST_200600_302600_NS5minusIdEEEE10hipError_tPvRmT2_T3_mT4_P12ihipStream_tbEUlmE_dEESB_NS0_8identityIvEEEESG_SJ_SK_mSL_SN_bEUlT_E_NS1_11comp_targetILNS1_3genE0ELNS1_11target_archE4294967295ELNS1_3gpuE0ELNS1_3repE0EEENS1_30default_config_static_selectorELNS0_4arch9wavefront6targetE0EEEvT1_
; %bb.0:
	.section	.rodata,"a",@progbits
	.p2align	6, 0x0
	.amdhsa_kernel _ZN7rocprim17ROCPRIM_400000_NS6detail17trampoline_kernelINS0_14default_configENS1_25transform_config_selectorIdLb0EEEZNS1_14transform_implILb0ES3_S5_NS0_18transform_iteratorINS0_17counting_iteratorImlEEZNS1_24adjacent_difference_implIS3_Lb1ELb0EPdSB_N6thrust23THRUST_200600_302600_NS5minusIdEEEE10hipError_tPvRmT2_T3_mT4_P12ihipStream_tbEUlmE_dEESB_NS0_8identityIvEEEESG_SJ_SK_mSL_SN_bEUlT_E_NS1_11comp_targetILNS1_3genE0ELNS1_11target_archE4294967295ELNS1_3gpuE0ELNS1_3repE0EEENS1_30default_config_static_selectorELNS0_4arch9wavefront6targetE0EEEvT1_
		.amdhsa_group_segment_fixed_size 0
		.amdhsa_private_segment_fixed_size 0
		.amdhsa_kernarg_size 56
		.amdhsa_user_sgpr_count 15
		.amdhsa_user_sgpr_dispatch_ptr 0
		.amdhsa_user_sgpr_queue_ptr 0
		.amdhsa_user_sgpr_kernarg_segment_ptr 1
		.amdhsa_user_sgpr_dispatch_id 0
		.amdhsa_user_sgpr_private_segment_size 0
		.amdhsa_wavefront_size32 1
		.amdhsa_uses_dynamic_stack 0
		.amdhsa_enable_private_segment 0
		.amdhsa_system_sgpr_workgroup_id_x 1
		.amdhsa_system_sgpr_workgroup_id_y 0
		.amdhsa_system_sgpr_workgroup_id_z 0
		.amdhsa_system_sgpr_workgroup_info 0
		.amdhsa_system_vgpr_workitem_id 0
		.amdhsa_next_free_vgpr 1
		.amdhsa_next_free_sgpr 1
		.amdhsa_reserve_vcc 0
		.amdhsa_float_round_mode_32 0
		.amdhsa_float_round_mode_16_64 0
		.amdhsa_float_denorm_mode_32 3
		.amdhsa_float_denorm_mode_16_64 3
		.amdhsa_dx10_clamp 1
		.amdhsa_ieee_mode 1
		.amdhsa_fp16_overflow 0
		.amdhsa_workgroup_processor_mode 1
		.amdhsa_memory_ordered 1
		.amdhsa_forward_progress 0
		.amdhsa_shared_vgpr_count 0
		.amdhsa_exception_fp_ieee_invalid_op 0
		.amdhsa_exception_fp_denorm_src 0
		.amdhsa_exception_fp_ieee_div_zero 0
		.amdhsa_exception_fp_ieee_overflow 0
		.amdhsa_exception_fp_ieee_underflow 0
		.amdhsa_exception_fp_ieee_inexact 0
		.amdhsa_exception_int_div_zero 0
	.end_amdhsa_kernel
	.section	.text._ZN7rocprim17ROCPRIM_400000_NS6detail17trampoline_kernelINS0_14default_configENS1_25transform_config_selectorIdLb0EEEZNS1_14transform_implILb0ES3_S5_NS0_18transform_iteratorINS0_17counting_iteratorImlEEZNS1_24adjacent_difference_implIS3_Lb1ELb0EPdSB_N6thrust23THRUST_200600_302600_NS5minusIdEEEE10hipError_tPvRmT2_T3_mT4_P12ihipStream_tbEUlmE_dEESB_NS0_8identityIvEEEESG_SJ_SK_mSL_SN_bEUlT_E_NS1_11comp_targetILNS1_3genE0ELNS1_11target_archE4294967295ELNS1_3gpuE0ELNS1_3repE0EEENS1_30default_config_static_selectorELNS0_4arch9wavefront6targetE0EEEvT1_,"axG",@progbits,_ZN7rocprim17ROCPRIM_400000_NS6detail17trampoline_kernelINS0_14default_configENS1_25transform_config_selectorIdLb0EEEZNS1_14transform_implILb0ES3_S5_NS0_18transform_iteratorINS0_17counting_iteratorImlEEZNS1_24adjacent_difference_implIS3_Lb1ELb0EPdSB_N6thrust23THRUST_200600_302600_NS5minusIdEEEE10hipError_tPvRmT2_T3_mT4_P12ihipStream_tbEUlmE_dEESB_NS0_8identityIvEEEESG_SJ_SK_mSL_SN_bEUlT_E_NS1_11comp_targetILNS1_3genE0ELNS1_11target_archE4294967295ELNS1_3gpuE0ELNS1_3repE0EEENS1_30default_config_static_selectorELNS0_4arch9wavefront6targetE0EEEvT1_,comdat
.Lfunc_end10:
	.size	_ZN7rocprim17ROCPRIM_400000_NS6detail17trampoline_kernelINS0_14default_configENS1_25transform_config_selectorIdLb0EEEZNS1_14transform_implILb0ES3_S5_NS0_18transform_iteratorINS0_17counting_iteratorImlEEZNS1_24adjacent_difference_implIS3_Lb1ELb0EPdSB_N6thrust23THRUST_200600_302600_NS5minusIdEEEE10hipError_tPvRmT2_T3_mT4_P12ihipStream_tbEUlmE_dEESB_NS0_8identityIvEEEESG_SJ_SK_mSL_SN_bEUlT_E_NS1_11comp_targetILNS1_3genE0ELNS1_11target_archE4294967295ELNS1_3gpuE0ELNS1_3repE0EEENS1_30default_config_static_selectorELNS0_4arch9wavefront6targetE0EEEvT1_, .Lfunc_end10-_ZN7rocprim17ROCPRIM_400000_NS6detail17trampoline_kernelINS0_14default_configENS1_25transform_config_selectorIdLb0EEEZNS1_14transform_implILb0ES3_S5_NS0_18transform_iteratorINS0_17counting_iteratorImlEEZNS1_24adjacent_difference_implIS3_Lb1ELb0EPdSB_N6thrust23THRUST_200600_302600_NS5minusIdEEEE10hipError_tPvRmT2_T3_mT4_P12ihipStream_tbEUlmE_dEESB_NS0_8identityIvEEEESG_SJ_SK_mSL_SN_bEUlT_E_NS1_11comp_targetILNS1_3genE0ELNS1_11target_archE4294967295ELNS1_3gpuE0ELNS1_3repE0EEENS1_30default_config_static_selectorELNS0_4arch9wavefront6targetE0EEEvT1_
                                        ; -- End function
	.section	.AMDGPU.csdata,"",@progbits
; Kernel info:
; codeLenInByte = 0
; NumSgprs: 0
; NumVgprs: 0
; ScratchSize: 0
; MemoryBound: 0
; FloatMode: 240
; IeeeMode: 1
; LDSByteSize: 0 bytes/workgroup (compile time only)
; SGPRBlocks: 0
; VGPRBlocks: 0
; NumSGPRsForWavesPerEU: 1
; NumVGPRsForWavesPerEU: 1
; Occupancy: 16
; WaveLimiterHint : 0
; COMPUTE_PGM_RSRC2:SCRATCH_EN: 0
; COMPUTE_PGM_RSRC2:USER_SGPR: 15
; COMPUTE_PGM_RSRC2:TRAP_HANDLER: 0
; COMPUTE_PGM_RSRC2:TGID_X_EN: 1
; COMPUTE_PGM_RSRC2:TGID_Y_EN: 0
; COMPUTE_PGM_RSRC2:TGID_Z_EN: 0
; COMPUTE_PGM_RSRC2:TIDIG_COMP_CNT: 0
	.section	.text._ZN7rocprim17ROCPRIM_400000_NS6detail17trampoline_kernelINS0_14default_configENS1_25transform_config_selectorIdLb0EEEZNS1_14transform_implILb0ES3_S5_NS0_18transform_iteratorINS0_17counting_iteratorImlEEZNS1_24adjacent_difference_implIS3_Lb1ELb0EPdSB_N6thrust23THRUST_200600_302600_NS5minusIdEEEE10hipError_tPvRmT2_T3_mT4_P12ihipStream_tbEUlmE_dEESB_NS0_8identityIvEEEESG_SJ_SK_mSL_SN_bEUlT_E_NS1_11comp_targetILNS1_3genE5ELNS1_11target_archE942ELNS1_3gpuE9ELNS1_3repE0EEENS1_30default_config_static_selectorELNS0_4arch9wavefront6targetE0EEEvT1_,"axG",@progbits,_ZN7rocprim17ROCPRIM_400000_NS6detail17trampoline_kernelINS0_14default_configENS1_25transform_config_selectorIdLb0EEEZNS1_14transform_implILb0ES3_S5_NS0_18transform_iteratorINS0_17counting_iteratorImlEEZNS1_24adjacent_difference_implIS3_Lb1ELb0EPdSB_N6thrust23THRUST_200600_302600_NS5minusIdEEEE10hipError_tPvRmT2_T3_mT4_P12ihipStream_tbEUlmE_dEESB_NS0_8identityIvEEEESG_SJ_SK_mSL_SN_bEUlT_E_NS1_11comp_targetILNS1_3genE5ELNS1_11target_archE942ELNS1_3gpuE9ELNS1_3repE0EEENS1_30default_config_static_selectorELNS0_4arch9wavefront6targetE0EEEvT1_,comdat
	.protected	_ZN7rocprim17ROCPRIM_400000_NS6detail17trampoline_kernelINS0_14default_configENS1_25transform_config_selectorIdLb0EEEZNS1_14transform_implILb0ES3_S5_NS0_18transform_iteratorINS0_17counting_iteratorImlEEZNS1_24adjacent_difference_implIS3_Lb1ELb0EPdSB_N6thrust23THRUST_200600_302600_NS5minusIdEEEE10hipError_tPvRmT2_T3_mT4_P12ihipStream_tbEUlmE_dEESB_NS0_8identityIvEEEESG_SJ_SK_mSL_SN_bEUlT_E_NS1_11comp_targetILNS1_3genE5ELNS1_11target_archE942ELNS1_3gpuE9ELNS1_3repE0EEENS1_30default_config_static_selectorELNS0_4arch9wavefront6targetE0EEEvT1_ ; -- Begin function _ZN7rocprim17ROCPRIM_400000_NS6detail17trampoline_kernelINS0_14default_configENS1_25transform_config_selectorIdLb0EEEZNS1_14transform_implILb0ES3_S5_NS0_18transform_iteratorINS0_17counting_iteratorImlEEZNS1_24adjacent_difference_implIS3_Lb1ELb0EPdSB_N6thrust23THRUST_200600_302600_NS5minusIdEEEE10hipError_tPvRmT2_T3_mT4_P12ihipStream_tbEUlmE_dEESB_NS0_8identityIvEEEESG_SJ_SK_mSL_SN_bEUlT_E_NS1_11comp_targetILNS1_3genE5ELNS1_11target_archE942ELNS1_3gpuE9ELNS1_3repE0EEENS1_30default_config_static_selectorELNS0_4arch9wavefront6targetE0EEEvT1_
	.globl	_ZN7rocprim17ROCPRIM_400000_NS6detail17trampoline_kernelINS0_14default_configENS1_25transform_config_selectorIdLb0EEEZNS1_14transform_implILb0ES3_S5_NS0_18transform_iteratorINS0_17counting_iteratorImlEEZNS1_24adjacent_difference_implIS3_Lb1ELb0EPdSB_N6thrust23THRUST_200600_302600_NS5minusIdEEEE10hipError_tPvRmT2_T3_mT4_P12ihipStream_tbEUlmE_dEESB_NS0_8identityIvEEEESG_SJ_SK_mSL_SN_bEUlT_E_NS1_11comp_targetILNS1_3genE5ELNS1_11target_archE942ELNS1_3gpuE9ELNS1_3repE0EEENS1_30default_config_static_selectorELNS0_4arch9wavefront6targetE0EEEvT1_
	.p2align	8
	.type	_ZN7rocprim17ROCPRIM_400000_NS6detail17trampoline_kernelINS0_14default_configENS1_25transform_config_selectorIdLb0EEEZNS1_14transform_implILb0ES3_S5_NS0_18transform_iteratorINS0_17counting_iteratorImlEEZNS1_24adjacent_difference_implIS3_Lb1ELb0EPdSB_N6thrust23THRUST_200600_302600_NS5minusIdEEEE10hipError_tPvRmT2_T3_mT4_P12ihipStream_tbEUlmE_dEESB_NS0_8identityIvEEEESG_SJ_SK_mSL_SN_bEUlT_E_NS1_11comp_targetILNS1_3genE5ELNS1_11target_archE942ELNS1_3gpuE9ELNS1_3repE0EEENS1_30default_config_static_selectorELNS0_4arch9wavefront6targetE0EEEvT1_,@function
_ZN7rocprim17ROCPRIM_400000_NS6detail17trampoline_kernelINS0_14default_configENS1_25transform_config_selectorIdLb0EEEZNS1_14transform_implILb0ES3_S5_NS0_18transform_iteratorINS0_17counting_iteratorImlEEZNS1_24adjacent_difference_implIS3_Lb1ELb0EPdSB_N6thrust23THRUST_200600_302600_NS5minusIdEEEE10hipError_tPvRmT2_T3_mT4_P12ihipStream_tbEUlmE_dEESB_NS0_8identityIvEEEESG_SJ_SK_mSL_SN_bEUlT_E_NS1_11comp_targetILNS1_3genE5ELNS1_11target_archE942ELNS1_3gpuE9ELNS1_3repE0EEENS1_30default_config_static_selectorELNS0_4arch9wavefront6targetE0EEEvT1_: ; @_ZN7rocprim17ROCPRIM_400000_NS6detail17trampoline_kernelINS0_14default_configENS1_25transform_config_selectorIdLb0EEEZNS1_14transform_implILb0ES3_S5_NS0_18transform_iteratorINS0_17counting_iteratorImlEEZNS1_24adjacent_difference_implIS3_Lb1ELb0EPdSB_N6thrust23THRUST_200600_302600_NS5minusIdEEEE10hipError_tPvRmT2_T3_mT4_P12ihipStream_tbEUlmE_dEESB_NS0_8identityIvEEEESG_SJ_SK_mSL_SN_bEUlT_E_NS1_11comp_targetILNS1_3genE5ELNS1_11target_archE942ELNS1_3gpuE9ELNS1_3repE0EEENS1_30default_config_static_selectorELNS0_4arch9wavefront6targetE0EEEvT1_
; %bb.0:
	.section	.rodata,"a",@progbits
	.p2align	6, 0x0
	.amdhsa_kernel _ZN7rocprim17ROCPRIM_400000_NS6detail17trampoline_kernelINS0_14default_configENS1_25transform_config_selectorIdLb0EEEZNS1_14transform_implILb0ES3_S5_NS0_18transform_iteratorINS0_17counting_iteratorImlEEZNS1_24adjacent_difference_implIS3_Lb1ELb0EPdSB_N6thrust23THRUST_200600_302600_NS5minusIdEEEE10hipError_tPvRmT2_T3_mT4_P12ihipStream_tbEUlmE_dEESB_NS0_8identityIvEEEESG_SJ_SK_mSL_SN_bEUlT_E_NS1_11comp_targetILNS1_3genE5ELNS1_11target_archE942ELNS1_3gpuE9ELNS1_3repE0EEENS1_30default_config_static_selectorELNS0_4arch9wavefront6targetE0EEEvT1_
		.amdhsa_group_segment_fixed_size 0
		.amdhsa_private_segment_fixed_size 0
		.amdhsa_kernarg_size 56
		.amdhsa_user_sgpr_count 15
		.amdhsa_user_sgpr_dispatch_ptr 0
		.amdhsa_user_sgpr_queue_ptr 0
		.amdhsa_user_sgpr_kernarg_segment_ptr 1
		.amdhsa_user_sgpr_dispatch_id 0
		.amdhsa_user_sgpr_private_segment_size 0
		.amdhsa_wavefront_size32 1
		.amdhsa_uses_dynamic_stack 0
		.amdhsa_enable_private_segment 0
		.amdhsa_system_sgpr_workgroup_id_x 1
		.amdhsa_system_sgpr_workgroup_id_y 0
		.amdhsa_system_sgpr_workgroup_id_z 0
		.amdhsa_system_sgpr_workgroup_info 0
		.amdhsa_system_vgpr_workitem_id 0
		.amdhsa_next_free_vgpr 1
		.amdhsa_next_free_sgpr 1
		.amdhsa_reserve_vcc 0
		.amdhsa_float_round_mode_32 0
		.amdhsa_float_round_mode_16_64 0
		.amdhsa_float_denorm_mode_32 3
		.amdhsa_float_denorm_mode_16_64 3
		.amdhsa_dx10_clamp 1
		.amdhsa_ieee_mode 1
		.amdhsa_fp16_overflow 0
		.amdhsa_workgroup_processor_mode 1
		.amdhsa_memory_ordered 1
		.amdhsa_forward_progress 0
		.amdhsa_shared_vgpr_count 0
		.amdhsa_exception_fp_ieee_invalid_op 0
		.amdhsa_exception_fp_denorm_src 0
		.amdhsa_exception_fp_ieee_div_zero 0
		.amdhsa_exception_fp_ieee_overflow 0
		.amdhsa_exception_fp_ieee_underflow 0
		.amdhsa_exception_fp_ieee_inexact 0
		.amdhsa_exception_int_div_zero 0
	.end_amdhsa_kernel
	.section	.text._ZN7rocprim17ROCPRIM_400000_NS6detail17trampoline_kernelINS0_14default_configENS1_25transform_config_selectorIdLb0EEEZNS1_14transform_implILb0ES3_S5_NS0_18transform_iteratorINS0_17counting_iteratorImlEEZNS1_24adjacent_difference_implIS3_Lb1ELb0EPdSB_N6thrust23THRUST_200600_302600_NS5minusIdEEEE10hipError_tPvRmT2_T3_mT4_P12ihipStream_tbEUlmE_dEESB_NS0_8identityIvEEEESG_SJ_SK_mSL_SN_bEUlT_E_NS1_11comp_targetILNS1_3genE5ELNS1_11target_archE942ELNS1_3gpuE9ELNS1_3repE0EEENS1_30default_config_static_selectorELNS0_4arch9wavefront6targetE0EEEvT1_,"axG",@progbits,_ZN7rocprim17ROCPRIM_400000_NS6detail17trampoline_kernelINS0_14default_configENS1_25transform_config_selectorIdLb0EEEZNS1_14transform_implILb0ES3_S5_NS0_18transform_iteratorINS0_17counting_iteratorImlEEZNS1_24adjacent_difference_implIS3_Lb1ELb0EPdSB_N6thrust23THRUST_200600_302600_NS5minusIdEEEE10hipError_tPvRmT2_T3_mT4_P12ihipStream_tbEUlmE_dEESB_NS0_8identityIvEEEESG_SJ_SK_mSL_SN_bEUlT_E_NS1_11comp_targetILNS1_3genE5ELNS1_11target_archE942ELNS1_3gpuE9ELNS1_3repE0EEENS1_30default_config_static_selectorELNS0_4arch9wavefront6targetE0EEEvT1_,comdat
.Lfunc_end11:
	.size	_ZN7rocprim17ROCPRIM_400000_NS6detail17trampoline_kernelINS0_14default_configENS1_25transform_config_selectorIdLb0EEEZNS1_14transform_implILb0ES3_S5_NS0_18transform_iteratorINS0_17counting_iteratorImlEEZNS1_24adjacent_difference_implIS3_Lb1ELb0EPdSB_N6thrust23THRUST_200600_302600_NS5minusIdEEEE10hipError_tPvRmT2_T3_mT4_P12ihipStream_tbEUlmE_dEESB_NS0_8identityIvEEEESG_SJ_SK_mSL_SN_bEUlT_E_NS1_11comp_targetILNS1_3genE5ELNS1_11target_archE942ELNS1_3gpuE9ELNS1_3repE0EEENS1_30default_config_static_selectorELNS0_4arch9wavefront6targetE0EEEvT1_, .Lfunc_end11-_ZN7rocprim17ROCPRIM_400000_NS6detail17trampoline_kernelINS0_14default_configENS1_25transform_config_selectorIdLb0EEEZNS1_14transform_implILb0ES3_S5_NS0_18transform_iteratorINS0_17counting_iteratorImlEEZNS1_24adjacent_difference_implIS3_Lb1ELb0EPdSB_N6thrust23THRUST_200600_302600_NS5minusIdEEEE10hipError_tPvRmT2_T3_mT4_P12ihipStream_tbEUlmE_dEESB_NS0_8identityIvEEEESG_SJ_SK_mSL_SN_bEUlT_E_NS1_11comp_targetILNS1_3genE5ELNS1_11target_archE942ELNS1_3gpuE9ELNS1_3repE0EEENS1_30default_config_static_selectorELNS0_4arch9wavefront6targetE0EEEvT1_
                                        ; -- End function
	.section	.AMDGPU.csdata,"",@progbits
; Kernel info:
; codeLenInByte = 0
; NumSgprs: 0
; NumVgprs: 0
; ScratchSize: 0
; MemoryBound: 0
; FloatMode: 240
; IeeeMode: 1
; LDSByteSize: 0 bytes/workgroup (compile time only)
; SGPRBlocks: 0
; VGPRBlocks: 0
; NumSGPRsForWavesPerEU: 1
; NumVGPRsForWavesPerEU: 1
; Occupancy: 16
; WaveLimiterHint : 0
; COMPUTE_PGM_RSRC2:SCRATCH_EN: 0
; COMPUTE_PGM_RSRC2:USER_SGPR: 15
; COMPUTE_PGM_RSRC2:TRAP_HANDLER: 0
; COMPUTE_PGM_RSRC2:TGID_X_EN: 1
; COMPUTE_PGM_RSRC2:TGID_Y_EN: 0
; COMPUTE_PGM_RSRC2:TGID_Z_EN: 0
; COMPUTE_PGM_RSRC2:TIDIG_COMP_CNT: 0
	.section	.text._ZN7rocprim17ROCPRIM_400000_NS6detail17trampoline_kernelINS0_14default_configENS1_25transform_config_selectorIdLb0EEEZNS1_14transform_implILb0ES3_S5_NS0_18transform_iteratorINS0_17counting_iteratorImlEEZNS1_24adjacent_difference_implIS3_Lb1ELb0EPdSB_N6thrust23THRUST_200600_302600_NS5minusIdEEEE10hipError_tPvRmT2_T3_mT4_P12ihipStream_tbEUlmE_dEESB_NS0_8identityIvEEEESG_SJ_SK_mSL_SN_bEUlT_E_NS1_11comp_targetILNS1_3genE4ELNS1_11target_archE910ELNS1_3gpuE8ELNS1_3repE0EEENS1_30default_config_static_selectorELNS0_4arch9wavefront6targetE0EEEvT1_,"axG",@progbits,_ZN7rocprim17ROCPRIM_400000_NS6detail17trampoline_kernelINS0_14default_configENS1_25transform_config_selectorIdLb0EEEZNS1_14transform_implILb0ES3_S5_NS0_18transform_iteratorINS0_17counting_iteratorImlEEZNS1_24adjacent_difference_implIS3_Lb1ELb0EPdSB_N6thrust23THRUST_200600_302600_NS5minusIdEEEE10hipError_tPvRmT2_T3_mT4_P12ihipStream_tbEUlmE_dEESB_NS0_8identityIvEEEESG_SJ_SK_mSL_SN_bEUlT_E_NS1_11comp_targetILNS1_3genE4ELNS1_11target_archE910ELNS1_3gpuE8ELNS1_3repE0EEENS1_30default_config_static_selectorELNS0_4arch9wavefront6targetE0EEEvT1_,comdat
	.protected	_ZN7rocprim17ROCPRIM_400000_NS6detail17trampoline_kernelINS0_14default_configENS1_25transform_config_selectorIdLb0EEEZNS1_14transform_implILb0ES3_S5_NS0_18transform_iteratorINS0_17counting_iteratorImlEEZNS1_24adjacent_difference_implIS3_Lb1ELb0EPdSB_N6thrust23THRUST_200600_302600_NS5minusIdEEEE10hipError_tPvRmT2_T3_mT4_P12ihipStream_tbEUlmE_dEESB_NS0_8identityIvEEEESG_SJ_SK_mSL_SN_bEUlT_E_NS1_11comp_targetILNS1_3genE4ELNS1_11target_archE910ELNS1_3gpuE8ELNS1_3repE0EEENS1_30default_config_static_selectorELNS0_4arch9wavefront6targetE0EEEvT1_ ; -- Begin function _ZN7rocprim17ROCPRIM_400000_NS6detail17trampoline_kernelINS0_14default_configENS1_25transform_config_selectorIdLb0EEEZNS1_14transform_implILb0ES3_S5_NS0_18transform_iteratorINS0_17counting_iteratorImlEEZNS1_24adjacent_difference_implIS3_Lb1ELb0EPdSB_N6thrust23THRUST_200600_302600_NS5minusIdEEEE10hipError_tPvRmT2_T3_mT4_P12ihipStream_tbEUlmE_dEESB_NS0_8identityIvEEEESG_SJ_SK_mSL_SN_bEUlT_E_NS1_11comp_targetILNS1_3genE4ELNS1_11target_archE910ELNS1_3gpuE8ELNS1_3repE0EEENS1_30default_config_static_selectorELNS0_4arch9wavefront6targetE0EEEvT1_
	.globl	_ZN7rocprim17ROCPRIM_400000_NS6detail17trampoline_kernelINS0_14default_configENS1_25transform_config_selectorIdLb0EEEZNS1_14transform_implILb0ES3_S5_NS0_18transform_iteratorINS0_17counting_iteratorImlEEZNS1_24adjacent_difference_implIS3_Lb1ELb0EPdSB_N6thrust23THRUST_200600_302600_NS5minusIdEEEE10hipError_tPvRmT2_T3_mT4_P12ihipStream_tbEUlmE_dEESB_NS0_8identityIvEEEESG_SJ_SK_mSL_SN_bEUlT_E_NS1_11comp_targetILNS1_3genE4ELNS1_11target_archE910ELNS1_3gpuE8ELNS1_3repE0EEENS1_30default_config_static_selectorELNS0_4arch9wavefront6targetE0EEEvT1_
	.p2align	8
	.type	_ZN7rocprim17ROCPRIM_400000_NS6detail17trampoline_kernelINS0_14default_configENS1_25transform_config_selectorIdLb0EEEZNS1_14transform_implILb0ES3_S5_NS0_18transform_iteratorINS0_17counting_iteratorImlEEZNS1_24adjacent_difference_implIS3_Lb1ELb0EPdSB_N6thrust23THRUST_200600_302600_NS5minusIdEEEE10hipError_tPvRmT2_T3_mT4_P12ihipStream_tbEUlmE_dEESB_NS0_8identityIvEEEESG_SJ_SK_mSL_SN_bEUlT_E_NS1_11comp_targetILNS1_3genE4ELNS1_11target_archE910ELNS1_3gpuE8ELNS1_3repE0EEENS1_30default_config_static_selectorELNS0_4arch9wavefront6targetE0EEEvT1_,@function
_ZN7rocprim17ROCPRIM_400000_NS6detail17trampoline_kernelINS0_14default_configENS1_25transform_config_selectorIdLb0EEEZNS1_14transform_implILb0ES3_S5_NS0_18transform_iteratorINS0_17counting_iteratorImlEEZNS1_24adjacent_difference_implIS3_Lb1ELb0EPdSB_N6thrust23THRUST_200600_302600_NS5minusIdEEEE10hipError_tPvRmT2_T3_mT4_P12ihipStream_tbEUlmE_dEESB_NS0_8identityIvEEEESG_SJ_SK_mSL_SN_bEUlT_E_NS1_11comp_targetILNS1_3genE4ELNS1_11target_archE910ELNS1_3gpuE8ELNS1_3repE0EEENS1_30default_config_static_selectorELNS0_4arch9wavefront6targetE0EEEvT1_: ; @_ZN7rocprim17ROCPRIM_400000_NS6detail17trampoline_kernelINS0_14default_configENS1_25transform_config_selectorIdLb0EEEZNS1_14transform_implILb0ES3_S5_NS0_18transform_iteratorINS0_17counting_iteratorImlEEZNS1_24adjacent_difference_implIS3_Lb1ELb0EPdSB_N6thrust23THRUST_200600_302600_NS5minusIdEEEE10hipError_tPvRmT2_T3_mT4_P12ihipStream_tbEUlmE_dEESB_NS0_8identityIvEEEESG_SJ_SK_mSL_SN_bEUlT_E_NS1_11comp_targetILNS1_3genE4ELNS1_11target_archE910ELNS1_3gpuE8ELNS1_3repE0EEENS1_30default_config_static_selectorELNS0_4arch9wavefront6targetE0EEEvT1_
; %bb.0:
	.section	.rodata,"a",@progbits
	.p2align	6, 0x0
	.amdhsa_kernel _ZN7rocprim17ROCPRIM_400000_NS6detail17trampoline_kernelINS0_14default_configENS1_25transform_config_selectorIdLb0EEEZNS1_14transform_implILb0ES3_S5_NS0_18transform_iteratorINS0_17counting_iteratorImlEEZNS1_24adjacent_difference_implIS3_Lb1ELb0EPdSB_N6thrust23THRUST_200600_302600_NS5minusIdEEEE10hipError_tPvRmT2_T3_mT4_P12ihipStream_tbEUlmE_dEESB_NS0_8identityIvEEEESG_SJ_SK_mSL_SN_bEUlT_E_NS1_11comp_targetILNS1_3genE4ELNS1_11target_archE910ELNS1_3gpuE8ELNS1_3repE0EEENS1_30default_config_static_selectorELNS0_4arch9wavefront6targetE0EEEvT1_
		.amdhsa_group_segment_fixed_size 0
		.amdhsa_private_segment_fixed_size 0
		.amdhsa_kernarg_size 56
		.amdhsa_user_sgpr_count 15
		.amdhsa_user_sgpr_dispatch_ptr 0
		.amdhsa_user_sgpr_queue_ptr 0
		.amdhsa_user_sgpr_kernarg_segment_ptr 1
		.amdhsa_user_sgpr_dispatch_id 0
		.amdhsa_user_sgpr_private_segment_size 0
		.amdhsa_wavefront_size32 1
		.amdhsa_uses_dynamic_stack 0
		.amdhsa_enable_private_segment 0
		.amdhsa_system_sgpr_workgroup_id_x 1
		.amdhsa_system_sgpr_workgroup_id_y 0
		.amdhsa_system_sgpr_workgroup_id_z 0
		.amdhsa_system_sgpr_workgroup_info 0
		.amdhsa_system_vgpr_workitem_id 0
		.amdhsa_next_free_vgpr 1
		.amdhsa_next_free_sgpr 1
		.amdhsa_reserve_vcc 0
		.amdhsa_float_round_mode_32 0
		.amdhsa_float_round_mode_16_64 0
		.amdhsa_float_denorm_mode_32 3
		.amdhsa_float_denorm_mode_16_64 3
		.amdhsa_dx10_clamp 1
		.amdhsa_ieee_mode 1
		.amdhsa_fp16_overflow 0
		.amdhsa_workgroup_processor_mode 1
		.amdhsa_memory_ordered 1
		.amdhsa_forward_progress 0
		.amdhsa_shared_vgpr_count 0
		.amdhsa_exception_fp_ieee_invalid_op 0
		.amdhsa_exception_fp_denorm_src 0
		.amdhsa_exception_fp_ieee_div_zero 0
		.amdhsa_exception_fp_ieee_overflow 0
		.amdhsa_exception_fp_ieee_underflow 0
		.amdhsa_exception_fp_ieee_inexact 0
		.amdhsa_exception_int_div_zero 0
	.end_amdhsa_kernel
	.section	.text._ZN7rocprim17ROCPRIM_400000_NS6detail17trampoline_kernelINS0_14default_configENS1_25transform_config_selectorIdLb0EEEZNS1_14transform_implILb0ES3_S5_NS0_18transform_iteratorINS0_17counting_iteratorImlEEZNS1_24adjacent_difference_implIS3_Lb1ELb0EPdSB_N6thrust23THRUST_200600_302600_NS5minusIdEEEE10hipError_tPvRmT2_T3_mT4_P12ihipStream_tbEUlmE_dEESB_NS0_8identityIvEEEESG_SJ_SK_mSL_SN_bEUlT_E_NS1_11comp_targetILNS1_3genE4ELNS1_11target_archE910ELNS1_3gpuE8ELNS1_3repE0EEENS1_30default_config_static_selectorELNS0_4arch9wavefront6targetE0EEEvT1_,"axG",@progbits,_ZN7rocprim17ROCPRIM_400000_NS6detail17trampoline_kernelINS0_14default_configENS1_25transform_config_selectorIdLb0EEEZNS1_14transform_implILb0ES3_S5_NS0_18transform_iteratorINS0_17counting_iteratorImlEEZNS1_24adjacent_difference_implIS3_Lb1ELb0EPdSB_N6thrust23THRUST_200600_302600_NS5minusIdEEEE10hipError_tPvRmT2_T3_mT4_P12ihipStream_tbEUlmE_dEESB_NS0_8identityIvEEEESG_SJ_SK_mSL_SN_bEUlT_E_NS1_11comp_targetILNS1_3genE4ELNS1_11target_archE910ELNS1_3gpuE8ELNS1_3repE0EEENS1_30default_config_static_selectorELNS0_4arch9wavefront6targetE0EEEvT1_,comdat
.Lfunc_end12:
	.size	_ZN7rocprim17ROCPRIM_400000_NS6detail17trampoline_kernelINS0_14default_configENS1_25transform_config_selectorIdLb0EEEZNS1_14transform_implILb0ES3_S5_NS0_18transform_iteratorINS0_17counting_iteratorImlEEZNS1_24adjacent_difference_implIS3_Lb1ELb0EPdSB_N6thrust23THRUST_200600_302600_NS5minusIdEEEE10hipError_tPvRmT2_T3_mT4_P12ihipStream_tbEUlmE_dEESB_NS0_8identityIvEEEESG_SJ_SK_mSL_SN_bEUlT_E_NS1_11comp_targetILNS1_3genE4ELNS1_11target_archE910ELNS1_3gpuE8ELNS1_3repE0EEENS1_30default_config_static_selectorELNS0_4arch9wavefront6targetE0EEEvT1_, .Lfunc_end12-_ZN7rocprim17ROCPRIM_400000_NS6detail17trampoline_kernelINS0_14default_configENS1_25transform_config_selectorIdLb0EEEZNS1_14transform_implILb0ES3_S5_NS0_18transform_iteratorINS0_17counting_iteratorImlEEZNS1_24adjacent_difference_implIS3_Lb1ELb0EPdSB_N6thrust23THRUST_200600_302600_NS5minusIdEEEE10hipError_tPvRmT2_T3_mT4_P12ihipStream_tbEUlmE_dEESB_NS0_8identityIvEEEESG_SJ_SK_mSL_SN_bEUlT_E_NS1_11comp_targetILNS1_3genE4ELNS1_11target_archE910ELNS1_3gpuE8ELNS1_3repE0EEENS1_30default_config_static_selectorELNS0_4arch9wavefront6targetE0EEEvT1_
                                        ; -- End function
	.section	.AMDGPU.csdata,"",@progbits
; Kernel info:
; codeLenInByte = 0
; NumSgprs: 0
; NumVgprs: 0
; ScratchSize: 0
; MemoryBound: 0
; FloatMode: 240
; IeeeMode: 1
; LDSByteSize: 0 bytes/workgroup (compile time only)
; SGPRBlocks: 0
; VGPRBlocks: 0
; NumSGPRsForWavesPerEU: 1
; NumVGPRsForWavesPerEU: 1
; Occupancy: 16
; WaveLimiterHint : 0
; COMPUTE_PGM_RSRC2:SCRATCH_EN: 0
; COMPUTE_PGM_RSRC2:USER_SGPR: 15
; COMPUTE_PGM_RSRC2:TRAP_HANDLER: 0
; COMPUTE_PGM_RSRC2:TGID_X_EN: 1
; COMPUTE_PGM_RSRC2:TGID_Y_EN: 0
; COMPUTE_PGM_RSRC2:TGID_Z_EN: 0
; COMPUTE_PGM_RSRC2:TIDIG_COMP_CNT: 0
	.section	.text._ZN7rocprim17ROCPRIM_400000_NS6detail17trampoline_kernelINS0_14default_configENS1_25transform_config_selectorIdLb0EEEZNS1_14transform_implILb0ES3_S5_NS0_18transform_iteratorINS0_17counting_iteratorImlEEZNS1_24adjacent_difference_implIS3_Lb1ELb0EPdSB_N6thrust23THRUST_200600_302600_NS5minusIdEEEE10hipError_tPvRmT2_T3_mT4_P12ihipStream_tbEUlmE_dEESB_NS0_8identityIvEEEESG_SJ_SK_mSL_SN_bEUlT_E_NS1_11comp_targetILNS1_3genE3ELNS1_11target_archE908ELNS1_3gpuE7ELNS1_3repE0EEENS1_30default_config_static_selectorELNS0_4arch9wavefront6targetE0EEEvT1_,"axG",@progbits,_ZN7rocprim17ROCPRIM_400000_NS6detail17trampoline_kernelINS0_14default_configENS1_25transform_config_selectorIdLb0EEEZNS1_14transform_implILb0ES3_S5_NS0_18transform_iteratorINS0_17counting_iteratorImlEEZNS1_24adjacent_difference_implIS3_Lb1ELb0EPdSB_N6thrust23THRUST_200600_302600_NS5minusIdEEEE10hipError_tPvRmT2_T3_mT4_P12ihipStream_tbEUlmE_dEESB_NS0_8identityIvEEEESG_SJ_SK_mSL_SN_bEUlT_E_NS1_11comp_targetILNS1_3genE3ELNS1_11target_archE908ELNS1_3gpuE7ELNS1_3repE0EEENS1_30default_config_static_selectorELNS0_4arch9wavefront6targetE0EEEvT1_,comdat
	.protected	_ZN7rocprim17ROCPRIM_400000_NS6detail17trampoline_kernelINS0_14default_configENS1_25transform_config_selectorIdLb0EEEZNS1_14transform_implILb0ES3_S5_NS0_18transform_iteratorINS0_17counting_iteratorImlEEZNS1_24adjacent_difference_implIS3_Lb1ELb0EPdSB_N6thrust23THRUST_200600_302600_NS5minusIdEEEE10hipError_tPvRmT2_T3_mT4_P12ihipStream_tbEUlmE_dEESB_NS0_8identityIvEEEESG_SJ_SK_mSL_SN_bEUlT_E_NS1_11comp_targetILNS1_3genE3ELNS1_11target_archE908ELNS1_3gpuE7ELNS1_3repE0EEENS1_30default_config_static_selectorELNS0_4arch9wavefront6targetE0EEEvT1_ ; -- Begin function _ZN7rocprim17ROCPRIM_400000_NS6detail17trampoline_kernelINS0_14default_configENS1_25transform_config_selectorIdLb0EEEZNS1_14transform_implILb0ES3_S5_NS0_18transform_iteratorINS0_17counting_iteratorImlEEZNS1_24adjacent_difference_implIS3_Lb1ELb0EPdSB_N6thrust23THRUST_200600_302600_NS5minusIdEEEE10hipError_tPvRmT2_T3_mT4_P12ihipStream_tbEUlmE_dEESB_NS0_8identityIvEEEESG_SJ_SK_mSL_SN_bEUlT_E_NS1_11comp_targetILNS1_3genE3ELNS1_11target_archE908ELNS1_3gpuE7ELNS1_3repE0EEENS1_30default_config_static_selectorELNS0_4arch9wavefront6targetE0EEEvT1_
	.globl	_ZN7rocprim17ROCPRIM_400000_NS6detail17trampoline_kernelINS0_14default_configENS1_25transform_config_selectorIdLb0EEEZNS1_14transform_implILb0ES3_S5_NS0_18transform_iteratorINS0_17counting_iteratorImlEEZNS1_24adjacent_difference_implIS3_Lb1ELb0EPdSB_N6thrust23THRUST_200600_302600_NS5minusIdEEEE10hipError_tPvRmT2_T3_mT4_P12ihipStream_tbEUlmE_dEESB_NS0_8identityIvEEEESG_SJ_SK_mSL_SN_bEUlT_E_NS1_11comp_targetILNS1_3genE3ELNS1_11target_archE908ELNS1_3gpuE7ELNS1_3repE0EEENS1_30default_config_static_selectorELNS0_4arch9wavefront6targetE0EEEvT1_
	.p2align	8
	.type	_ZN7rocprim17ROCPRIM_400000_NS6detail17trampoline_kernelINS0_14default_configENS1_25transform_config_selectorIdLb0EEEZNS1_14transform_implILb0ES3_S5_NS0_18transform_iteratorINS0_17counting_iteratorImlEEZNS1_24adjacent_difference_implIS3_Lb1ELb0EPdSB_N6thrust23THRUST_200600_302600_NS5minusIdEEEE10hipError_tPvRmT2_T3_mT4_P12ihipStream_tbEUlmE_dEESB_NS0_8identityIvEEEESG_SJ_SK_mSL_SN_bEUlT_E_NS1_11comp_targetILNS1_3genE3ELNS1_11target_archE908ELNS1_3gpuE7ELNS1_3repE0EEENS1_30default_config_static_selectorELNS0_4arch9wavefront6targetE0EEEvT1_,@function
_ZN7rocprim17ROCPRIM_400000_NS6detail17trampoline_kernelINS0_14default_configENS1_25transform_config_selectorIdLb0EEEZNS1_14transform_implILb0ES3_S5_NS0_18transform_iteratorINS0_17counting_iteratorImlEEZNS1_24adjacent_difference_implIS3_Lb1ELb0EPdSB_N6thrust23THRUST_200600_302600_NS5minusIdEEEE10hipError_tPvRmT2_T3_mT4_P12ihipStream_tbEUlmE_dEESB_NS0_8identityIvEEEESG_SJ_SK_mSL_SN_bEUlT_E_NS1_11comp_targetILNS1_3genE3ELNS1_11target_archE908ELNS1_3gpuE7ELNS1_3repE0EEENS1_30default_config_static_selectorELNS0_4arch9wavefront6targetE0EEEvT1_: ; @_ZN7rocprim17ROCPRIM_400000_NS6detail17trampoline_kernelINS0_14default_configENS1_25transform_config_selectorIdLb0EEEZNS1_14transform_implILb0ES3_S5_NS0_18transform_iteratorINS0_17counting_iteratorImlEEZNS1_24adjacent_difference_implIS3_Lb1ELb0EPdSB_N6thrust23THRUST_200600_302600_NS5minusIdEEEE10hipError_tPvRmT2_T3_mT4_P12ihipStream_tbEUlmE_dEESB_NS0_8identityIvEEEESG_SJ_SK_mSL_SN_bEUlT_E_NS1_11comp_targetILNS1_3genE3ELNS1_11target_archE908ELNS1_3gpuE7ELNS1_3repE0EEENS1_30default_config_static_selectorELNS0_4arch9wavefront6targetE0EEEvT1_
; %bb.0:
	.section	.rodata,"a",@progbits
	.p2align	6, 0x0
	.amdhsa_kernel _ZN7rocprim17ROCPRIM_400000_NS6detail17trampoline_kernelINS0_14default_configENS1_25transform_config_selectorIdLb0EEEZNS1_14transform_implILb0ES3_S5_NS0_18transform_iteratorINS0_17counting_iteratorImlEEZNS1_24adjacent_difference_implIS3_Lb1ELb0EPdSB_N6thrust23THRUST_200600_302600_NS5minusIdEEEE10hipError_tPvRmT2_T3_mT4_P12ihipStream_tbEUlmE_dEESB_NS0_8identityIvEEEESG_SJ_SK_mSL_SN_bEUlT_E_NS1_11comp_targetILNS1_3genE3ELNS1_11target_archE908ELNS1_3gpuE7ELNS1_3repE0EEENS1_30default_config_static_selectorELNS0_4arch9wavefront6targetE0EEEvT1_
		.amdhsa_group_segment_fixed_size 0
		.amdhsa_private_segment_fixed_size 0
		.amdhsa_kernarg_size 56
		.amdhsa_user_sgpr_count 15
		.amdhsa_user_sgpr_dispatch_ptr 0
		.amdhsa_user_sgpr_queue_ptr 0
		.amdhsa_user_sgpr_kernarg_segment_ptr 1
		.amdhsa_user_sgpr_dispatch_id 0
		.amdhsa_user_sgpr_private_segment_size 0
		.amdhsa_wavefront_size32 1
		.amdhsa_uses_dynamic_stack 0
		.amdhsa_enable_private_segment 0
		.amdhsa_system_sgpr_workgroup_id_x 1
		.amdhsa_system_sgpr_workgroup_id_y 0
		.amdhsa_system_sgpr_workgroup_id_z 0
		.amdhsa_system_sgpr_workgroup_info 0
		.amdhsa_system_vgpr_workitem_id 0
		.amdhsa_next_free_vgpr 1
		.amdhsa_next_free_sgpr 1
		.amdhsa_reserve_vcc 0
		.amdhsa_float_round_mode_32 0
		.amdhsa_float_round_mode_16_64 0
		.amdhsa_float_denorm_mode_32 3
		.amdhsa_float_denorm_mode_16_64 3
		.amdhsa_dx10_clamp 1
		.amdhsa_ieee_mode 1
		.amdhsa_fp16_overflow 0
		.amdhsa_workgroup_processor_mode 1
		.amdhsa_memory_ordered 1
		.amdhsa_forward_progress 0
		.amdhsa_shared_vgpr_count 0
		.amdhsa_exception_fp_ieee_invalid_op 0
		.amdhsa_exception_fp_denorm_src 0
		.amdhsa_exception_fp_ieee_div_zero 0
		.amdhsa_exception_fp_ieee_overflow 0
		.amdhsa_exception_fp_ieee_underflow 0
		.amdhsa_exception_fp_ieee_inexact 0
		.amdhsa_exception_int_div_zero 0
	.end_amdhsa_kernel
	.section	.text._ZN7rocprim17ROCPRIM_400000_NS6detail17trampoline_kernelINS0_14default_configENS1_25transform_config_selectorIdLb0EEEZNS1_14transform_implILb0ES3_S5_NS0_18transform_iteratorINS0_17counting_iteratorImlEEZNS1_24adjacent_difference_implIS3_Lb1ELb0EPdSB_N6thrust23THRUST_200600_302600_NS5minusIdEEEE10hipError_tPvRmT2_T3_mT4_P12ihipStream_tbEUlmE_dEESB_NS0_8identityIvEEEESG_SJ_SK_mSL_SN_bEUlT_E_NS1_11comp_targetILNS1_3genE3ELNS1_11target_archE908ELNS1_3gpuE7ELNS1_3repE0EEENS1_30default_config_static_selectorELNS0_4arch9wavefront6targetE0EEEvT1_,"axG",@progbits,_ZN7rocprim17ROCPRIM_400000_NS6detail17trampoline_kernelINS0_14default_configENS1_25transform_config_selectorIdLb0EEEZNS1_14transform_implILb0ES3_S5_NS0_18transform_iteratorINS0_17counting_iteratorImlEEZNS1_24adjacent_difference_implIS3_Lb1ELb0EPdSB_N6thrust23THRUST_200600_302600_NS5minusIdEEEE10hipError_tPvRmT2_T3_mT4_P12ihipStream_tbEUlmE_dEESB_NS0_8identityIvEEEESG_SJ_SK_mSL_SN_bEUlT_E_NS1_11comp_targetILNS1_3genE3ELNS1_11target_archE908ELNS1_3gpuE7ELNS1_3repE0EEENS1_30default_config_static_selectorELNS0_4arch9wavefront6targetE0EEEvT1_,comdat
.Lfunc_end13:
	.size	_ZN7rocprim17ROCPRIM_400000_NS6detail17trampoline_kernelINS0_14default_configENS1_25transform_config_selectorIdLb0EEEZNS1_14transform_implILb0ES3_S5_NS0_18transform_iteratorINS0_17counting_iteratorImlEEZNS1_24adjacent_difference_implIS3_Lb1ELb0EPdSB_N6thrust23THRUST_200600_302600_NS5minusIdEEEE10hipError_tPvRmT2_T3_mT4_P12ihipStream_tbEUlmE_dEESB_NS0_8identityIvEEEESG_SJ_SK_mSL_SN_bEUlT_E_NS1_11comp_targetILNS1_3genE3ELNS1_11target_archE908ELNS1_3gpuE7ELNS1_3repE0EEENS1_30default_config_static_selectorELNS0_4arch9wavefront6targetE0EEEvT1_, .Lfunc_end13-_ZN7rocprim17ROCPRIM_400000_NS6detail17trampoline_kernelINS0_14default_configENS1_25transform_config_selectorIdLb0EEEZNS1_14transform_implILb0ES3_S5_NS0_18transform_iteratorINS0_17counting_iteratorImlEEZNS1_24adjacent_difference_implIS3_Lb1ELb0EPdSB_N6thrust23THRUST_200600_302600_NS5minusIdEEEE10hipError_tPvRmT2_T3_mT4_P12ihipStream_tbEUlmE_dEESB_NS0_8identityIvEEEESG_SJ_SK_mSL_SN_bEUlT_E_NS1_11comp_targetILNS1_3genE3ELNS1_11target_archE908ELNS1_3gpuE7ELNS1_3repE0EEENS1_30default_config_static_selectorELNS0_4arch9wavefront6targetE0EEEvT1_
                                        ; -- End function
	.section	.AMDGPU.csdata,"",@progbits
; Kernel info:
; codeLenInByte = 0
; NumSgprs: 0
; NumVgprs: 0
; ScratchSize: 0
; MemoryBound: 0
; FloatMode: 240
; IeeeMode: 1
; LDSByteSize: 0 bytes/workgroup (compile time only)
; SGPRBlocks: 0
; VGPRBlocks: 0
; NumSGPRsForWavesPerEU: 1
; NumVGPRsForWavesPerEU: 1
; Occupancy: 16
; WaveLimiterHint : 0
; COMPUTE_PGM_RSRC2:SCRATCH_EN: 0
; COMPUTE_PGM_RSRC2:USER_SGPR: 15
; COMPUTE_PGM_RSRC2:TRAP_HANDLER: 0
; COMPUTE_PGM_RSRC2:TGID_X_EN: 1
; COMPUTE_PGM_RSRC2:TGID_Y_EN: 0
; COMPUTE_PGM_RSRC2:TGID_Z_EN: 0
; COMPUTE_PGM_RSRC2:TIDIG_COMP_CNT: 0
	.section	.text._ZN7rocprim17ROCPRIM_400000_NS6detail17trampoline_kernelINS0_14default_configENS1_25transform_config_selectorIdLb0EEEZNS1_14transform_implILb0ES3_S5_NS0_18transform_iteratorINS0_17counting_iteratorImlEEZNS1_24adjacent_difference_implIS3_Lb1ELb0EPdSB_N6thrust23THRUST_200600_302600_NS5minusIdEEEE10hipError_tPvRmT2_T3_mT4_P12ihipStream_tbEUlmE_dEESB_NS0_8identityIvEEEESG_SJ_SK_mSL_SN_bEUlT_E_NS1_11comp_targetILNS1_3genE2ELNS1_11target_archE906ELNS1_3gpuE6ELNS1_3repE0EEENS1_30default_config_static_selectorELNS0_4arch9wavefront6targetE0EEEvT1_,"axG",@progbits,_ZN7rocprim17ROCPRIM_400000_NS6detail17trampoline_kernelINS0_14default_configENS1_25transform_config_selectorIdLb0EEEZNS1_14transform_implILb0ES3_S5_NS0_18transform_iteratorINS0_17counting_iteratorImlEEZNS1_24adjacent_difference_implIS3_Lb1ELb0EPdSB_N6thrust23THRUST_200600_302600_NS5minusIdEEEE10hipError_tPvRmT2_T3_mT4_P12ihipStream_tbEUlmE_dEESB_NS0_8identityIvEEEESG_SJ_SK_mSL_SN_bEUlT_E_NS1_11comp_targetILNS1_3genE2ELNS1_11target_archE906ELNS1_3gpuE6ELNS1_3repE0EEENS1_30default_config_static_selectorELNS0_4arch9wavefront6targetE0EEEvT1_,comdat
	.protected	_ZN7rocprim17ROCPRIM_400000_NS6detail17trampoline_kernelINS0_14default_configENS1_25transform_config_selectorIdLb0EEEZNS1_14transform_implILb0ES3_S5_NS0_18transform_iteratorINS0_17counting_iteratorImlEEZNS1_24adjacent_difference_implIS3_Lb1ELb0EPdSB_N6thrust23THRUST_200600_302600_NS5minusIdEEEE10hipError_tPvRmT2_T3_mT4_P12ihipStream_tbEUlmE_dEESB_NS0_8identityIvEEEESG_SJ_SK_mSL_SN_bEUlT_E_NS1_11comp_targetILNS1_3genE2ELNS1_11target_archE906ELNS1_3gpuE6ELNS1_3repE0EEENS1_30default_config_static_selectorELNS0_4arch9wavefront6targetE0EEEvT1_ ; -- Begin function _ZN7rocprim17ROCPRIM_400000_NS6detail17trampoline_kernelINS0_14default_configENS1_25transform_config_selectorIdLb0EEEZNS1_14transform_implILb0ES3_S5_NS0_18transform_iteratorINS0_17counting_iteratorImlEEZNS1_24adjacent_difference_implIS3_Lb1ELb0EPdSB_N6thrust23THRUST_200600_302600_NS5minusIdEEEE10hipError_tPvRmT2_T3_mT4_P12ihipStream_tbEUlmE_dEESB_NS0_8identityIvEEEESG_SJ_SK_mSL_SN_bEUlT_E_NS1_11comp_targetILNS1_3genE2ELNS1_11target_archE906ELNS1_3gpuE6ELNS1_3repE0EEENS1_30default_config_static_selectorELNS0_4arch9wavefront6targetE0EEEvT1_
	.globl	_ZN7rocprim17ROCPRIM_400000_NS6detail17trampoline_kernelINS0_14default_configENS1_25transform_config_selectorIdLb0EEEZNS1_14transform_implILb0ES3_S5_NS0_18transform_iteratorINS0_17counting_iteratorImlEEZNS1_24adjacent_difference_implIS3_Lb1ELb0EPdSB_N6thrust23THRUST_200600_302600_NS5minusIdEEEE10hipError_tPvRmT2_T3_mT4_P12ihipStream_tbEUlmE_dEESB_NS0_8identityIvEEEESG_SJ_SK_mSL_SN_bEUlT_E_NS1_11comp_targetILNS1_3genE2ELNS1_11target_archE906ELNS1_3gpuE6ELNS1_3repE0EEENS1_30default_config_static_selectorELNS0_4arch9wavefront6targetE0EEEvT1_
	.p2align	8
	.type	_ZN7rocprim17ROCPRIM_400000_NS6detail17trampoline_kernelINS0_14default_configENS1_25transform_config_selectorIdLb0EEEZNS1_14transform_implILb0ES3_S5_NS0_18transform_iteratorINS0_17counting_iteratorImlEEZNS1_24adjacent_difference_implIS3_Lb1ELb0EPdSB_N6thrust23THRUST_200600_302600_NS5minusIdEEEE10hipError_tPvRmT2_T3_mT4_P12ihipStream_tbEUlmE_dEESB_NS0_8identityIvEEEESG_SJ_SK_mSL_SN_bEUlT_E_NS1_11comp_targetILNS1_3genE2ELNS1_11target_archE906ELNS1_3gpuE6ELNS1_3repE0EEENS1_30default_config_static_selectorELNS0_4arch9wavefront6targetE0EEEvT1_,@function
_ZN7rocprim17ROCPRIM_400000_NS6detail17trampoline_kernelINS0_14default_configENS1_25transform_config_selectorIdLb0EEEZNS1_14transform_implILb0ES3_S5_NS0_18transform_iteratorINS0_17counting_iteratorImlEEZNS1_24adjacent_difference_implIS3_Lb1ELb0EPdSB_N6thrust23THRUST_200600_302600_NS5minusIdEEEE10hipError_tPvRmT2_T3_mT4_P12ihipStream_tbEUlmE_dEESB_NS0_8identityIvEEEESG_SJ_SK_mSL_SN_bEUlT_E_NS1_11comp_targetILNS1_3genE2ELNS1_11target_archE906ELNS1_3gpuE6ELNS1_3repE0EEENS1_30default_config_static_selectorELNS0_4arch9wavefront6targetE0EEEvT1_: ; @_ZN7rocprim17ROCPRIM_400000_NS6detail17trampoline_kernelINS0_14default_configENS1_25transform_config_selectorIdLb0EEEZNS1_14transform_implILb0ES3_S5_NS0_18transform_iteratorINS0_17counting_iteratorImlEEZNS1_24adjacent_difference_implIS3_Lb1ELb0EPdSB_N6thrust23THRUST_200600_302600_NS5minusIdEEEE10hipError_tPvRmT2_T3_mT4_P12ihipStream_tbEUlmE_dEESB_NS0_8identityIvEEEESG_SJ_SK_mSL_SN_bEUlT_E_NS1_11comp_targetILNS1_3genE2ELNS1_11target_archE906ELNS1_3gpuE6ELNS1_3repE0EEENS1_30default_config_static_selectorELNS0_4arch9wavefront6targetE0EEEvT1_
; %bb.0:
	.section	.rodata,"a",@progbits
	.p2align	6, 0x0
	.amdhsa_kernel _ZN7rocprim17ROCPRIM_400000_NS6detail17trampoline_kernelINS0_14default_configENS1_25transform_config_selectorIdLb0EEEZNS1_14transform_implILb0ES3_S5_NS0_18transform_iteratorINS0_17counting_iteratorImlEEZNS1_24adjacent_difference_implIS3_Lb1ELb0EPdSB_N6thrust23THRUST_200600_302600_NS5minusIdEEEE10hipError_tPvRmT2_T3_mT4_P12ihipStream_tbEUlmE_dEESB_NS0_8identityIvEEEESG_SJ_SK_mSL_SN_bEUlT_E_NS1_11comp_targetILNS1_3genE2ELNS1_11target_archE906ELNS1_3gpuE6ELNS1_3repE0EEENS1_30default_config_static_selectorELNS0_4arch9wavefront6targetE0EEEvT1_
		.amdhsa_group_segment_fixed_size 0
		.amdhsa_private_segment_fixed_size 0
		.amdhsa_kernarg_size 56
		.amdhsa_user_sgpr_count 15
		.amdhsa_user_sgpr_dispatch_ptr 0
		.amdhsa_user_sgpr_queue_ptr 0
		.amdhsa_user_sgpr_kernarg_segment_ptr 1
		.amdhsa_user_sgpr_dispatch_id 0
		.amdhsa_user_sgpr_private_segment_size 0
		.amdhsa_wavefront_size32 1
		.amdhsa_uses_dynamic_stack 0
		.amdhsa_enable_private_segment 0
		.amdhsa_system_sgpr_workgroup_id_x 1
		.amdhsa_system_sgpr_workgroup_id_y 0
		.amdhsa_system_sgpr_workgroup_id_z 0
		.amdhsa_system_sgpr_workgroup_info 0
		.amdhsa_system_vgpr_workitem_id 0
		.amdhsa_next_free_vgpr 1
		.amdhsa_next_free_sgpr 1
		.amdhsa_reserve_vcc 0
		.amdhsa_float_round_mode_32 0
		.amdhsa_float_round_mode_16_64 0
		.amdhsa_float_denorm_mode_32 3
		.amdhsa_float_denorm_mode_16_64 3
		.amdhsa_dx10_clamp 1
		.amdhsa_ieee_mode 1
		.amdhsa_fp16_overflow 0
		.amdhsa_workgroup_processor_mode 1
		.amdhsa_memory_ordered 1
		.amdhsa_forward_progress 0
		.amdhsa_shared_vgpr_count 0
		.amdhsa_exception_fp_ieee_invalid_op 0
		.amdhsa_exception_fp_denorm_src 0
		.amdhsa_exception_fp_ieee_div_zero 0
		.amdhsa_exception_fp_ieee_overflow 0
		.amdhsa_exception_fp_ieee_underflow 0
		.amdhsa_exception_fp_ieee_inexact 0
		.amdhsa_exception_int_div_zero 0
	.end_amdhsa_kernel
	.section	.text._ZN7rocprim17ROCPRIM_400000_NS6detail17trampoline_kernelINS0_14default_configENS1_25transform_config_selectorIdLb0EEEZNS1_14transform_implILb0ES3_S5_NS0_18transform_iteratorINS0_17counting_iteratorImlEEZNS1_24adjacent_difference_implIS3_Lb1ELb0EPdSB_N6thrust23THRUST_200600_302600_NS5minusIdEEEE10hipError_tPvRmT2_T3_mT4_P12ihipStream_tbEUlmE_dEESB_NS0_8identityIvEEEESG_SJ_SK_mSL_SN_bEUlT_E_NS1_11comp_targetILNS1_3genE2ELNS1_11target_archE906ELNS1_3gpuE6ELNS1_3repE0EEENS1_30default_config_static_selectorELNS0_4arch9wavefront6targetE0EEEvT1_,"axG",@progbits,_ZN7rocprim17ROCPRIM_400000_NS6detail17trampoline_kernelINS0_14default_configENS1_25transform_config_selectorIdLb0EEEZNS1_14transform_implILb0ES3_S5_NS0_18transform_iteratorINS0_17counting_iteratorImlEEZNS1_24adjacent_difference_implIS3_Lb1ELb0EPdSB_N6thrust23THRUST_200600_302600_NS5minusIdEEEE10hipError_tPvRmT2_T3_mT4_P12ihipStream_tbEUlmE_dEESB_NS0_8identityIvEEEESG_SJ_SK_mSL_SN_bEUlT_E_NS1_11comp_targetILNS1_3genE2ELNS1_11target_archE906ELNS1_3gpuE6ELNS1_3repE0EEENS1_30default_config_static_selectorELNS0_4arch9wavefront6targetE0EEEvT1_,comdat
.Lfunc_end14:
	.size	_ZN7rocprim17ROCPRIM_400000_NS6detail17trampoline_kernelINS0_14default_configENS1_25transform_config_selectorIdLb0EEEZNS1_14transform_implILb0ES3_S5_NS0_18transform_iteratorINS0_17counting_iteratorImlEEZNS1_24adjacent_difference_implIS3_Lb1ELb0EPdSB_N6thrust23THRUST_200600_302600_NS5minusIdEEEE10hipError_tPvRmT2_T3_mT4_P12ihipStream_tbEUlmE_dEESB_NS0_8identityIvEEEESG_SJ_SK_mSL_SN_bEUlT_E_NS1_11comp_targetILNS1_3genE2ELNS1_11target_archE906ELNS1_3gpuE6ELNS1_3repE0EEENS1_30default_config_static_selectorELNS0_4arch9wavefront6targetE0EEEvT1_, .Lfunc_end14-_ZN7rocprim17ROCPRIM_400000_NS6detail17trampoline_kernelINS0_14default_configENS1_25transform_config_selectorIdLb0EEEZNS1_14transform_implILb0ES3_S5_NS0_18transform_iteratorINS0_17counting_iteratorImlEEZNS1_24adjacent_difference_implIS3_Lb1ELb0EPdSB_N6thrust23THRUST_200600_302600_NS5minusIdEEEE10hipError_tPvRmT2_T3_mT4_P12ihipStream_tbEUlmE_dEESB_NS0_8identityIvEEEESG_SJ_SK_mSL_SN_bEUlT_E_NS1_11comp_targetILNS1_3genE2ELNS1_11target_archE906ELNS1_3gpuE6ELNS1_3repE0EEENS1_30default_config_static_selectorELNS0_4arch9wavefront6targetE0EEEvT1_
                                        ; -- End function
	.section	.AMDGPU.csdata,"",@progbits
; Kernel info:
; codeLenInByte = 0
; NumSgprs: 0
; NumVgprs: 0
; ScratchSize: 0
; MemoryBound: 0
; FloatMode: 240
; IeeeMode: 1
; LDSByteSize: 0 bytes/workgroup (compile time only)
; SGPRBlocks: 0
; VGPRBlocks: 0
; NumSGPRsForWavesPerEU: 1
; NumVGPRsForWavesPerEU: 1
; Occupancy: 16
; WaveLimiterHint : 0
; COMPUTE_PGM_RSRC2:SCRATCH_EN: 0
; COMPUTE_PGM_RSRC2:USER_SGPR: 15
; COMPUTE_PGM_RSRC2:TRAP_HANDLER: 0
; COMPUTE_PGM_RSRC2:TGID_X_EN: 1
; COMPUTE_PGM_RSRC2:TGID_Y_EN: 0
; COMPUTE_PGM_RSRC2:TGID_Z_EN: 0
; COMPUTE_PGM_RSRC2:TIDIG_COMP_CNT: 0
	.section	.text._ZN7rocprim17ROCPRIM_400000_NS6detail17trampoline_kernelINS0_14default_configENS1_25transform_config_selectorIdLb0EEEZNS1_14transform_implILb0ES3_S5_NS0_18transform_iteratorINS0_17counting_iteratorImlEEZNS1_24adjacent_difference_implIS3_Lb1ELb0EPdSB_N6thrust23THRUST_200600_302600_NS5minusIdEEEE10hipError_tPvRmT2_T3_mT4_P12ihipStream_tbEUlmE_dEESB_NS0_8identityIvEEEESG_SJ_SK_mSL_SN_bEUlT_E_NS1_11comp_targetILNS1_3genE10ELNS1_11target_archE1201ELNS1_3gpuE5ELNS1_3repE0EEENS1_30default_config_static_selectorELNS0_4arch9wavefront6targetE0EEEvT1_,"axG",@progbits,_ZN7rocprim17ROCPRIM_400000_NS6detail17trampoline_kernelINS0_14default_configENS1_25transform_config_selectorIdLb0EEEZNS1_14transform_implILb0ES3_S5_NS0_18transform_iteratorINS0_17counting_iteratorImlEEZNS1_24adjacent_difference_implIS3_Lb1ELb0EPdSB_N6thrust23THRUST_200600_302600_NS5minusIdEEEE10hipError_tPvRmT2_T3_mT4_P12ihipStream_tbEUlmE_dEESB_NS0_8identityIvEEEESG_SJ_SK_mSL_SN_bEUlT_E_NS1_11comp_targetILNS1_3genE10ELNS1_11target_archE1201ELNS1_3gpuE5ELNS1_3repE0EEENS1_30default_config_static_selectorELNS0_4arch9wavefront6targetE0EEEvT1_,comdat
	.protected	_ZN7rocprim17ROCPRIM_400000_NS6detail17trampoline_kernelINS0_14default_configENS1_25transform_config_selectorIdLb0EEEZNS1_14transform_implILb0ES3_S5_NS0_18transform_iteratorINS0_17counting_iteratorImlEEZNS1_24adjacent_difference_implIS3_Lb1ELb0EPdSB_N6thrust23THRUST_200600_302600_NS5minusIdEEEE10hipError_tPvRmT2_T3_mT4_P12ihipStream_tbEUlmE_dEESB_NS0_8identityIvEEEESG_SJ_SK_mSL_SN_bEUlT_E_NS1_11comp_targetILNS1_3genE10ELNS1_11target_archE1201ELNS1_3gpuE5ELNS1_3repE0EEENS1_30default_config_static_selectorELNS0_4arch9wavefront6targetE0EEEvT1_ ; -- Begin function _ZN7rocprim17ROCPRIM_400000_NS6detail17trampoline_kernelINS0_14default_configENS1_25transform_config_selectorIdLb0EEEZNS1_14transform_implILb0ES3_S5_NS0_18transform_iteratorINS0_17counting_iteratorImlEEZNS1_24adjacent_difference_implIS3_Lb1ELb0EPdSB_N6thrust23THRUST_200600_302600_NS5minusIdEEEE10hipError_tPvRmT2_T3_mT4_P12ihipStream_tbEUlmE_dEESB_NS0_8identityIvEEEESG_SJ_SK_mSL_SN_bEUlT_E_NS1_11comp_targetILNS1_3genE10ELNS1_11target_archE1201ELNS1_3gpuE5ELNS1_3repE0EEENS1_30default_config_static_selectorELNS0_4arch9wavefront6targetE0EEEvT1_
	.globl	_ZN7rocprim17ROCPRIM_400000_NS6detail17trampoline_kernelINS0_14default_configENS1_25transform_config_selectorIdLb0EEEZNS1_14transform_implILb0ES3_S5_NS0_18transform_iteratorINS0_17counting_iteratorImlEEZNS1_24adjacent_difference_implIS3_Lb1ELb0EPdSB_N6thrust23THRUST_200600_302600_NS5minusIdEEEE10hipError_tPvRmT2_T3_mT4_P12ihipStream_tbEUlmE_dEESB_NS0_8identityIvEEEESG_SJ_SK_mSL_SN_bEUlT_E_NS1_11comp_targetILNS1_3genE10ELNS1_11target_archE1201ELNS1_3gpuE5ELNS1_3repE0EEENS1_30default_config_static_selectorELNS0_4arch9wavefront6targetE0EEEvT1_
	.p2align	8
	.type	_ZN7rocprim17ROCPRIM_400000_NS6detail17trampoline_kernelINS0_14default_configENS1_25transform_config_selectorIdLb0EEEZNS1_14transform_implILb0ES3_S5_NS0_18transform_iteratorINS0_17counting_iteratorImlEEZNS1_24adjacent_difference_implIS3_Lb1ELb0EPdSB_N6thrust23THRUST_200600_302600_NS5minusIdEEEE10hipError_tPvRmT2_T3_mT4_P12ihipStream_tbEUlmE_dEESB_NS0_8identityIvEEEESG_SJ_SK_mSL_SN_bEUlT_E_NS1_11comp_targetILNS1_3genE10ELNS1_11target_archE1201ELNS1_3gpuE5ELNS1_3repE0EEENS1_30default_config_static_selectorELNS0_4arch9wavefront6targetE0EEEvT1_,@function
_ZN7rocprim17ROCPRIM_400000_NS6detail17trampoline_kernelINS0_14default_configENS1_25transform_config_selectorIdLb0EEEZNS1_14transform_implILb0ES3_S5_NS0_18transform_iteratorINS0_17counting_iteratorImlEEZNS1_24adjacent_difference_implIS3_Lb1ELb0EPdSB_N6thrust23THRUST_200600_302600_NS5minusIdEEEE10hipError_tPvRmT2_T3_mT4_P12ihipStream_tbEUlmE_dEESB_NS0_8identityIvEEEESG_SJ_SK_mSL_SN_bEUlT_E_NS1_11comp_targetILNS1_3genE10ELNS1_11target_archE1201ELNS1_3gpuE5ELNS1_3repE0EEENS1_30default_config_static_selectorELNS0_4arch9wavefront6targetE0EEEvT1_: ; @_ZN7rocprim17ROCPRIM_400000_NS6detail17trampoline_kernelINS0_14default_configENS1_25transform_config_selectorIdLb0EEEZNS1_14transform_implILb0ES3_S5_NS0_18transform_iteratorINS0_17counting_iteratorImlEEZNS1_24adjacent_difference_implIS3_Lb1ELb0EPdSB_N6thrust23THRUST_200600_302600_NS5minusIdEEEE10hipError_tPvRmT2_T3_mT4_P12ihipStream_tbEUlmE_dEESB_NS0_8identityIvEEEESG_SJ_SK_mSL_SN_bEUlT_E_NS1_11comp_targetILNS1_3genE10ELNS1_11target_archE1201ELNS1_3gpuE5ELNS1_3repE0EEENS1_30default_config_static_selectorELNS0_4arch9wavefront6targetE0EEEvT1_
; %bb.0:
	.section	.rodata,"a",@progbits
	.p2align	6, 0x0
	.amdhsa_kernel _ZN7rocprim17ROCPRIM_400000_NS6detail17trampoline_kernelINS0_14default_configENS1_25transform_config_selectorIdLb0EEEZNS1_14transform_implILb0ES3_S5_NS0_18transform_iteratorINS0_17counting_iteratorImlEEZNS1_24adjacent_difference_implIS3_Lb1ELb0EPdSB_N6thrust23THRUST_200600_302600_NS5minusIdEEEE10hipError_tPvRmT2_T3_mT4_P12ihipStream_tbEUlmE_dEESB_NS0_8identityIvEEEESG_SJ_SK_mSL_SN_bEUlT_E_NS1_11comp_targetILNS1_3genE10ELNS1_11target_archE1201ELNS1_3gpuE5ELNS1_3repE0EEENS1_30default_config_static_selectorELNS0_4arch9wavefront6targetE0EEEvT1_
		.amdhsa_group_segment_fixed_size 0
		.amdhsa_private_segment_fixed_size 0
		.amdhsa_kernarg_size 56
		.amdhsa_user_sgpr_count 15
		.amdhsa_user_sgpr_dispatch_ptr 0
		.amdhsa_user_sgpr_queue_ptr 0
		.amdhsa_user_sgpr_kernarg_segment_ptr 1
		.amdhsa_user_sgpr_dispatch_id 0
		.amdhsa_user_sgpr_private_segment_size 0
		.amdhsa_wavefront_size32 1
		.amdhsa_uses_dynamic_stack 0
		.amdhsa_enable_private_segment 0
		.amdhsa_system_sgpr_workgroup_id_x 1
		.amdhsa_system_sgpr_workgroup_id_y 0
		.amdhsa_system_sgpr_workgroup_id_z 0
		.amdhsa_system_sgpr_workgroup_info 0
		.amdhsa_system_vgpr_workitem_id 0
		.amdhsa_next_free_vgpr 1
		.amdhsa_next_free_sgpr 1
		.amdhsa_reserve_vcc 0
		.amdhsa_float_round_mode_32 0
		.amdhsa_float_round_mode_16_64 0
		.amdhsa_float_denorm_mode_32 3
		.amdhsa_float_denorm_mode_16_64 3
		.amdhsa_dx10_clamp 1
		.amdhsa_ieee_mode 1
		.amdhsa_fp16_overflow 0
		.amdhsa_workgroup_processor_mode 1
		.amdhsa_memory_ordered 1
		.amdhsa_forward_progress 0
		.amdhsa_shared_vgpr_count 0
		.amdhsa_exception_fp_ieee_invalid_op 0
		.amdhsa_exception_fp_denorm_src 0
		.amdhsa_exception_fp_ieee_div_zero 0
		.amdhsa_exception_fp_ieee_overflow 0
		.amdhsa_exception_fp_ieee_underflow 0
		.amdhsa_exception_fp_ieee_inexact 0
		.amdhsa_exception_int_div_zero 0
	.end_amdhsa_kernel
	.section	.text._ZN7rocprim17ROCPRIM_400000_NS6detail17trampoline_kernelINS0_14default_configENS1_25transform_config_selectorIdLb0EEEZNS1_14transform_implILb0ES3_S5_NS0_18transform_iteratorINS0_17counting_iteratorImlEEZNS1_24adjacent_difference_implIS3_Lb1ELb0EPdSB_N6thrust23THRUST_200600_302600_NS5minusIdEEEE10hipError_tPvRmT2_T3_mT4_P12ihipStream_tbEUlmE_dEESB_NS0_8identityIvEEEESG_SJ_SK_mSL_SN_bEUlT_E_NS1_11comp_targetILNS1_3genE10ELNS1_11target_archE1201ELNS1_3gpuE5ELNS1_3repE0EEENS1_30default_config_static_selectorELNS0_4arch9wavefront6targetE0EEEvT1_,"axG",@progbits,_ZN7rocprim17ROCPRIM_400000_NS6detail17trampoline_kernelINS0_14default_configENS1_25transform_config_selectorIdLb0EEEZNS1_14transform_implILb0ES3_S5_NS0_18transform_iteratorINS0_17counting_iteratorImlEEZNS1_24adjacent_difference_implIS3_Lb1ELb0EPdSB_N6thrust23THRUST_200600_302600_NS5minusIdEEEE10hipError_tPvRmT2_T3_mT4_P12ihipStream_tbEUlmE_dEESB_NS0_8identityIvEEEESG_SJ_SK_mSL_SN_bEUlT_E_NS1_11comp_targetILNS1_3genE10ELNS1_11target_archE1201ELNS1_3gpuE5ELNS1_3repE0EEENS1_30default_config_static_selectorELNS0_4arch9wavefront6targetE0EEEvT1_,comdat
.Lfunc_end15:
	.size	_ZN7rocprim17ROCPRIM_400000_NS6detail17trampoline_kernelINS0_14default_configENS1_25transform_config_selectorIdLb0EEEZNS1_14transform_implILb0ES3_S5_NS0_18transform_iteratorINS0_17counting_iteratorImlEEZNS1_24adjacent_difference_implIS3_Lb1ELb0EPdSB_N6thrust23THRUST_200600_302600_NS5minusIdEEEE10hipError_tPvRmT2_T3_mT4_P12ihipStream_tbEUlmE_dEESB_NS0_8identityIvEEEESG_SJ_SK_mSL_SN_bEUlT_E_NS1_11comp_targetILNS1_3genE10ELNS1_11target_archE1201ELNS1_3gpuE5ELNS1_3repE0EEENS1_30default_config_static_selectorELNS0_4arch9wavefront6targetE0EEEvT1_, .Lfunc_end15-_ZN7rocprim17ROCPRIM_400000_NS6detail17trampoline_kernelINS0_14default_configENS1_25transform_config_selectorIdLb0EEEZNS1_14transform_implILb0ES3_S5_NS0_18transform_iteratorINS0_17counting_iteratorImlEEZNS1_24adjacent_difference_implIS3_Lb1ELb0EPdSB_N6thrust23THRUST_200600_302600_NS5minusIdEEEE10hipError_tPvRmT2_T3_mT4_P12ihipStream_tbEUlmE_dEESB_NS0_8identityIvEEEESG_SJ_SK_mSL_SN_bEUlT_E_NS1_11comp_targetILNS1_3genE10ELNS1_11target_archE1201ELNS1_3gpuE5ELNS1_3repE0EEENS1_30default_config_static_selectorELNS0_4arch9wavefront6targetE0EEEvT1_
                                        ; -- End function
	.section	.AMDGPU.csdata,"",@progbits
; Kernel info:
; codeLenInByte = 0
; NumSgprs: 0
; NumVgprs: 0
; ScratchSize: 0
; MemoryBound: 0
; FloatMode: 240
; IeeeMode: 1
; LDSByteSize: 0 bytes/workgroup (compile time only)
; SGPRBlocks: 0
; VGPRBlocks: 0
; NumSGPRsForWavesPerEU: 1
; NumVGPRsForWavesPerEU: 1
; Occupancy: 16
; WaveLimiterHint : 0
; COMPUTE_PGM_RSRC2:SCRATCH_EN: 0
; COMPUTE_PGM_RSRC2:USER_SGPR: 15
; COMPUTE_PGM_RSRC2:TRAP_HANDLER: 0
; COMPUTE_PGM_RSRC2:TGID_X_EN: 1
; COMPUTE_PGM_RSRC2:TGID_Y_EN: 0
; COMPUTE_PGM_RSRC2:TGID_Z_EN: 0
; COMPUTE_PGM_RSRC2:TIDIG_COMP_CNT: 0
	.section	.text._ZN7rocprim17ROCPRIM_400000_NS6detail17trampoline_kernelINS0_14default_configENS1_25transform_config_selectorIdLb0EEEZNS1_14transform_implILb0ES3_S5_NS0_18transform_iteratorINS0_17counting_iteratorImlEEZNS1_24adjacent_difference_implIS3_Lb1ELb0EPdSB_N6thrust23THRUST_200600_302600_NS5minusIdEEEE10hipError_tPvRmT2_T3_mT4_P12ihipStream_tbEUlmE_dEESB_NS0_8identityIvEEEESG_SJ_SK_mSL_SN_bEUlT_E_NS1_11comp_targetILNS1_3genE10ELNS1_11target_archE1200ELNS1_3gpuE4ELNS1_3repE0EEENS1_30default_config_static_selectorELNS0_4arch9wavefront6targetE0EEEvT1_,"axG",@progbits,_ZN7rocprim17ROCPRIM_400000_NS6detail17trampoline_kernelINS0_14default_configENS1_25transform_config_selectorIdLb0EEEZNS1_14transform_implILb0ES3_S5_NS0_18transform_iteratorINS0_17counting_iteratorImlEEZNS1_24adjacent_difference_implIS3_Lb1ELb0EPdSB_N6thrust23THRUST_200600_302600_NS5minusIdEEEE10hipError_tPvRmT2_T3_mT4_P12ihipStream_tbEUlmE_dEESB_NS0_8identityIvEEEESG_SJ_SK_mSL_SN_bEUlT_E_NS1_11comp_targetILNS1_3genE10ELNS1_11target_archE1200ELNS1_3gpuE4ELNS1_3repE0EEENS1_30default_config_static_selectorELNS0_4arch9wavefront6targetE0EEEvT1_,comdat
	.protected	_ZN7rocprim17ROCPRIM_400000_NS6detail17trampoline_kernelINS0_14default_configENS1_25transform_config_selectorIdLb0EEEZNS1_14transform_implILb0ES3_S5_NS0_18transform_iteratorINS0_17counting_iteratorImlEEZNS1_24adjacent_difference_implIS3_Lb1ELb0EPdSB_N6thrust23THRUST_200600_302600_NS5minusIdEEEE10hipError_tPvRmT2_T3_mT4_P12ihipStream_tbEUlmE_dEESB_NS0_8identityIvEEEESG_SJ_SK_mSL_SN_bEUlT_E_NS1_11comp_targetILNS1_3genE10ELNS1_11target_archE1200ELNS1_3gpuE4ELNS1_3repE0EEENS1_30default_config_static_selectorELNS0_4arch9wavefront6targetE0EEEvT1_ ; -- Begin function _ZN7rocprim17ROCPRIM_400000_NS6detail17trampoline_kernelINS0_14default_configENS1_25transform_config_selectorIdLb0EEEZNS1_14transform_implILb0ES3_S5_NS0_18transform_iteratorINS0_17counting_iteratorImlEEZNS1_24adjacent_difference_implIS3_Lb1ELb0EPdSB_N6thrust23THRUST_200600_302600_NS5minusIdEEEE10hipError_tPvRmT2_T3_mT4_P12ihipStream_tbEUlmE_dEESB_NS0_8identityIvEEEESG_SJ_SK_mSL_SN_bEUlT_E_NS1_11comp_targetILNS1_3genE10ELNS1_11target_archE1200ELNS1_3gpuE4ELNS1_3repE0EEENS1_30default_config_static_selectorELNS0_4arch9wavefront6targetE0EEEvT1_
	.globl	_ZN7rocprim17ROCPRIM_400000_NS6detail17trampoline_kernelINS0_14default_configENS1_25transform_config_selectorIdLb0EEEZNS1_14transform_implILb0ES3_S5_NS0_18transform_iteratorINS0_17counting_iteratorImlEEZNS1_24adjacent_difference_implIS3_Lb1ELb0EPdSB_N6thrust23THRUST_200600_302600_NS5minusIdEEEE10hipError_tPvRmT2_T3_mT4_P12ihipStream_tbEUlmE_dEESB_NS0_8identityIvEEEESG_SJ_SK_mSL_SN_bEUlT_E_NS1_11comp_targetILNS1_3genE10ELNS1_11target_archE1200ELNS1_3gpuE4ELNS1_3repE0EEENS1_30default_config_static_selectorELNS0_4arch9wavefront6targetE0EEEvT1_
	.p2align	8
	.type	_ZN7rocprim17ROCPRIM_400000_NS6detail17trampoline_kernelINS0_14default_configENS1_25transform_config_selectorIdLb0EEEZNS1_14transform_implILb0ES3_S5_NS0_18transform_iteratorINS0_17counting_iteratorImlEEZNS1_24adjacent_difference_implIS3_Lb1ELb0EPdSB_N6thrust23THRUST_200600_302600_NS5minusIdEEEE10hipError_tPvRmT2_T3_mT4_P12ihipStream_tbEUlmE_dEESB_NS0_8identityIvEEEESG_SJ_SK_mSL_SN_bEUlT_E_NS1_11comp_targetILNS1_3genE10ELNS1_11target_archE1200ELNS1_3gpuE4ELNS1_3repE0EEENS1_30default_config_static_selectorELNS0_4arch9wavefront6targetE0EEEvT1_,@function
_ZN7rocprim17ROCPRIM_400000_NS6detail17trampoline_kernelINS0_14default_configENS1_25transform_config_selectorIdLb0EEEZNS1_14transform_implILb0ES3_S5_NS0_18transform_iteratorINS0_17counting_iteratorImlEEZNS1_24adjacent_difference_implIS3_Lb1ELb0EPdSB_N6thrust23THRUST_200600_302600_NS5minusIdEEEE10hipError_tPvRmT2_T3_mT4_P12ihipStream_tbEUlmE_dEESB_NS0_8identityIvEEEESG_SJ_SK_mSL_SN_bEUlT_E_NS1_11comp_targetILNS1_3genE10ELNS1_11target_archE1200ELNS1_3gpuE4ELNS1_3repE0EEENS1_30default_config_static_selectorELNS0_4arch9wavefront6targetE0EEEvT1_: ; @_ZN7rocprim17ROCPRIM_400000_NS6detail17trampoline_kernelINS0_14default_configENS1_25transform_config_selectorIdLb0EEEZNS1_14transform_implILb0ES3_S5_NS0_18transform_iteratorINS0_17counting_iteratorImlEEZNS1_24adjacent_difference_implIS3_Lb1ELb0EPdSB_N6thrust23THRUST_200600_302600_NS5minusIdEEEE10hipError_tPvRmT2_T3_mT4_P12ihipStream_tbEUlmE_dEESB_NS0_8identityIvEEEESG_SJ_SK_mSL_SN_bEUlT_E_NS1_11comp_targetILNS1_3genE10ELNS1_11target_archE1200ELNS1_3gpuE4ELNS1_3repE0EEENS1_30default_config_static_selectorELNS0_4arch9wavefront6targetE0EEEvT1_
; %bb.0:
	.section	.rodata,"a",@progbits
	.p2align	6, 0x0
	.amdhsa_kernel _ZN7rocprim17ROCPRIM_400000_NS6detail17trampoline_kernelINS0_14default_configENS1_25transform_config_selectorIdLb0EEEZNS1_14transform_implILb0ES3_S5_NS0_18transform_iteratorINS0_17counting_iteratorImlEEZNS1_24adjacent_difference_implIS3_Lb1ELb0EPdSB_N6thrust23THRUST_200600_302600_NS5minusIdEEEE10hipError_tPvRmT2_T3_mT4_P12ihipStream_tbEUlmE_dEESB_NS0_8identityIvEEEESG_SJ_SK_mSL_SN_bEUlT_E_NS1_11comp_targetILNS1_3genE10ELNS1_11target_archE1200ELNS1_3gpuE4ELNS1_3repE0EEENS1_30default_config_static_selectorELNS0_4arch9wavefront6targetE0EEEvT1_
		.amdhsa_group_segment_fixed_size 0
		.amdhsa_private_segment_fixed_size 0
		.amdhsa_kernarg_size 56
		.amdhsa_user_sgpr_count 15
		.amdhsa_user_sgpr_dispatch_ptr 0
		.amdhsa_user_sgpr_queue_ptr 0
		.amdhsa_user_sgpr_kernarg_segment_ptr 1
		.amdhsa_user_sgpr_dispatch_id 0
		.amdhsa_user_sgpr_private_segment_size 0
		.amdhsa_wavefront_size32 1
		.amdhsa_uses_dynamic_stack 0
		.amdhsa_enable_private_segment 0
		.amdhsa_system_sgpr_workgroup_id_x 1
		.amdhsa_system_sgpr_workgroup_id_y 0
		.amdhsa_system_sgpr_workgroup_id_z 0
		.amdhsa_system_sgpr_workgroup_info 0
		.amdhsa_system_vgpr_workitem_id 0
		.amdhsa_next_free_vgpr 1
		.amdhsa_next_free_sgpr 1
		.amdhsa_reserve_vcc 0
		.amdhsa_float_round_mode_32 0
		.amdhsa_float_round_mode_16_64 0
		.amdhsa_float_denorm_mode_32 3
		.amdhsa_float_denorm_mode_16_64 3
		.amdhsa_dx10_clamp 1
		.amdhsa_ieee_mode 1
		.amdhsa_fp16_overflow 0
		.amdhsa_workgroup_processor_mode 1
		.amdhsa_memory_ordered 1
		.amdhsa_forward_progress 0
		.amdhsa_shared_vgpr_count 0
		.amdhsa_exception_fp_ieee_invalid_op 0
		.amdhsa_exception_fp_denorm_src 0
		.amdhsa_exception_fp_ieee_div_zero 0
		.amdhsa_exception_fp_ieee_overflow 0
		.amdhsa_exception_fp_ieee_underflow 0
		.amdhsa_exception_fp_ieee_inexact 0
		.amdhsa_exception_int_div_zero 0
	.end_amdhsa_kernel
	.section	.text._ZN7rocprim17ROCPRIM_400000_NS6detail17trampoline_kernelINS0_14default_configENS1_25transform_config_selectorIdLb0EEEZNS1_14transform_implILb0ES3_S5_NS0_18transform_iteratorINS0_17counting_iteratorImlEEZNS1_24adjacent_difference_implIS3_Lb1ELb0EPdSB_N6thrust23THRUST_200600_302600_NS5minusIdEEEE10hipError_tPvRmT2_T3_mT4_P12ihipStream_tbEUlmE_dEESB_NS0_8identityIvEEEESG_SJ_SK_mSL_SN_bEUlT_E_NS1_11comp_targetILNS1_3genE10ELNS1_11target_archE1200ELNS1_3gpuE4ELNS1_3repE0EEENS1_30default_config_static_selectorELNS0_4arch9wavefront6targetE0EEEvT1_,"axG",@progbits,_ZN7rocprim17ROCPRIM_400000_NS6detail17trampoline_kernelINS0_14default_configENS1_25transform_config_selectorIdLb0EEEZNS1_14transform_implILb0ES3_S5_NS0_18transform_iteratorINS0_17counting_iteratorImlEEZNS1_24adjacent_difference_implIS3_Lb1ELb0EPdSB_N6thrust23THRUST_200600_302600_NS5minusIdEEEE10hipError_tPvRmT2_T3_mT4_P12ihipStream_tbEUlmE_dEESB_NS0_8identityIvEEEESG_SJ_SK_mSL_SN_bEUlT_E_NS1_11comp_targetILNS1_3genE10ELNS1_11target_archE1200ELNS1_3gpuE4ELNS1_3repE0EEENS1_30default_config_static_selectorELNS0_4arch9wavefront6targetE0EEEvT1_,comdat
.Lfunc_end16:
	.size	_ZN7rocprim17ROCPRIM_400000_NS6detail17trampoline_kernelINS0_14default_configENS1_25transform_config_selectorIdLb0EEEZNS1_14transform_implILb0ES3_S5_NS0_18transform_iteratorINS0_17counting_iteratorImlEEZNS1_24adjacent_difference_implIS3_Lb1ELb0EPdSB_N6thrust23THRUST_200600_302600_NS5minusIdEEEE10hipError_tPvRmT2_T3_mT4_P12ihipStream_tbEUlmE_dEESB_NS0_8identityIvEEEESG_SJ_SK_mSL_SN_bEUlT_E_NS1_11comp_targetILNS1_3genE10ELNS1_11target_archE1200ELNS1_3gpuE4ELNS1_3repE0EEENS1_30default_config_static_selectorELNS0_4arch9wavefront6targetE0EEEvT1_, .Lfunc_end16-_ZN7rocprim17ROCPRIM_400000_NS6detail17trampoline_kernelINS0_14default_configENS1_25transform_config_selectorIdLb0EEEZNS1_14transform_implILb0ES3_S5_NS0_18transform_iteratorINS0_17counting_iteratorImlEEZNS1_24adjacent_difference_implIS3_Lb1ELb0EPdSB_N6thrust23THRUST_200600_302600_NS5minusIdEEEE10hipError_tPvRmT2_T3_mT4_P12ihipStream_tbEUlmE_dEESB_NS0_8identityIvEEEESG_SJ_SK_mSL_SN_bEUlT_E_NS1_11comp_targetILNS1_3genE10ELNS1_11target_archE1200ELNS1_3gpuE4ELNS1_3repE0EEENS1_30default_config_static_selectorELNS0_4arch9wavefront6targetE0EEEvT1_
                                        ; -- End function
	.section	.AMDGPU.csdata,"",@progbits
; Kernel info:
; codeLenInByte = 0
; NumSgprs: 0
; NumVgprs: 0
; ScratchSize: 0
; MemoryBound: 0
; FloatMode: 240
; IeeeMode: 1
; LDSByteSize: 0 bytes/workgroup (compile time only)
; SGPRBlocks: 0
; VGPRBlocks: 0
; NumSGPRsForWavesPerEU: 1
; NumVGPRsForWavesPerEU: 1
; Occupancy: 16
; WaveLimiterHint : 0
; COMPUTE_PGM_RSRC2:SCRATCH_EN: 0
; COMPUTE_PGM_RSRC2:USER_SGPR: 15
; COMPUTE_PGM_RSRC2:TRAP_HANDLER: 0
; COMPUTE_PGM_RSRC2:TGID_X_EN: 1
; COMPUTE_PGM_RSRC2:TGID_Y_EN: 0
; COMPUTE_PGM_RSRC2:TGID_Z_EN: 0
; COMPUTE_PGM_RSRC2:TIDIG_COMP_CNT: 0
	.section	.text._ZN7rocprim17ROCPRIM_400000_NS6detail17trampoline_kernelINS0_14default_configENS1_25transform_config_selectorIdLb0EEEZNS1_14transform_implILb0ES3_S5_NS0_18transform_iteratorINS0_17counting_iteratorImlEEZNS1_24adjacent_difference_implIS3_Lb1ELb0EPdSB_N6thrust23THRUST_200600_302600_NS5minusIdEEEE10hipError_tPvRmT2_T3_mT4_P12ihipStream_tbEUlmE_dEESB_NS0_8identityIvEEEESG_SJ_SK_mSL_SN_bEUlT_E_NS1_11comp_targetILNS1_3genE9ELNS1_11target_archE1100ELNS1_3gpuE3ELNS1_3repE0EEENS1_30default_config_static_selectorELNS0_4arch9wavefront6targetE0EEEvT1_,"axG",@progbits,_ZN7rocprim17ROCPRIM_400000_NS6detail17trampoline_kernelINS0_14default_configENS1_25transform_config_selectorIdLb0EEEZNS1_14transform_implILb0ES3_S5_NS0_18transform_iteratorINS0_17counting_iteratorImlEEZNS1_24adjacent_difference_implIS3_Lb1ELb0EPdSB_N6thrust23THRUST_200600_302600_NS5minusIdEEEE10hipError_tPvRmT2_T3_mT4_P12ihipStream_tbEUlmE_dEESB_NS0_8identityIvEEEESG_SJ_SK_mSL_SN_bEUlT_E_NS1_11comp_targetILNS1_3genE9ELNS1_11target_archE1100ELNS1_3gpuE3ELNS1_3repE0EEENS1_30default_config_static_selectorELNS0_4arch9wavefront6targetE0EEEvT1_,comdat
	.protected	_ZN7rocprim17ROCPRIM_400000_NS6detail17trampoline_kernelINS0_14default_configENS1_25transform_config_selectorIdLb0EEEZNS1_14transform_implILb0ES3_S5_NS0_18transform_iteratorINS0_17counting_iteratorImlEEZNS1_24adjacent_difference_implIS3_Lb1ELb0EPdSB_N6thrust23THRUST_200600_302600_NS5minusIdEEEE10hipError_tPvRmT2_T3_mT4_P12ihipStream_tbEUlmE_dEESB_NS0_8identityIvEEEESG_SJ_SK_mSL_SN_bEUlT_E_NS1_11comp_targetILNS1_3genE9ELNS1_11target_archE1100ELNS1_3gpuE3ELNS1_3repE0EEENS1_30default_config_static_selectorELNS0_4arch9wavefront6targetE0EEEvT1_ ; -- Begin function _ZN7rocprim17ROCPRIM_400000_NS6detail17trampoline_kernelINS0_14default_configENS1_25transform_config_selectorIdLb0EEEZNS1_14transform_implILb0ES3_S5_NS0_18transform_iteratorINS0_17counting_iteratorImlEEZNS1_24adjacent_difference_implIS3_Lb1ELb0EPdSB_N6thrust23THRUST_200600_302600_NS5minusIdEEEE10hipError_tPvRmT2_T3_mT4_P12ihipStream_tbEUlmE_dEESB_NS0_8identityIvEEEESG_SJ_SK_mSL_SN_bEUlT_E_NS1_11comp_targetILNS1_3genE9ELNS1_11target_archE1100ELNS1_3gpuE3ELNS1_3repE0EEENS1_30default_config_static_selectorELNS0_4arch9wavefront6targetE0EEEvT1_
	.globl	_ZN7rocprim17ROCPRIM_400000_NS6detail17trampoline_kernelINS0_14default_configENS1_25transform_config_selectorIdLb0EEEZNS1_14transform_implILb0ES3_S5_NS0_18transform_iteratorINS0_17counting_iteratorImlEEZNS1_24adjacent_difference_implIS3_Lb1ELb0EPdSB_N6thrust23THRUST_200600_302600_NS5minusIdEEEE10hipError_tPvRmT2_T3_mT4_P12ihipStream_tbEUlmE_dEESB_NS0_8identityIvEEEESG_SJ_SK_mSL_SN_bEUlT_E_NS1_11comp_targetILNS1_3genE9ELNS1_11target_archE1100ELNS1_3gpuE3ELNS1_3repE0EEENS1_30default_config_static_selectorELNS0_4arch9wavefront6targetE0EEEvT1_
	.p2align	8
	.type	_ZN7rocprim17ROCPRIM_400000_NS6detail17trampoline_kernelINS0_14default_configENS1_25transform_config_selectorIdLb0EEEZNS1_14transform_implILb0ES3_S5_NS0_18transform_iteratorINS0_17counting_iteratorImlEEZNS1_24adjacent_difference_implIS3_Lb1ELb0EPdSB_N6thrust23THRUST_200600_302600_NS5minusIdEEEE10hipError_tPvRmT2_T3_mT4_P12ihipStream_tbEUlmE_dEESB_NS0_8identityIvEEEESG_SJ_SK_mSL_SN_bEUlT_E_NS1_11comp_targetILNS1_3genE9ELNS1_11target_archE1100ELNS1_3gpuE3ELNS1_3repE0EEENS1_30default_config_static_selectorELNS0_4arch9wavefront6targetE0EEEvT1_,@function
_ZN7rocprim17ROCPRIM_400000_NS6detail17trampoline_kernelINS0_14default_configENS1_25transform_config_selectorIdLb0EEEZNS1_14transform_implILb0ES3_S5_NS0_18transform_iteratorINS0_17counting_iteratorImlEEZNS1_24adjacent_difference_implIS3_Lb1ELb0EPdSB_N6thrust23THRUST_200600_302600_NS5minusIdEEEE10hipError_tPvRmT2_T3_mT4_P12ihipStream_tbEUlmE_dEESB_NS0_8identityIvEEEESG_SJ_SK_mSL_SN_bEUlT_E_NS1_11comp_targetILNS1_3genE9ELNS1_11target_archE1100ELNS1_3gpuE3ELNS1_3repE0EEENS1_30default_config_static_selectorELNS0_4arch9wavefront6targetE0EEEvT1_: ; @_ZN7rocprim17ROCPRIM_400000_NS6detail17trampoline_kernelINS0_14default_configENS1_25transform_config_selectorIdLb0EEEZNS1_14transform_implILb0ES3_S5_NS0_18transform_iteratorINS0_17counting_iteratorImlEEZNS1_24adjacent_difference_implIS3_Lb1ELb0EPdSB_N6thrust23THRUST_200600_302600_NS5minusIdEEEE10hipError_tPvRmT2_T3_mT4_P12ihipStream_tbEUlmE_dEESB_NS0_8identityIvEEEESG_SJ_SK_mSL_SN_bEUlT_E_NS1_11comp_targetILNS1_3genE9ELNS1_11target_archE1100ELNS1_3gpuE3ELNS1_3repE0EEENS1_30default_config_static_selectorELNS0_4arch9wavefront6targetE0EEEvT1_
; %bb.0:
	s_clause 0x4
	s_load_b128 s[4:7], s[0:1], 0x0
	s_load_b64 s[2:3], s[0:1], 0x18
	s_load_b64 s[12:13], s[0:1], 0x28
	s_load_b32 s11, s[0:1], 0x38
	s_load_b32 s8, s[0:1], 0x10
	s_waitcnt lgkmcnt(0)
	s_add_u32 s9, s2, s4
	s_addc_u32 s10, s3, s5
	s_lshl_b64 s[2:3], s[2:3], 3
	s_delay_alu instid0(SALU_CYCLE_1)
	s_add_u32 s4, s12, s2
	s_addc_u32 s5, s13, s3
	s_add_i32 s11, s11, -1
	s_lshl_b32 s2, s15, 9
	s_mov_b32 s3, 0
	s_cmp_lg_u32 s15, s11
	s_mov_b32 s11, -1
	s_cbranch_scc0 .LBB17_2
; %bb.1:
	s_add_u32 s11, s9, s2
	s_addc_u32 s12, s10, 0
	v_add_co_u32 v3, s11, s11, v0
	s_delay_alu instid0(VALU_DEP_1) | instskip(SKIP_1) | instid1(VALU_DEP_2)
	v_add_co_ci_u32_e64 v5, null, s12, 0, s11
	s_lshl_b64 s[12:13], s[2:3], 3
	v_mad_u64_u32 v[1:2], null, v3, s8, 0
	s_add_u32 s12, s4, s12
	s_addc_u32 s13, s5, s13
	s_mov_b32 s11, s3
	s_delay_alu instid0(VALU_DEP_1) | instskip(NEXT) | instid1(VALU_DEP_1)
	v_mad_u64_u32 v[3:4], null, v5, s8, v[2:3]
	v_dual_mov_b32 v2, v3 :: v_dual_lshlrev_b32 v3, 3, v0
	s_delay_alu instid0(VALU_DEP_1) | instskip(NEXT) | instid1(VALU_DEP_1)
	v_lshlrev_b64 v[1:2], 3, v[1:2]
	v_add_co_u32 v1, vcc_lo, s6, v1
	s_delay_alu instid0(VALU_DEP_2)
	v_add_co_ci_u32_e32 v2, vcc_lo, s7, v2, vcc_lo
	global_load_b64 v[1:2], v[1:2], off
	s_waitcnt vmcnt(0)
	global_store_b64 v3, v[1:2], s[12:13]
.LBB17_2:
	s_and_not1_b32 vcc_lo, exec_lo, s11
	s_cbranch_vccnz .LBB17_7
; %bb.3:
	s_load_b32 s0, s[0:1], 0x20
                                        ; implicit-def: $vgpr1_vgpr2
	s_waitcnt lgkmcnt(0)
	s_sub_i32 s0, s0, s2
	s_delay_alu instid0(SALU_CYCLE_1)
	v_cmp_gt_u32_e32 vcc_lo, s0, v0
	s_and_saveexec_b32 s1, vcc_lo
	s_cbranch_execz .LBB17_5
; %bb.4:
	s_add_u32 s0, s9, s2
	s_addc_u32 s9, s10, 0
	v_add_co_u32 v3, s0, s0, v0
	s_delay_alu instid0(VALU_DEP_1) | instskip(NEXT) | instid1(VALU_DEP_2)
	v_add_co_ci_u32_e64 v5, null, s9, 0, s0
	v_mad_u64_u32 v[1:2], null, v3, s8, 0
	s_delay_alu instid0(VALU_DEP_1) | instskip(NEXT) | instid1(VALU_DEP_1)
	v_mad_u64_u32 v[3:4], null, v5, s8, v[2:3]
	v_mov_b32_e32 v2, v3
	s_delay_alu instid0(VALU_DEP_1) | instskip(NEXT) | instid1(VALU_DEP_1)
	v_lshlrev_b64 v[1:2], 3, v[1:2]
	v_add_co_u32 v1, s0, s6, v1
	s_delay_alu instid0(VALU_DEP_1)
	v_add_co_ci_u32_e64 v2, s0, s7, v2, s0
	global_load_b64 v[1:2], v[1:2], off
.LBB17_5:
	s_or_b32 exec_lo, exec_lo, s1
	s_and_saveexec_b32 s0, vcc_lo
	s_cbranch_execz .LBB17_7
; %bb.6:
	s_lshl_b64 s[0:1], s[2:3], 3
	v_lshlrev_b32_e32 v0, 3, v0
	s_add_u32 s0, s4, s0
	s_addc_u32 s1, s5, s1
	s_waitcnt vmcnt(0)
	global_store_b64 v0, v[1:2], s[0:1]
.LBB17_7:
	s_nop 0
	s_sendmsg sendmsg(MSG_DEALLOC_VGPRS)
	s_endpgm
	.section	.rodata,"a",@progbits
	.p2align	6, 0x0
	.amdhsa_kernel _ZN7rocprim17ROCPRIM_400000_NS6detail17trampoline_kernelINS0_14default_configENS1_25transform_config_selectorIdLb0EEEZNS1_14transform_implILb0ES3_S5_NS0_18transform_iteratorINS0_17counting_iteratorImlEEZNS1_24adjacent_difference_implIS3_Lb1ELb0EPdSB_N6thrust23THRUST_200600_302600_NS5minusIdEEEE10hipError_tPvRmT2_T3_mT4_P12ihipStream_tbEUlmE_dEESB_NS0_8identityIvEEEESG_SJ_SK_mSL_SN_bEUlT_E_NS1_11comp_targetILNS1_3genE9ELNS1_11target_archE1100ELNS1_3gpuE3ELNS1_3repE0EEENS1_30default_config_static_selectorELNS0_4arch9wavefront6targetE0EEEvT1_
		.amdhsa_group_segment_fixed_size 0
		.amdhsa_private_segment_fixed_size 0
		.amdhsa_kernarg_size 312
		.amdhsa_user_sgpr_count 15
		.amdhsa_user_sgpr_dispatch_ptr 0
		.amdhsa_user_sgpr_queue_ptr 0
		.amdhsa_user_sgpr_kernarg_segment_ptr 1
		.amdhsa_user_sgpr_dispatch_id 0
		.amdhsa_user_sgpr_private_segment_size 0
		.amdhsa_wavefront_size32 1
		.amdhsa_uses_dynamic_stack 0
		.amdhsa_enable_private_segment 0
		.amdhsa_system_sgpr_workgroup_id_x 1
		.amdhsa_system_sgpr_workgroup_id_y 0
		.amdhsa_system_sgpr_workgroup_id_z 0
		.amdhsa_system_sgpr_workgroup_info 0
		.amdhsa_system_vgpr_workitem_id 0
		.amdhsa_next_free_vgpr 6
		.amdhsa_next_free_sgpr 16
		.amdhsa_reserve_vcc 1
		.amdhsa_float_round_mode_32 0
		.amdhsa_float_round_mode_16_64 0
		.amdhsa_float_denorm_mode_32 3
		.amdhsa_float_denorm_mode_16_64 3
		.amdhsa_dx10_clamp 1
		.amdhsa_ieee_mode 1
		.amdhsa_fp16_overflow 0
		.amdhsa_workgroup_processor_mode 1
		.amdhsa_memory_ordered 1
		.amdhsa_forward_progress 0
		.amdhsa_shared_vgpr_count 0
		.amdhsa_exception_fp_ieee_invalid_op 0
		.amdhsa_exception_fp_denorm_src 0
		.amdhsa_exception_fp_ieee_div_zero 0
		.amdhsa_exception_fp_ieee_overflow 0
		.amdhsa_exception_fp_ieee_underflow 0
		.amdhsa_exception_fp_ieee_inexact 0
		.amdhsa_exception_int_div_zero 0
	.end_amdhsa_kernel
	.section	.text._ZN7rocprim17ROCPRIM_400000_NS6detail17trampoline_kernelINS0_14default_configENS1_25transform_config_selectorIdLb0EEEZNS1_14transform_implILb0ES3_S5_NS0_18transform_iteratorINS0_17counting_iteratorImlEEZNS1_24adjacent_difference_implIS3_Lb1ELb0EPdSB_N6thrust23THRUST_200600_302600_NS5minusIdEEEE10hipError_tPvRmT2_T3_mT4_P12ihipStream_tbEUlmE_dEESB_NS0_8identityIvEEEESG_SJ_SK_mSL_SN_bEUlT_E_NS1_11comp_targetILNS1_3genE9ELNS1_11target_archE1100ELNS1_3gpuE3ELNS1_3repE0EEENS1_30default_config_static_selectorELNS0_4arch9wavefront6targetE0EEEvT1_,"axG",@progbits,_ZN7rocprim17ROCPRIM_400000_NS6detail17trampoline_kernelINS0_14default_configENS1_25transform_config_selectorIdLb0EEEZNS1_14transform_implILb0ES3_S5_NS0_18transform_iteratorINS0_17counting_iteratorImlEEZNS1_24adjacent_difference_implIS3_Lb1ELb0EPdSB_N6thrust23THRUST_200600_302600_NS5minusIdEEEE10hipError_tPvRmT2_T3_mT4_P12ihipStream_tbEUlmE_dEESB_NS0_8identityIvEEEESG_SJ_SK_mSL_SN_bEUlT_E_NS1_11comp_targetILNS1_3genE9ELNS1_11target_archE1100ELNS1_3gpuE3ELNS1_3repE0EEENS1_30default_config_static_selectorELNS0_4arch9wavefront6targetE0EEEvT1_,comdat
.Lfunc_end17:
	.size	_ZN7rocprim17ROCPRIM_400000_NS6detail17trampoline_kernelINS0_14default_configENS1_25transform_config_selectorIdLb0EEEZNS1_14transform_implILb0ES3_S5_NS0_18transform_iteratorINS0_17counting_iteratorImlEEZNS1_24adjacent_difference_implIS3_Lb1ELb0EPdSB_N6thrust23THRUST_200600_302600_NS5minusIdEEEE10hipError_tPvRmT2_T3_mT4_P12ihipStream_tbEUlmE_dEESB_NS0_8identityIvEEEESG_SJ_SK_mSL_SN_bEUlT_E_NS1_11comp_targetILNS1_3genE9ELNS1_11target_archE1100ELNS1_3gpuE3ELNS1_3repE0EEENS1_30default_config_static_selectorELNS0_4arch9wavefront6targetE0EEEvT1_, .Lfunc_end17-_ZN7rocprim17ROCPRIM_400000_NS6detail17trampoline_kernelINS0_14default_configENS1_25transform_config_selectorIdLb0EEEZNS1_14transform_implILb0ES3_S5_NS0_18transform_iteratorINS0_17counting_iteratorImlEEZNS1_24adjacent_difference_implIS3_Lb1ELb0EPdSB_N6thrust23THRUST_200600_302600_NS5minusIdEEEE10hipError_tPvRmT2_T3_mT4_P12ihipStream_tbEUlmE_dEESB_NS0_8identityIvEEEESG_SJ_SK_mSL_SN_bEUlT_E_NS1_11comp_targetILNS1_3genE9ELNS1_11target_archE1100ELNS1_3gpuE3ELNS1_3repE0EEENS1_30default_config_static_selectorELNS0_4arch9wavefront6targetE0EEEvT1_
                                        ; -- End function
	.section	.AMDGPU.csdata,"",@progbits
; Kernel info:
; codeLenInByte = 400
; NumSgprs: 18
; NumVgprs: 6
; ScratchSize: 0
; MemoryBound: 0
; FloatMode: 240
; IeeeMode: 1
; LDSByteSize: 0 bytes/workgroup (compile time only)
; SGPRBlocks: 2
; VGPRBlocks: 0
; NumSGPRsForWavesPerEU: 18
; NumVGPRsForWavesPerEU: 6
; Occupancy: 16
; WaveLimiterHint : 0
; COMPUTE_PGM_RSRC2:SCRATCH_EN: 0
; COMPUTE_PGM_RSRC2:USER_SGPR: 15
; COMPUTE_PGM_RSRC2:TRAP_HANDLER: 0
; COMPUTE_PGM_RSRC2:TGID_X_EN: 1
; COMPUTE_PGM_RSRC2:TGID_Y_EN: 0
; COMPUTE_PGM_RSRC2:TGID_Z_EN: 0
; COMPUTE_PGM_RSRC2:TIDIG_COMP_CNT: 0
	.section	.text._ZN7rocprim17ROCPRIM_400000_NS6detail17trampoline_kernelINS0_14default_configENS1_25transform_config_selectorIdLb0EEEZNS1_14transform_implILb0ES3_S5_NS0_18transform_iteratorINS0_17counting_iteratorImlEEZNS1_24adjacent_difference_implIS3_Lb1ELb0EPdSB_N6thrust23THRUST_200600_302600_NS5minusIdEEEE10hipError_tPvRmT2_T3_mT4_P12ihipStream_tbEUlmE_dEESB_NS0_8identityIvEEEESG_SJ_SK_mSL_SN_bEUlT_E_NS1_11comp_targetILNS1_3genE8ELNS1_11target_archE1030ELNS1_3gpuE2ELNS1_3repE0EEENS1_30default_config_static_selectorELNS0_4arch9wavefront6targetE0EEEvT1_,"axG",@progbits,_ZN7rocprim17ROCPRIM_400000_NS6detail17trampoline_kernelINS0_14default_configENS1_25transform_config_selectorIdLb0EEEZNS1_14transform_implILb0ES3_S5_NS0_18transform_iteratorINS0_17counting_iteratorImlEEZNS1_24adjacent_difference_implIS3_Lb1ELb0EPdSB_N6thrust23THRUST_200600_302600_NS5minusIdEEEE10hipError_tPvRmT2_T3_mT4_P12ihipStream_tbEUlmE_dEESB_NS0_8identityIvEEEESG_SJ_SK_mSL_SN_bEUlT_E_NS1_11comp_targetILNS1_3genE8ELNS1_11target_archE1030ELNS1_3gpuE2ELNS1_3repE0EEENS1_30default_config_static_selectorELNS0_4arch9wavefront6targetE0EEEvT1_,comdat
	.protected	_ZN7rocprim17ROCPRIM_400000_NS6detail17trampoline_kernelINS0_14default_configENS1_25transform_config_selectorIdLb0EEEZNS1_14transform_implILb0ES3_S5_NS0_18transform_iteratorINS0_17counting_iteratorImlEEZNS1_24adjacent_difference_implIS3_Lb1ELb0EPdSB_N6thrust23THRUST_200600_302600_NS5minusIdEEEE10hipError_tPvRmT2_T3_mT4_P12ihipStream_tbEUlmE_dEESB_NS0_8identityIvEEEESG_SJ_SK_mSL_SN_bEUlT_E_NS1_11comp_targetILNS1_3genE8ELNS1_11target_archE1030ELNS1_3gpuE2ELNS1_3repE0EEENS1_30default_config_static_selectorELNS0_4arch9wavefront6targetE0EEEvT1_ ; -- Begin function _ZN7rocprim17ROCPRIM_400000_NS6detail17trampoline_kernelINS0_14default_configENS1_25transform_config_selectorIdLb0EEEZNS1_14transform_implILb0ES3_S5_NS0_18transform_iteratorINS0_17counting_iteratorImlEEZNS1_24adjacent_difference_implIS3_Lb1ELb0EPdSB_N6thrust23THRUST_200600_302600_NS5minusIdEEEE10hipError_tPvRmT2_T3_mT4_P12ihipStream_tbEUlmE_dEESB_NS0_8identityIvEEEESG_SJ_SK_mSL_SN_bEUlT_E_NS1_11comp_targetILNS1_3genE8ELNS1_11target_archE1030ELNS1_3gpuE2ELNS1_3repE0EEENS1_30default_config_static_selectorELNS0_4arch9wavefront6targetE0EEEvT1_
	.globl	_ZN7rocprim17ROCPRIM_400000_NS6detail17trampoline_kernelINS0_14default_configENS1_25transform_config_selectorIdLb0EEEZNS1_14transform_implILb0ES3_S5_NS0_18transform_iteratorINS0_17counting_iteratorImlEEZNS1_24adjacent_difference_implIS3_Lb1ELb0EPdSB_N6thrust23THRUST_200600_302600_NS5minusIdEEEE10hipError_tPvRmT2_T3_mT4_P12ihipStream_tbEUlmE_dEESB_NS0_8identityIvEEEESG_SJ_SK_mSL_SN_bEUlT_E_NS1_11comp_targetILNS1_3genE8ELNS1_11target_archE1030ELNS1_3gpuE2ELNS1_3repE0EEENS1_30default_config_static_selectorELNS0_4arch9wavefront6targetE0EEEvT1_
	.p2align	8
	.type	_ZN7rocprim17ROCPRIM_400000_NS6detail17trampoline_kernelINS0_14default_configENS1_25transform_config_selectorIdLb0EEEZNS1_14transform_implILb0ES3_S5_NS0_18transform_iteratorINS0_17counting_iteratorImlEEZNS1_24adjacent_difference_implIS3_Lb1ELb0EPdSB_N6thrust23THRUST_200600_302600_NS5minusIdEEEE10hipError_tPvRmT2_T3_mT4_P12ihipStream_tbEUlmE_dEESB_NS0_8identityIvEEEESG_SJ_SK_mSL_SN_bEUlT_E_NS1_11comp_targetILNS1_3genE8ELNS1_11target_archE1030ELNS1_3gpuE2ELNS1_3repE0EEENS1_30default_config_static_selectorELNS0_4arch9wavefront6targetE0EEEvT1_,@function
_ZN7rocprim17ROCPRIM_400000_NS6detail17trampoline_kernelINS0_14default_configENS1_25transform_config_selectorIdLb0EEEZNS1_14transform_implILb0ES3_S5_NS0_18transform_iteratorINS0_17counting_iteratorImlEEZNS1_24adjacent_difference_implIS3_Lb1ELb0EPdSB_N6thrust23THRUST_200600_302600_NS5minusIdEEEE10hipError_tPvRmT2_T3_mT4_P12ihipStream_tbEUlmE_dEESB_NS0_8identityIvEEEESG_SJ_SK_mSL_SN_bEUlT_E_NS1_11comp_targetILNS1_3genE8ELNS1_11target_archE1030ELNS1_3gpuE2ELNS1_3repE0EEENS1_30default_config_static_selectorELNS0_4arch9wavefront6targetE0EEEvT1_: ; @_ZN7rocprim17ROCPRIM_400000_NS6detail17trampoline_kernelINS0_14default_configENS1_25transform_config_selectorIdLb0EEEZNS1_14transform_implILb0ES3_S5_NS0_18transform_iteratorINS0_17counting_iteratorImlEEZNS1_24adjacent_difference_implIS3_Lb1ELb0EPdSB_N6thrust23THRUST_200600_302600_NS5minusIdEEEE10hipError_tPvRmT2_T3_mT4_P12ihipStream_tbEUlmE_dEESB_NS0_8identityIvEEEESG_SJ_SK_mSL_SN_bEUlT_E_NS1_11comp_targetILNS1_3genE8ELNS1_11target_archE1030ELNS1_3gpuE2ELNS1_3repE0EEENS1_30default_config_static_selectorELNS0_4arch9wavefront6targetE0EEEvT1_
; %bb.0:
	.section	.rodata,"a",@progbits
	.p2align	6, 0x0
	.amdhsa_kernel _ZN7rocprim17ROCPRIM_400000_NS6detail17trampoline_kernelINS0_14default_configENS1_25transform_config_selectorIdLb0EEEZNS1_14transform_implILb0ES3_S5_NS0_18transform_iteratorINS0_17counting_iteratorImlEEZNS1_24adjacent_difference_implIS3_Lb1ELb0EPdSB_N6thrust23THRUST_200600_302600_NS5minusIdEEEE10hipError_tPvRmT2_T3_mT4_P12ihipStream_tbEUlmE_dEESB_NS0_8identityIvEEEESG_SJ_SK_mSL_SN_bEUlT_E_NS1_11comp_targetILNS1_3genE8ELNS1_11target_archE1030ELNS1_3gpuE2ELNS1_3repE0EEENS1_30default_config_static_selectorELNS0_4arch9wavefront6targetE0EEEvT1_
		.amdhsa_group_segment_fixed_size 0
		.amdhsa_private_segment_fixed_size 0
		.amdhsa_kernarg_size 56
		.amdhsa_user_sgpr_count 15
		.amdhsa_user_sgpr_dispatch_ptr 0
		.amdhsa_user_sgpr_queue_ptr 0
		.amdhsa_user_sgpr_kernarg_segment_ptr 1
		.amdhsa_user_sgpr_dispatch_id 0
		.amdhsa_user_sgpr_private_segment_size 0
		.amdhsa_wavefront_size32 1
		.amdhsa_uses_dynamic_stack 0
		.amdhsa_enable_private_segment 0
		.amdhsa_system_sgpr_workgroup_id_x 1
		.amdhsa_system_sgpr_workgroup_id_y 0
		.amdhsa_system_sgpr_workgroup_id_z 0
		.amdhsa_system_sgpr_workgroup_info 0
		.amdhsa_system_vgpr_workitem_id 0
		.amdhsa_next_free_vgpr 1
		.amdhsa_next_free_sgpr 1
		.amdhsa_reserve_vcc 0
		.amdhsa_float_round_mode_32 0
		.amdhsa_float_round_mode_16_64 0
		.amdhsa_float_denorm_mode_32 3
		.amdhsa_float_denorm_mode_16_64 3
		.amdhsa_dx10_clamp 1
		.amdhsa_ieee_mode 1
		.amdhsa_fp16_overflow 0
		.amdhsa_workgroup_processor_mode 1
		.amdhsa_memory_ordered 1
		.amdhsa_forward_progress 0
		.amdhsa_shared_vgpr_count 0
		.amdhsa_exception_fp_ieee_invalid_op 0
		.amdhsa_exception_fp_denorm_src 0
		.amdhsa_exception_fp_ieee_div_zero 0
		.amdhsa_exception_fp_ieee_overflow 0
		.amdhsa_exception_fp_ieee_underflow 0
		.amdhsa_exception_fp_ieee_inexact 0
		.amdhsa_exception_int_div_zero 0
	.end_amdhsa_kernel
	.section	.text._ZN7rocprim17ROCPRIM_400000_NS6detail17trampoline_kernelINS0_14default_configENS1_25transform_config_selectorIdLb0EEEZNS1_14transform_implILb0ES3_S5_NS0_18transform_iteratorINS0_17counting_iteratorImlEEZNS1_24adjacent_difference_implIS3_Lb1ELb0EPdSB_N6thrust23THRUST_200600_302600_NS5minusIdEEEE10hipError_tPvRmT2_T3_mT4_P12ihipStream_tbEUlmE_dEESB_NS0_8identityIvEEEESG_SJ_SK_mSL_SN_bEUlT_E_NS1_11comp_targetILNS1_3genE8ELNS1_11target_archE1030ELNS1_3gpuE2ELNS1_3repE0EEENS1_30default_config_static_selectorELNS0_4arch9wavefront6targetE0EEEvT1_,"axG",@progbits,_ZN7rocprim17ROCPRIM_400000_NS6detail17trampoline_kernelINS0_14default_configENS1_25transform_config_selectorIdLb0EEEZNS1_14transform_implILb0ES3_S5_NS0_18transform_iteratorINS0_17counting_iteratorImlEEZNS1_24adjacent_difference_implIS3_Lb1ELb0EPdSB_N6thrust23THRUST_200600_302600_NS5minusIdEEEE10hipError_tPvRmT2_T3_mT4_P12ihipStream_tbEUlmE_dEESB_NS0_8identityIvEEEESG_SJ_SK_mSL_SN_bEUlT_E_NS1_11comp_targetILNS1_3genE8ELNS1_11target_archE1030ELNS1_3gpuE2ELNS1_3repE0EEENS1_30default_config_static_selectorELNS0_4arch9wavefront6targetE0EEEvT1_,comdat
.Lfunc_end18:
	.size	_ZN7rocprim17ROCPRIM_400000_NS6detail17trampoline_kernelINS0_14default_configENS1_25transform_config_selectorIdLb0EEEZNS1_14transform_implILb0ES3_S5_NS0_18transform_iteratorINS0_17counting_iteratorImlEEZNS1_24adjacent_difference_implIS3_Lb1ELb0EPdSB_N6thrust23THRUST_200600_302600_NS5minusIdEEEE10hipError_tPvRmT2_T3_mT4_P12ihipStream_tbEUlmE_dEESB_NS0_8identityIvEEEESG_SJ_SK_mSL_SN_bEUlT_E_NS1_11comp_targetILNS1_3genE8ELNS1_11target_archE1030ELNS1_3gpuE2ELNS1_3repE0EEENS1_30default_config_static_selectorELNS0_4arch9wavefront6targetE0EEEvT1_, .Lfunc_end18-_ZN7rocprim17ROCPRIM_400000_NS6detail17trampoline_kernelINS0_14default_configENS1_25transform_config_selectorIdLb0EEEZNS1_14transform_implILb0ES3_S5_NS0_18transform_iteratorINS0_17counting_iteratorImlEEZNS1_24adjacent_difference_implIS3_Lb1ELb0EPdSB_N6thrust23THRUST_200600_302600_NS5minusIdEEEE10hipError_tPvRmT2_T3_mT4_P12ihipStream_tbEUlmE_dEESB_NS0_8identityIvEEEESG_SJ_SK_mSL_SN_bEUlT_E_NS1_11comp_targetILNS1_3genE8ELNS1_11target_archE1030ELNS1_3gpuE2ELNS1_3repE0EEENS1_30default_config_static_selectorELNS0_4arch9wavefront6targetE0EEEvT1_
                                        ; -- End function
	.section	.AMDGPU.csdata,"",@progbits
; Kernel info:
; codeLenInByte = 0
; NumSgprs: 0
; NumVgprs: 0
; ScratchSize: 0
; MemoryBound: 0
; FloatMode: 240
; IeeeMode: 1
; LDSByteSize: 0 bytes/workgroup (compile time only)
; SGPRBlocks: 0
; VGPRBlocks: 0
; NumSGPRsForWavesPerEU: 1
; NumVGPRsForWavesPerEU: 1
; Occupancy: 16
; WaveLimiterHint : 0
; COMPUTE_PGM_RSRC2:SCRATCH_EN: 0
; COMPUTE_PGM_RSRC2:USER_SGPR: 15
; COMPUTE_PGM_RSRC2:TRAP_HANDLER: 0
; COMPUTE_PGM_RSRC2:TGID_X_EN: 1
; COMPUTE_PGM_RSRC2:TGID_Y_EN: 0
; COMPUTE_PGM_RSRC2:TGID_Z_EN: 0
; COMPUTE_PGM_RSRC2:TIDIG_COMP_CNT: 0
	.section	.text._ZN7rocprim17ROCPRIM_400000_NS6detail17trampoline_kernelINS0_14default_configENS1_35adjacent_difference_config_selectorILb1EdEEZNS1_24adjacent_difference_implIS3_Lb1ELb0EPdS7_N6thrust23THRUST_200600_302600_NS5minusIdEEEE10hipError_tPvRmT2_T3_mT4_P12ihipStream_tbEUlT_E_NS1_11comp_targetILNS1_3genE0ELNS1_11target_archE4294967295ELNS1_3gpuE0ELNS1_3repE0EEENS1_30default_config_static_selectorELNS0_4arch9wavefront6targetE0EEEvT1_,"axG",@progbits,_ZN7rocprim17ROCPRIM_400000_NS6detail17trampoline_kernelINS0_14default_configENS1_35adjacent_difference_config_selectorILb1EdEEZNS1_24adjacent_difference_implIS3_Lb1ELb0EPdS7_N6thrust23THRUST_200600_302600_NS5minusIdEEEE10hipError_tPvRmT2_T3_mT4_P12ihipStream_tbEUlT_E_NS1_11comp_targetILNS1_3genE0ELNS1_11target_archE4294967295ELNS1_3gpuE0ELNS1_3repE0EEENS1_30default_config_static_selectorELNS0_4arch9wavefront6targetE0EEEvT1_,comdat
	.protected	_ZN7rocprim17ROCPRIM_400000_NS6detail17trampoline_kernelINS0_14default_configENS1_35adjacent_difference_config_selectorILb1EdEEZNS1_24adjacent_difference_implIS3_Lb1ELb0EPdS7_N6thrust23THRUST_200600_302600_NS5minusIdEEEE10hipError_tPvRmT2_T3_mT4_P12ihipStream_tbEUlT_E_NS1_11comp_targetILNS1_3genE0ELNS1_11target_archE4294967295ELNS1_3gpuE0ELNS1_3repE0EEENS1_30default_config_static_selectorELNS0_4arch9wavefront6targetE0EEEvT1_ ; -- Begin function _ZN7rocprim17ROCPRIM_400000_NS6detail17trampoline_kernelINS0_14default_configENS1_35adjacent_difference_config_selectorILb1EdEEZNS1_24adjacent_difference_implIS3_Lb1ELb0EPdS7_N6thrust23THRUST_200600_302600_NS5minusIdEEEE10hipError_tPvRmT2_T3_mT4_P12ihipStream_tbEUlT_E_NS1_11comp_targetILNS1_3genE0ELNS1_11target_archE4294967295ELNS1_3gpuE0ELNS1_3repE0EEENS1_30default_config_static_selectorELNS0_4arch9wavefront6targetE0EEEvT1_
	.globl	_ZN7rocprim17ROCPRIM_400000_NS6detail17trampoline_kernelINS0_14default_configENS1_35adjacent_difference_config_selectorILb1EdEEZNS1_24adjacent_difference_implIS3_Lb1ELb0EPdS7_N6thrust23THRUST_200600_302600_NS5minusIdEEEE10hipError_tPvRmT2_T3_mT4_P12ihipStream_tbEUlT_E_NS1_11comp_targetILNS1_3genE0ELNS1_11target_archE4294967295ELNS1_3gpuE0ELNS1_3repE0EEENS1_30default_config_static_selectorELNS0_4arch9wavefront6targetE0EEEvT1_
	.p2align	8
	.type	_ZN7rocprim17ROCPRIM_400000_NS6detail17trampoline_kernelINS0_14default_configENS1_35adjacent_difference_config_selectorILb1EdEEZNS1_24adjacent_difference_implIS3_Lb1ELb0EPdS7_N6thrust23THRUST_200600_302600_NS5minusIdEEEE10hipError_tPvRmT2_T3_mT4_P12ihipStream_tbEUlT_E_NS1_11comp_targetILNS1_3genE0ELNS1_11target_archE4294967295ELNS1_3gpuE0ELNS1_3repE0EEENS1_30default_config_static_selectorELNS0_4arch9wavefront6targetE0EEEvT1_,@function
_ZN7rocprim17ROCPRIM_400000_NS6detail17trampoline_kernelINS0_14default_configENS1_35adjacent_difference_config_selectorILb1EdEEZNS1_24adjacent_difference_implIS3_Lb1ELb0EPdS7_N6thrust23THRUST_200600_302600_NS5minusIdEEEE10hipError_tPvRmT2_T3_mT4_P12ihipStream_tbEUlT_E_NS1_11comp_targetILNS1_3genE0ELNS1_11target_archE4294967295ELNS1_3gpuE0ELNS1_3repE0EEENS1_30default_config_static_selectorELNS0_4arch9wavefront6targetE0EEEvT1_: ; @_ZN7rocprim17ROCPRIM_400000_NS6detail17trampoline_kernelINS0_14default_configENS1_35adjacent_difference_config_selectorILb1EdEEZNS1_24adjacent_difference_implIS3_Lb1ELb0EPdS7_N6thrust23THRUST_200600_302600_NS5minusIdEEEE10hipError_tPvRmT2_T3_mT4_P12ihipStream_tbEUlT_E_NS1_11comp_targetILNS1_3genE0ELNS1_11target_archE4294967295ELNS1_3gpuE0ELNS1_3repE0EEENS1_30default_config_static_selectorELNS0_4arch9wavefront6targetE0EEEvT1_
; %bb.0:
	.section	.rodata,"a",@progbits
	.p2align	6, 0x0
	.amdhsa_kernel _ZN7rocprim17ROCPRIM_400000_NS6detail17trampoline_kernelINS0_14default_configENS1_35adjacent_difference_config_selectorILb1EdEEZNS1_24adjacent_difference_implIS3_Lb1ELb0EPdS7_N6thrust23THRUST_200600_302600_NS5minusIdEEEE10hipError_tPvRmT2_T3_mT4_P12ihipStream_tbEUlT_E_NS1_11comp_targetILNS1_3genE0ELNS1_11target_archE4294967295ELNS1_3gpuE0ELNS1_3repE0EEENS1_30default_config_static_selectorELNS0_4arch9wavefront6targetE0EEEvT1_
		.amdhsa_group_segment_fixed_size 0
		.amdhsa_private_segment_fixed_size 0
		.amdhsa_kernarg_size 56
		.amdhsa_user_sgpr_count 15
		.amdhsa_user_sgpr_dispatch_ptr 0
		.amdhsa_user_sgpr_queue_ptr 0
		.amdhsa_user_sgpr_kernarg_segment_ptr 1
		.amdhsa_user_sgpr_dispatch_id 0
		.amdhsa_user_sgpr_private_segment_size 0
		.amdhsa_wavefront_size32 1
		.amdhsa_uses_dynamic_stack 0
		.amdhsa_enable_private_segment 0
		.amdhsa_system_sgpr_workgroup_id_x 1
		.amdhsa_system_sgpr_workgroup_id_y 0
		.amdhsa_system_sgpr_workgroup_id_z 0
		.amdhsa_system_sgpr_workgroup_info 0
		.amdhsa_system_vgpr_workitem_id 0
		.amdhsa_next_free_vgpr 1
		.amdhsa_next_free_sgpr 1
		.amdhsa_reserve_vcc 0
		.amdhsa_float_round_mode_32 0
		.amdhsa_float_round_mode_16_64 0
		.amdhsa_float_denorm_mode_32 3
		.amdhsa_float_denorm_mode_16_64 3
		.amdhsa_dx10_clamp 1
		.amdhsa_ieee_mode 1
		.amdhsa_fp16_overflow 0
		.amdhsa_workgroup_processor_mode 1
		.amdhsa_memory_ordered 1
		.amdhsa_forward_progress 0
		.amdhsa_shared_vgpr_count 0
		.amdhsa_exception_fp_ieee_invalid_op 0
		.amdhsa_exception_fp_denorm_src 0
		.amdhsa_exception_fp_ieee_div_zero 0
		.amdhsa_exception_fp_ieee_overflow 0
		.amdhsa_exception_fp_ieee_underflow 0
		.amdhsa_exception_fp_ieee_inexact 0
		.amdhsa_exception_int_div_zero 0
	.end_amdhsa_kernel
	.section	.text._ZN7rocprim17ROCPRIM_400000_NS6detail17trampoline_kernelINS0_14default_configENS1_35adjacent_difference_config_selectorILb1EdEEZNS1_24adjacent_difference_implIS3_Lb1ELb0EPdS7_N6thrust23THRUST_200600_302600_NS5minusIdEEEE10hipError_tPvRmT2_T3_mT4_P12ihipStream_tbEUlT_E_NS1_11comp_targetILNS1_3genE0ELNS1_11target_archE4294967295ELNS1_3gpuE0ELNS1_3repE0EEENS1_30default_config_static_selectorELNS0_4arch9wavefront6targetE0EEEvT1_,"axG",@progbits,_ZN7rocprim17ROCPRIM_400000_NS6detail17trampoline_kernelINS0_14default_configENS1_35adjacent_difference_config_selectorILb1EdEEZNS1_24adjacent_difference_implIS3_Lb1ELb0EPdS7_N6thrust23THRUST_200600_302600_NS5minusIdEEEE10hipError_tPvRmT2_T3_mT4_P12ihipStream_tbEUlT_E_NS1_11comp_targetILNS1_3genE0ELNS1_11target_archE4294967295ELNS1_3gpuE0ELNS1_3repE0EEENS1_30default_config_static_selectorELNS0_4arch9wavefront6targetE0EEEvT1_,comdat
.Lfunc_end19:
	.size	_ZN7rocprim17ROCPRIM_400000_NS6detail17trampoline_kernelINS0_14default_configENS1_35adjacent_difference_config_selectorILb1EdEEZNS1_24adjacent_difference_implIS3_Lb1ELb0EPdS7_N6thrust23THRUST_200600_302600_NS5minusIdEEEE10hipError_tPvRmT2_T3_mT4_P12ihipStream_tbEUlT_E_NS1_11comp_targetILNS1_3genE0ELNS1_11target_archE4294967295ELNS1_3gpuE0ELNS1_3repE0EEENS1_30default_config_static_selectorELNS0_4arch9wavefront6targetE0EEEvT1_, .Lfunc_end19-_ZN7rocprim17ROCPRIM_400000_NS6detail17trampoline_kernelINS0_14default_configENS1_35adjacent_difference_config_selectorILb1EdEEZNS1_24adjacent_difference_implIS3_Lb1ELb0EPdS7_N6thrust23THRUST_200600_302600_NS5minusIdEEEE10hipError_tPvRmT2_T3_mT4_P12ihipStream_tbEUlT_E_NS1_11comp_targetILNS1_3genE0ELNS1_11target_archE4294967295ELNS1_3gpuE0ELNS1_3repE0EEENS1_30default_config_static_selectorELNS0_4arch9wavefront6targetE0EEEvT1_
                                        ; -- End function
	.section	.AMDGPU.csdata,"",@progbits
; Kernel info:
; codeLenInByte = 0
; NumSgprs: 0
; NumVgprs: 0
; ScratchSize: 0
; MemoryBound: 0
; FloatMode: 240
; IeeeMode: 1
; LDSByteSize: 0 bytes/workgroup (compile time only)
; SGPRBlocks: 0
; VGPRBlocks: 0
; NumSGPRsForWavesPerEU: 1
; NumVGPRsForWavesPerEU: 1
; Occupancy: 16
; WaveLimiterHint : 0
; COMPUTE_PGM_RSRC2:SCRATCH_EN: 0
; COMPUTE_PGM_RSRC2:USER_SGPR: 15
; COMPUTE_PGM_RSRC2:TRAP_HANDLER: 0
; COMPUTE_PGM_RSRC2:TGID_X_EN: 1
; COMPUTE_PGM_RSRC2:TGID_Y_EN: 0
; COMPUTE_PGM_RSRC2:TGID_Z_EN: 0
; COMPUTE_PGM_RSRC2:TIDIG_COMP_CNT: 0
	.section	.text._ZN7rocprim17ROCPRIM_400000_NS6detail17trampoline_kernelINS0_14default_configENS1_35adjacent_difference_config_selectorILb1EdEEZNS1_24adjacent_difference_implIS3_Lb1ELb0EPdS7_N6thrust23THRUST_200600_302600_NS5minusIdEEEE10hipError_tPvRmT2_T3_mT4_P12ihipStream_tbEUlT_E_NS1_11comp_targetILNS1_3genE10ELNS1_11target_archE1201ELNS1_3gpuE5ELNS1_3repE0EEENS1_30default_config_static_selectorELNS0_4arch9wavefront6targetE0EEEvT1_,"axG",@progbits,_ZN7rocprim17ROCPRIM_400000_NS6detail17trampoline_kernelINS0_14default_configENS1_35adjacent_difference_config_selectorILb1EdEEZNS1_24adjacent_difference_implIS3_Lb1ELb0EPdS7_N6thrust23THRUST_200600_302600_NS5minusIdEEEE10hipError_tPvRmT2_T3_mT4_P12ihipStream_tbEUlT_E_NS1_11comp_targetILNS1_3genE10ELNS1_11target_archE1201ELNS1_3gpuE5ELNS1_3repE0EEENS1_30default_config_static_selectorELNS0_4arch9wavefront6targetE0EEEvT1_,comdat
	.protected	_ZN7rocprim17ROCPRIM_400000_NS6detail17trampoline_kernelINS0_14default_configENS1_35adjacent_difference_config_selectorILb1EdEEZNS1_24adjacent_difference_implIS3_Lb1ELb0EPdS7_N6thrust23THRUST_200600_302600_NS5minusIdEEEE10hipError_tPvRmT2_T3_mT4_P12ihipStream_tbEUlT_E_NS1_11comp_targetILNS1_3genE10ELNS1_11target_archE1201ELNS1_3gpuE5ELNS1_3repE0EEENS1_30default_config_static_selectorELNS0_4arch9wavefront6targetE0EEEvT1_ ; -- Begin function _ZN7rocprim17ROCPRIM_400000_NS6detail17trampoline_kernelINS0_14default_configENS1_35adjacent_difference_config_selectorILb1EdEEZNS1_24adjacent_difference_implIS3_Lb1ELb0EPdS7_N6thrust23THRUST_200600_302600_NS5minusIdEEEE10hipError_tPvRmT2_T3_mT4_P12ihipStream_tbEUlT_E_NS1_11comp_targetILNS1_3genE10ELNS1_11target_archE1201ELNS1_3gpuE5ELNS1_3repE0EEENS1_30default_config_static_selectorELNS0_4arch9wavefront6targetE0EEEvT1_
	.globl	_ZN7rocprim17ROCPRIM_400000_NS6detail17trampoline_kernelINS0_14default_configENS1_35adjacent_difference_config_selectorILb1EdEEZNS1_24adjacent_difference_implIS3_Lb1ELb0EPdS7_N6thrust23THRUST_200600_302600_NS5minusIdEEEE10hipError_tPvRmT2_T3_mT4_P12ihipStream_tbEUlT_E_NS1_11comp_targetILNS1_3genE10ELNS1_11target_archE1201ELNS1_3gpuE5ELNS1_3repE0EEENS1_30default_config_static_selectorELNS0_4arch9wavefront6targetE0EEEvT1_
	.p2align	8
	.type	_ZN7rocprim17ROCPRIM_400000_NS6detail17trampoline_kernelINS0_14default_configENS1_35adjacent_difference_config_selectorILb1EdEEZNS1_24adjacent_difference_implIS3_Lb1ELb0EPdS7_N6thrust23THRUST_200600_302600_NS5minusIdEEEE10hipError_tPvRmT2_T3_mT4_P12ihipStream_tbEUlT_E_NS1_11comp_targetILNS1_3genE10ELNS1_11target_archE1201ELNS1_3gpuE5ELNS1_3repE0EEENS1_30default_config_static_selectorELNS0_4arch9wavefront6targetE0EEEvT1_,@function
_ZN7rocprim17ROCPRIM_400000_NS6detail17trampoline_kernelINS0_14default_configENS1_35adjacent_difference_config_selectorILb1EdEEZNS1_24adjacent_difference_implIS3_Lb1ELb0EPdS7_N6thrust23THRUST_200600_302600_NS5minusIdEEEE10hipError_tPvRmT2_T3_mT4_P12ihipStream_tbEUlT_E_NS1_11comp_targetILNS1_3genE10ELNS1_11target_archE1201ELNS1_3gpuE5ELNS1_3repE0EEENS1_30default_config_static_selectorELNS0_4arch9wavefront6targetE0EEEvT1_: ; @_ZN7rocprim17ROCPRIM_400000_NS6detail17trampoline_kernelINS0_14default_configENS1_35adjacent_difference_config_selectorILb1EdEEZNS1_24adjacent_difference_implIS3_Lb1ELb0EPdS7_N6thrust23THRUST_200600_302600_NS5minusIdEEEE10hipError_tPvRmT2_T3_mT4_P12ihipStream_tbEUlT_E_NS1_11comp_targetILNS1_3genE10ELNS1_11target_archE1201ELNS1_3gpuE5ELNS1_3repE0EEENS1_30default_config_static_selectorELNS0_4arch9wavefront6targetE0EEEvT1_
; %bb.0:
	.section	.rodata,"a",@progbits
	.p2align	6, 0x0
	.amdhsa_kernel _ZN7rocprim17ROCPRIM_400000_NS6detail17trampoline_kernelINS0_14default_configENS1_35adjacent_difference_config_selectorILb1EdEEZNS1_24adjacent_difference_implIS3_Lb1ELb0EPdS7_N6thrust23THRUST_200600_302600_NS5minusIdEEEE10hipError_tPvRmT2_T3_mT4_P12ihipStream_tbEUlT_E_NS1_11comp_targetILNS1_3genE10ELNS1_11target_archE1201ELNS1_3gpuE5ELNS1_3repE0EEENS1_30default_config_static_selectorELNS0_4arch9wavefront6targetE0EEEvT1_
		.amdhsa_group_segment_fixed_size 0
		.amdhsa_private_segment_fixed_size 0
		.amdhsa_kernarg_size 56
		.amdhsa_user_sgpr_count 15
		.amdhsa_user_sgpr_dispatch_ptr 0
		.amdhsa_user_sgpr_queue_ptr 0
		.amdhsa_user_sgpr_kernarg_segment_ptr 1
		.amdhsa_user_sgpr_dispatch_id 0
		.amdhsa_user_sgpr_private_segment_size 0
		.amdhsa_wavefront_size32 1
		.amdhsa_uses_dynamic_stack 0
		.amdhsa_enable_private_segment 0
		.amdhsa_system_sgpr_workgroup_id_x 1
		.amdhsa_system_sgpr_workgroup_id_y 0
		.amdhsa_system_sgpr_workgroup_id_z 0
		.amdhsa_system_sgpr_workgroup_info 0
		.amdhsa_system_vgpr_workitem_id 0
		.amdhsa_next_free_vgpr 1
		.amdhsa_next_free_sgpr 1
		.amdhsa_reserve_vcc 0
		.amdhsa_float_round_mode_32 0
		.amdhsa_float_round_mode_16_64 0
		.amdhsa_float_denorm_mode_32 3
		.amdhsa_float_denorm_mode_16_64 3
		.amdhsa_dx10_clamp 1
		.amdhsa_ieee_mode 1
		.amdhsa_fp16_overflow 0
		.amdhsa_workgroup_processor_mode 1
		.amdhsa_memory_ordered 1
		.amdhsa_forward_progress 0
		.amdhsa_shared_vgpr_count 0
		.amdhsa_exception_fp_ieee_invalid_op 0
		.amdhsa_exception_fp_denorm_src 0
		.amdhsa_exception_fp_ieee_div_zero 0
		.amdhsa_exception_fp_ieee_overflow 0
		.amdhsa_exception_fp_ieee_underflow 0
		.amdhsa_exception_fp_ieee_inexact 0
		.amdhsa_exception_int_div_zero 0
	.end_amdhsa_kernel
	.section	.text._ZN7rocprim17ROCPRIM_400000_NS6detail17trampoline_kernelINS0_14default_configENS1_35adjacent_difference_config_selectorILb1EdEEZNS1_24adjacent_difference_implIS3_Lb1ELb0EPdS7_N6thrust23THRUST_200600_302600_NS5minusIdEEEE10hipError_tPvRmT2_T3_mT4_P12ihipStream_tbEUlT_E_NS1_11comp_targetILNS1_3genE10ELNS1_11target_archE1201ELNS1_3gpuE5ELNS1_3repE0EEENS1_30default_config_static_selectorELNS0_4arch9wavefront6targetE0EEEvT1_,"axG",@progbits,_ZN7rocprim17ROCPRIM_400000_NS6detail17trampoline_kernelINS0_14default_configENS1_35adjacent_difference_config_selectorILb1EdEEZNS1_24adjacent_difference_implIS3_Lb1ELb0EPdS7_N6thrust23THRUST_200600_302600_NS5minusIdEEEE10hipError_tPvRmT2_T3_mT4_P12ihipStream_tbEUlT_E_NS1_11comp_targetILNS1_3genE10ELNS1_11target_archE1201ELNS1_3gpuE5ELNS1_3repE0EEENS1_30default_config_static_selectorELNS0_4arch9wavefront6targetE0EEEvT1_,comdat
.Lfunc_end20:
	.size	_ZN7rocprim17ROCPRIM_400000_NS6detail17trampoline_kernelINS0_14default_configENS1_35adjacent_difference_config_selectorILb1EdEEZNS1_24adjacent_difference_implIS3_Lb1ELb0EPdS7_N6thrust23THRUST_200600_302600_NS5minusIdEEEE10hipError_tPvRmT2_T3_mT4_P12ihipStream_tbEUlT_E_NS1_11comp_targetILNS1_3genE10ELNS1_11target_archE1201ELNS1_3gpuE5ELNS1_3repE0EEENS1_30default_config_static_selectorELNS0_4arch9wavefront6targetE0EEEvT1_, .Lfunc_end20-_ZN7rocprim17ROCPRIM_400000_NS6detail17trampoline_kernelINS0_14default_configENS1_35adjacent_difference_config_selectorILb1EdEEZNS1_24adjacent_difference_implIS3_Lb1ELb0EPdS7_N6thrust23THRUST_200600_302600_NS5minusIdEEEE10hipError_tPvRmT2_T3_mT4_P12ihipStream_tbEUlT_E_NS1_11comp_targetILNS1_3genE10ELNS1_11target_archE1201ELNS1_3gpuE5ELNS1_3repE0EEENS1_30default_config_static_selectorELNS0_4arch9wavefront6targetE0EEEvT1_
                                        ; -- End function
	.section	.AMDGPU.csdata,"",@progbits
; Kernel info:
; codeLenInByte = 0
; NumSgprs: 0
; NumVgprs: 0
; ScratchSize: 0
; MemoryBound: 0
; FloatMode: 240
; IeeeMode: 1
; LDSByteSize: 0 bytes/workgroup (compile time only)
; SGPRBlocks: 0
; VGPRBlocks: 0
; NumSGPRsForWavesPerEU: 1
; NumVGPRsForWavesPerEU: 1
; Occupancy: 16
; WaveLimiterHint : 0
; COMPUTE_PGM_RSRC2:SCRATCH_EN: 0
; COMPUTE_PGM_RSRC2:USER_SGPR: 15
; COMPUTE_PGM_RSRC2:TRAP_HANDLER: 0
; COMPUTE_PGM_RSRC2:TGID_X_EN: 1
; COMPUTE_PGM_RSRC2:TGID_Y_EN: 0
; COMPUTE_PGM_RSRC2:TGID_Z_EN: 0
; COMPUTE_PGM_RSRC2:TIDIG_COMP_CNT: 0
	.section	.text._ZN7rocprim17ROCPRIM_400000_NS6detail17trampoline_kernelINS0_14default_configENS1_35adjacent_difference_config_selectorILb1EdEEZNS1_24adjacent_difference_implIS3_Lb1ELb0EPdS7_N6thrust23THRUST_200600_302600_NS5minusIdEEEE10hipError_tPvRmT2_T3_mT4_P12ihipStream_tbEUlT_E_NS1_11comp_targetILNS1_3genE5ELNS1_11target_archE942ELNS1_3gpuE9ELNS1_3repE0EEENS1_30default_config_static_selectorELNS0_4arch9wavefront6targetE0EEEvT1_,"axG",@progbits,_ZN7rocprim17ROCPRIM_400000_NS6detail17trampoline_kernelINS0_14default_configENS1_35adjacent_difference_config_selectorILb1EdEEZNS1_24adjacent_difference_implIS3_Lb1ELb0EPdS7_N6thrust23THRUST_200600_302600_NS5minusIdEEEE10hipError_tPvRmT2_T3_mT4_P12ihipStream_tbEUlT_E_NS1_11comp_targetILNS1_3genE5ELNS1_11target_archE942ELNS1_3gpuE9ELNS1_3repE0EEENS1_30default_config_static_selectorELNS0_4arch9wavefront6targetE0EEEvT1_,comdat
	.protected	_ZN7rocprim17ROCPRIM_400000_NS6detail17trampoline_kernelINS0_14default_configENS1_35adjacent_difference_config_selectorILb1EdEEZNS1_24adjacent_difference_implIS3_Lb1ELb0EPdS7_N6thrust23THRUST_200600_302600_NS5minusIdEEEE10hipError_tPvRmT2_T3_mT4_P12ihipStream_tbEUlT_E_NS1_11comp_targetILNS1_3genE5ELNS1_11target_archE942ELNS1_3gpuE9ELNS1_3repE0EEENS1_30default_config_static_selectorELNS0_4arch9wavefront6targetE0EEEvT1_ ; -- Begin function _ZN7rocprim17ROCPRIM_400000_NS6detail17trampoline_kernelINS0_14default_configENS1_35adjacent_difference_config_selectorILb1EdEEZNS1_24adjacent_difference_implIS3_Lb1ELb0EPdS7_N6thrust23THRUST_200600_302600_NS5minusIdEEEE10hipError_tPvRmT2_T3_mT4_P12ihipStream_tbEUlT_E_NS1_11comp_targetILNS1_3genE5ELNS1_11target_archE942ELNS1_3gpuE9ELNS1_3repE0EEENS1_30default_config_static_selectorELNS0_4arch9wavefront6targetE0EEEvT1_
	.globl	_ZN7rocprim17ROCPRIM_400000_NS6detail17trampoline_kernelINS0_14default_configENS1_35adjacent_difference_config_selectorILb1EdEEZNS1_24adjacent_difference_implIS3_Lb1ELb0EPdS7_N6thrust23THRUST_200600_302600_NS5minusIdEEEE10hipError_tPvRmT2_T3_mT4_P12ihipStream_tbEUlT_E_NS1_11comp_targetILNS1_3genE5ELNS1_11target_archE942ELNS1_3gpuE9ELNS1_3repE0EEENS1_30default_config_static_selectorELNS0_4arch9wavefront6targetE0EEEvT1_
	.p2align	8
	.type	_ZN7rocprim17ROCPRIM_400000_NS6detail17trampoline_kernelINS0_14default_configENS1_35adjacent_difference_config_selectorILb1EdEEZNS1_24adjacent_difference_implIS3_Lb1ELb0EPdS7_N6thrust23THRUST_200600_302600_NS5minusIdEEEE10hipError_tPvRmT2_T3_mT4_P12ihipStream_tbEUlT_E_NS1_11comp_targetILNS1_3genE5ELNS1_11target_archE942ELNS1_3gpuE9ELNS1_3repE0EEENS1_30default_config_static_selectorELNS0_4arch9wavefront6targetE0EEEvT1_,@function
_ZN7rocprim17ROCPRIM_400000_NS6detail17trampoline_kernelINS0_14default_configENS1_35adjacent_difference_config_selectorILb1EdEEZNS1_24adjacent_difference_implIS3_Lb1ELb0EPdS7_N6thrust23THRUST_200600_302600_NS5minusIdEEEE10hipError_tPvRmT2_T3_mT4_P12ihipStream_tbEUlT_E_NS1_11comp_targetILNS1_3genE5ELNS1_11target_archE942ELNS1_3gpuE9ELNS1_3repE0EEENS1_30default_config_static_selectorELNS0_4arch9wavefront6targetE0EEEvT1_: ; @_ZN7rocprim17ROCPRIM_400000_NS6detail17trampoline_kernelINS0_14default_configENS1_35adjacent_difference_config_selectorILb1EdEEZNS1_24adjacent_difference_implIS3_Lb1ELb0EPdS7_N6thrust23THRUST_200600_302600_NS5minusIdEEEE10hipError_tPvRmT2_T3_mT4_P12ihipStream_tbEUlT_E_NS1_11comp_targetILNS1_3genE5ELNS1_11target_archE942ELNS1_3gpuE9ELNS1_3repE0EEENS1_30default_config_static_selectorELNS0_4arch9wavefront6targetE0EEEvT1_
; %bb.0:
	.section	.rodata,"a",@progbits
	.p2align	6, 0x0
	.amdhsa_kernel _ZN7rocprim17ROCPRIM_400000_NS6detail17trampoline_kernelINS0_14default_configENS1_35adjacent_difference_config_selectorILb1EdEEZNS1_24adjacent_difference_implIS3_Lb1ELb0EPdS7_N6thrust23THRUST_200600_302600_NS5minusIdEEEE10hipError_tPvRmT2_T3_mT4_P12ihipStream_tbEUlT_E_NS1_11comp_targetILNS1_3genE5ELNS1_11target_archE942ELNS1_3gpuE9ELNS1_3repE0EEENS1_30default_config_static_selectorELNS0_4arch9wavefront6targetE0EEEvT1_
		.amdhsa_group_segment_fixed_size 0
		.amdhsa_private_segment_fixed_size 0
		.amdhsa_kernarg_size 56
		.amdhsa_user_sgpr_count 15
		.amdhsa_user_sgpr_dispatch_ptr 0
		.amdhsa_user_sgpr_queue_ptr 0
		.amdhsa_user_sgpr_kernarg_segment_ptr 1
		.amdhsa_user_sgpr_dispatch_id 0
		.amdhsa_user_sgpr_private_segment_size 0
		.amdhsa_wavefront_size32 1
		.amdhsa_uses_dynamic_stack 0
		.amdhsa_enable_private_segment 0
		.amdhsa_system_sgpr_workgroup_id_x 1
		.amdhsa_system_sgpr_workgroup_id_y 0
		.amdhsa_system_sgpr_workgroup_id_z 0
		.amdhsa_system_sgpr_workgroup_info 0
		.amdhsa_system_vgpr_workitem_id 0
		.amdhsa_next_free_vgpr 1
		.amdhsa_next_free_sgpr 1
		.amdhsa_reserve_vcc 0
		.amdhsa_float_round_mode_32 0
		.amdhsa_float_round_mode_16_64 0
		.amdhsa_float_denorm_mode_32 3
		.amdhsa_float_denorm_mode_16_64 3
		.amdhsa_dx10_clamp 1
		.amdhsa_ieee_mode 1
		.amdhsa_fp16_overflow 0
		.amdhsa_workgroup_processor_mode 1
		.amdhsa_memory_ordered 1
		.amdhsa_forward_progress 0
		.amdhsa_shared_vgpr_count 0
		.amdhsa_exception_fp_ieee_invalid_op 0
		.amdhsa_exception_fp_denorm_src 0
		.amdhsa_exception_fp_ieee_div_zero 0
		.amdhsa_exception_fp_ieee_overflow 0
		.amdhsa_exception_fp_ieee_underflow 0
		.amdhsa_exception_fp_ieee_inexact 0
		.amdhsa_exception_int_div_zero 0
	.end_amdhsa_kernel
	.section	.text._ZN7rocprim17ROCPRIM_400000_NS6detail17trampoline_kernelINS0_14default_configENS1_35adjacent_difference_config_selectorILb1EdEEZNS1_24adjacent_difference_implIS3_Lb1ELb0EPdS7_N6thrust23THRUST_200600_302600_NS5minusIdEEEE10hipError_tPvRmT2_T3_mT4_P12ihipStream_tbEUlT_E_NS1_11comp_targetILNS1_3genE5ELNS1_11target_archE942ELNS1_3gpuE9ELNS1_3repE0EEENS1_30default_config_static_selectorELNS0_4arch9wavefront6targetE0EEEvT1_,"axG",@progbits,_ZN7rocprim17ROCPRIM_400000_NS6detail17trampoline_kernelINS0_14default_configENS1_35adjacent_difference_config_selectorILb1EdEEZNS1_24adjacent_difference_implIS3_Lb1ELb0EPdS7_N6thrust23THRUST_200600_302600_NS5minusIdEEEE10hipError_tPvRmT2_T3_mT4_P12ihipStream_tbEUlT_E_NS1_11comp_targetILNS1_3genE5ELNS1_11target_archE942ELNS1_3gpuE9ELNS1_3repE0EEENS1_30default_config_static_selectorELNS0_4arch9wavefront6targetE0EEEvT1_,comdat
.Lfunc_end21:
	.size	_ZN7rocprim17ROCPRIM_400000_NS6detail17trampoline_kernelINS0_14default_configENS1_35adjacent_difference_config_selectorILb1EdEEZNS1_24adjacent_difference_implIS3_Lb1ELb0EPdS7_N6thrust23THRUST_200600_302600_NS5minusIdEEEE10hipError_tPvRmT2_T3_mT4_P12ihipStream_tbEUlT_E_NS1_11comp_targetILNS1_3genE5ELNS1_11target_archE942ELNS1_3gpuE9ELNS1_3repE0EEENS1_30default_config_static_selectorELNS0_4arch9wavefront6targetE0EEEvT1_, .Lfunc_end21-_ZN7rocprim17ROCPRIM_400000_NS6detail17trampoline_kernelINS0_14default_configENS1_35adjacent_difference_config_selectorILb1EdEEZNS1_24adjacent_difference_implIS3_Lb1ELb0EPdS7_N6thrust23THRUST_200600_302600_NS5minusIdEEEE10hipError_tPvRmT2_T3_mT4_P12ihipStream_tbEUlT_E_NS1_11comp_targetILNS1_3genE5ELNS1_11target_archE942ELNS1_3gpuE9ELNS1_3repE0EEENS1_30default_config_static_selectorELNS0_4arch9wavefront6targetE0EEEvT1_
                                        ; -- End function
	.section	.AMDGPU.csdata,"",@progbits
; Kernel info:
; codeLenInByte = 0
; NumSgprs: 0
; NumVgprs: 0
; ScratchSize: 0
; MemoryBound: 0
; FloatMode: 240
; IeeeMode: 1
; LDSByteSize: 0 bytes/workgroup (compile time only)
; SGPRBlocks: 0
; VGPRBlocks: 0
; NumSGPRsForWavesPerEU: 1
; NumVGPRsForWavesPerEU: 1
; Occupancy: 16
; WaveLimiterHint : 0
; COMPUTE_PGM_RSRC2:SCRATCH_EN: 0
; COMPUTE_PGM_RSRC2:USER_SGPR: 15
; COMPUTE_PGM_RSRC2:TRAP_HANDLER: 0
; COMPUTE_PGM_RSRC2:TGID_X_EN: 1
; COMPUTE_PGM_RSRC2:TGID_Y_EN: 0
; COMPUTE_PGM_RSRC2:TGID_Z_EN: 0
; COMPUTE_PGM_RSRC2:TIDIG_COMP_CNT: 0
	.section	.text._ZN7rocprim17ROCPRIM_400000_NS6detail17trampoline_kernelINS0_14default_configENS1_35adjacent_difference_config_selectorILb1EdEEZNS1_24adjacent_difference_implIS3_Lb1ELb0EPdS7_N6thrust23THRUST_200600_302600_NS5minusIdEEEE10hipError_tPvRmT2_T3_mT4_P12ihipStream_tbEUlT_E_NS1_11comp_targetILNS1_3genE4ELNS1_11target_archE910ELNS1_3gpuE8ELNS1_3repE0EEENS1_30default_config_static_selectorELNS0_4arch9wavefront6targetE0EEEvT1_,"axG",@progbits,_ZN7rocprim17ROCPRIM_400000_NS6detail17trampoline_kernelINS0_14default_configENS1_35adjacent_difference_config_selectorILb1EdEEZNS1_24adjacent_difference_implIS3_Lb1ELb0EPdS7_N6thrust23THRUST_200600_302600_NS5minusIdEEEE10hipError_tPvRmT2_T3_mT4_P12ihipStream_tbEUlT_E_NS1_11comp_targetILNS1_3genE4ELNS1_11target_archE910ELNS1_3gpuE8ELNS1_3repE0EEENS1_30default_config_static_selectorELNS0_4arch9wavefront6targetE0EEEvT1_,comdat
	.protected	_ZN7rocprim17ROCPRIM_400000_NS6detail17trampoline_kernelINS0_14default_configENS1_35adjacent_difference_config_selectorILb1EdEEZNS1_24adjacent_difference_implIS3_Lb1ELb0EPdS7_N6thrust23THRUST_200600_302600_NS5minusIdEEEE10hipError_tPvRmT2_T3_mT4_P12ihipStream_tbEUlT_E_NS1_11comp_targetILNS1_3genE4ELNS1_11target_archE910ELNS1_3gpuE8ELNS1_3repE0EEENS1_30default_config_static_selectorELNS0_4arch9wavefront6targetE0EEEvT1_ ; -- Begin function _ZN7rocprim17ROCPRIM_400000_NS6detail17trampoline_kernelINS0_14default_configENS1_35adjacent_difference_config_selectorILb1EdEEZNS1_24adjacent_difference_implIS3_Lb1ELb0EPdS7_N6thrust23THRUST_200600_302600_NS5minusIdEEEE10hipError_tPvRmT2_T3_mT4_P12ihipStream_tbEUlT_E_NS1_11comp_targetILNS1_3genE4ELNS1_11target_archE910ELNS1_3gpuE8ELNS1_3repE0EEENS1_30default_config_static_selectorELNS0_4arch9wavefront6targetE0EEEvT1_
	.globl	_ZN7rocprim17ROCPRIM_400000_NS6detail17trampoline_kernelINS0_14default_configENS1_35adjacent_difference_config_selectorILb1EdEEZNS1_24adjacent_difference_implIS3_Lb1ELb0EPdS7_N6thrust23THRUST_200600_302600_NS5minusIdEEEE10hipError_tPvRmT2_T3_mT4_P12ihipStream_tbEUlT_E_NS1_11comp_targetILNS1_3genE4ELNS1_11target_archE910ELNS1_3gpuE8ELNS1_3repE0EEENS1_30default_config_static_selectorELNS0_4arch9wavefront6targetE0EEEvT1_
	.p2align	8
	.type	_ZN7rocprim17ROCPRIM_400000_NS6detail17trampoline_kernelINS0_14default_configENS1_35adjacent_difference_config_selectorILb1EdEEZNS1_24adjacent_difference_implIS3_Lb1ELb0EPdS7_N6thrust23THRUST_200600_302600_NS5minusIdEEEE10hipError_tPvRmT2_T3_mT4_P12ihipStream_tbEUlT_E_NS1_11comp_targetILNS1_3genE4ELNS1_11target_archE910ELNS1_3gpuE8ELNS1_3repE0EEENS1_30default_config_static_selectorELNS0_4arch9wavefront6targetE0EEEvT1_,@function
_ZN7rocprim17ROCPRIM_400000_NS6detail17trampoline_kernelINS0_14default_configENS1_35adjacent_difference_config_selectorILb1EdEEZNS1_24adjacent_difference_implIS3_Lb1ELb0EPdS7_N6thrust23THRUST_200600_302600_NS5minusIdEEEE10hipError_tPvRmT2_T3_mT4_P12ihipStream_tbEUlT_E_NS1_11comp_targetILNS1_3genE4ELNS1_11target_archE910ELNS1_3gpuE8ELNS1_3repE0EEENS1_30default_config_static_selectorELNS0_4arch9wavefront6targetE0EEEvT1_: ; @_ZN7rocprim17ROCPRIM_400000_NS6detail17trampoline_kernelINS0_14default_configENS1_35adjacent_difference_config_selectorILb1EdEEZNS1_24adjacent_difference_implIS3_Lb1ELb0EPdS7_N6thrust23THRUST_200600_302600_NS5minusIdEEEE10hipError_tPvRmT2_T3_mT4_P12ihipStream_tbEUlT_E_NS1_11comp_targetILNS1_3genE4ELNS1_11target_archE910ELNS1_3gpuE8ELNS1_3repE0EEENS1_30default_config_static_selectorELNS0_4arch9wavefront6targetE0EEEvT1_
; %bb.0:
	.section	.rodata,"a",@progbits
	.p2align	6, 0x0
	.amdhsa_kernel _ZN7rocprim17ROCPRIM_400000_NS6detail17trampoline_kernelINS0_14default_configENS1_35adjacent_difference_config_selectorILb1EdEEZNS1_24adjacent_difference_implIS3_Lb1ELb0EPdS7_N6thrust23THRUST_200600_302600_NS5minusIdEEEE10hipError_tPvRmT2_T3_mT4_P12ihipStream_tbEUlT_E_NS1_11comp_targetILNS1_3genE4ELNS1_11target_archE910ELNS1_3gpuE8ELNS1_3repE0EEENS1_30default_config_static_selectorELNS0_4arch9wavefront6targetE0EEEvT1_
		.amdhsa_group_segment_fixed_size 0
		.amdhsa_private_segment_fixed_size 0
		.amdhsa_kernarg_size 56
		.amdhsa_user_sgpr_count 15
		.amdhsa_user_sgpr_dispatch_ptr 0
		.amdhsa_user_sgpr_queue_ptr 0
		.amdhsa_user_sgpr_kernarg_segment_ptr 1
		.amdhsa_user_sgpr_dispatch_id 0
		.amdhsa_user_sgpr_private_segment_size 0
		.amdhsa_wavefront_size32 1
		.amdhsa_uses_dynamic_stack 0
		.amdhsa_enable_private_segment 0
		.amdhsa_system_sgpr_workgroup_id_x 1
		.amdhsa_system_sgpr_workgroup_id_y 0
		.amdhsa_system_sgpr_workgroup_id_z 0
		.amdhsa_system_sgpr_workgroup_info 0
		.amdhsa_system_vgpr_workitem_id 0
		.amdhsa_next_free_vgpr 1
		.amdhsa_next_free_sgpr 1
		.amdhsa_reserve_vcc 0
		.amdhsa_float_round_mode_32 0
		.amdhsa_float_round_mode_16_64 0
		.amdhsa_float_denorm_mode_32 3
		.amdhsa_float_denorm_mode_16_64 3
		.amdhsa_dx10_clamp 1
		.amdhsa_ieee_mode 1
		.amdhsa_fp16_overflow 0
		.amdhsa_workgroup_processor_mode 1
		.amdhsa_memory_ordered 1
		.amdhsa_forward_progress 0
		.amdhsa_shared_vgpr_count 0
		.amdhsa_exception_fp_ieee_invalid_op 0
		.amdhsa_exception_fp_denorm_src 0
		.amdhsa_exception_fp_ieee_div_zero 0
		.amdhsa_exception_fp_ieee_overflow 0
		.amdhsa_exception_fp_ieee_underflow 0
		.amdhsa_exception_fp_ieee_inexact 0
		.amdhsa_exception_int_div_zero 0
	.end_amdhsa_kernel
	.section	.text._ZN7rocprim17ROCPRIM_400000_NS6detail17trampoline_kernelINS0_14default_configENS1_35adjacent_difference_config_selectorILb1EdEEZNS1_24adjacent_difference_implIS3_Lb1ELb0EPdS7_N6thrust23THRUST_200600_302600_NS5minusIdEEEE10hipError_tPvRmT2_T3_mT4_P12ihipStream_tbEUlT_E_NS1_11comp_targetILNS1_3genE4ELNS1_11target_archE910ELNS1_3gpuE8ELNS1_3repE0EEENS1_30default_config_static_selectorELNS0_4arch9wavefront6targetE0EEEvT1_,"axG",@progbits,_ZN7rocprim17ROCPRIM_400000_NS6detail17trampoline_kernelINS0_14default_configENS1_35adjacent_difference_config_selectorILb1EdEEZNS1_24adjacent_difference_implIS3_Lb1ELb0EPdS7_N6thrust23THRUST_200600_302600_NS5minusIdEEEE10hipError_tPvRmT2_T3_mT4_P12ihipStream_tbEUlT_E_NS1_11comp_targetILNS1_3genE4ELNS1_11target_archE910ELNS1_3gpuE8ELNS1_3repE0EEENS1_30default_config_static_selectorELNS0_4arch9wavefront6targetE0EEEvT1_,comdat
.Lfunc_end22:
	.size	_ZN7rocprim17ROCPRIM_400000_NS6detail17trampoline_kernelINS0_14default_configENS1_35adjacent_difference_config_selectorILb1EdEEZNS1_24adjacent_difference_implIS3_Lb1ELb0EPdS7_N6thrust23THRUST_200600_302600_NS5minusIdEEEE10hipError_tPvRmT2_T3_mT4_P12ihipStream_tbEUlT_E_NS1_11comp_targetILNS1_3genE4ELNS1_11target_archE910ELNS1_3gpuE8ELNS1_3repE0EEENS1_30default_config_static_selectorELNS0_4arch9wavefront6targetE0EEEvT1_, .Lfunc_end22-_ZN7rocprim17ROCPRIM_400000_NS6detail17trampoline_kernelINS0_14default_configENS1_35adjacent_difference_config_selectorILb1EdEEZNS1_24adjacent_difference_implIS3_Lb1ELb0EPdS7_N6thrust23THRUST_200600_302600_NS5minusIdEEEE10hipError_tPvRmT2_T3_mT4_P12ihipStream_tbEUlT_E_NS1_11comp_targetILNS1_3genE4ELNS1_11target_archE910ELNS1_3gpuE8ELNS1_3repE0EEENS1_30default_config_static_selectorELNS0_4arch9wavefront6targetE0EEEvT1_
                                        ; -- End function
	.section	.AMDGPU.csdata,"",@progbits
; Kernel info:
; codeLenInByte = 0
; NumSgprs: 0
; NumVgprs: 0
; ScratchSize: 0
; MemoryBound: 0
; FloatMode: 240
; IeeeMode: 1
; LDSByteSize: 0 bytes/workgroup (compile time only)
; SGPRBlocks: 0
; VGPRBlocks: 0
; NumSGPRsForWavesPerEU: 1
; NumVGPRsForWavesPerEU: 1
; Occupancy: 16
; WaveLimiterHint : 0
; COMPUTE_PGM_RSRC2:SCRATCH_EN: 0
; COMPUTE_PGM_RSRC2:USER_SGPR: 15
; COMPUTE_PGM_RSRC2:TRAP_HANDLER: 0
; COMPUTE_PGM_RSRC2:TGID_X_EN: 1
; COMPUTE_PGM_RSRC2:TGID_Y_EN: 0
; COMPUTE_PGM_RSRC2:TGID_Z_EN: 0
; COMPUTE_PGM_RSRC2:TIDIG_COMP_CNT: 0
	.section	.text._ZN7rocprim17ROCPRIM_400000_NS6detail17trampoline_kernelINS0_14default_configENS1_35adjacent_difference_config_selectorILb1EdEEZNS1_24adjacent_difference_implIS3_Lb1ELb0EPdS7_N6thrust23THRUST_200600_302600_NS5minusIdEEEE10hipError_tPvRmT2_T3_mT4_P12ihipStream_tbEUlT_E_NS1_11comp_targetILNS1_3genE3ELNS1_11target_archE908ELNS1_3gpuE7ELNS1_3repE0EEENS1_30default_config_static_selectorELNS0_4arch9wavefront6targetE0EEEvT1_,"axG",@progbits,_ZN7rocprim17ROCPRIM_400000_NS6detail17trampoline_kernelINS0_14default_configENS1_35adjacent_difference_config_selectorILb1EdEEZNS1_24adjacent_difference_implIS3_Lb1ELb0EPdS7_N6thrust23THRUST_200600_302600_NS5minusIdEEEE10hipError_tPvRmT2_T3_mT4_P12ihipStream_tbEUlT_E_NS1_11comp_targetILNS1_3genE3ELNS1_11target_archE908ELNS1_3gpuE7ELNS1_3repE0EEENS1_30default_config_static_selectorELNS0_4arch9wavefront6targetE0EEEvT1_,comdat
	.protected	_ZN7rocprim17ROCPRIM_400000_NS6detail17trampoline_kernelINS0_14default_configENS1_35adjacent_difference_config_selectorILb1EdEEZNS1_24adjacent_difference_implIS3_Lb1ELb0EPdS7_N6thrust23THRUST_200600_302600_NS5minusIdEEEE10hipError_tPvRmT2_T3_mT4_P12ihipStream_tbEUlT_E_NS1_11comp_targetILNS1_3genE3ELNS1_11target_archE908ELNS1_3gpuE7ELNS1_3repE0EEENS1_30default_config_static_selectorELNS0_4arch9wavefront6targetE0EEEvT1_ ; -- Begin function _ZN7rocprim17ROCPRIM_400000_NS6detail17trampoline_kernelINS0_14default_configENS1_35adjacent_difference_config_selectorILb1EdEEZNS1_24adjacent_difference_implIS3_Lb1ELb0EPdS7_N6thrust23THRUST_200600_302600_NS5minusIdEEEE10hipError_tPvRmT2_T3_mT4_P12ihipStream_tbEUlT_E_NS1_11comp_targetILNS1_3genE3ELNS1_11target_archE908ELNS1_3gpuE7ELNS1_3repE0EEENS1_30default_config_static_selectorELNS0_4arch9wavefront6targetE0EEEvT1_
	.globl	_ZN7rocprim17ROCPRIM_400000_NS6detail17trampoline_kernelINS0_14default_configENS1_35adjacent_difference_config_selectorILb1EdEEZNS1_24adjacent_difference_implIS3_Lb1ELb0EPdS7_N6thrust23THRUST_200600_302600_NS5minusIdEEEE10hipError_tPvRmT2_T3_mT4_P12ihipStream_tbEUlT_E_NS1_11comp_targetILNS1_3genE3ELNS1_11target_archE908ELNS1_3gpuE7ELNS1_3repE0EEENS1_30default_config_static_selectorELNS0_4arch9wavefront6targetE0EEEvT1_
	.p2align	8
	.type	_ZN7rocprim17ROCPRIM_400000_NS6detail17trampoline_kernelINS0_14default_configENS1_35adjacent_difference_config_selectorILb1EdEEZNS1_24adjacent_difference_implIS3_Lb1ELb0EPdS7_N6thrust23THRUST_200600_302600_NS5minusIdEEEE10hipError_tPvRmT2_T3_mT4_P12ihipStream_tbEUlT_E_NS1_11comp_targetILNS1_3genE3ELNS1_11target_archE908ELNS1_3gpuE7ELNS1_3repE0EEENS1_30default_config_static_selectorELNS0_4arch9wavefront6targetE0EEEvT1_,@function
_ZN7rocprim17ROCPRIM_400000_NS6detail17trampoline_kernelINS0_14default_configENS1_35adjacent_difference_config_selectorILb1EdEEZNS1_24adjacent_difference_implIS3_Lb1ELb0EPdS7_N6thrust23THRUST_200600_302600_NS5minusIdEEEE10hipError_tPvRmT2_T3_mT4_P12ihipStream_tbEUlT_E_NS1_11comp_targetILNS1_3genE3ELNS1_11target_archE908ELNS1_3gpuE7ELNS1_3repE0EEENS1_30default_config_static_selectorELNS0_4arch9wavefront6targetE0EEEvT1_: ; @_ZN7rocprim17ROCPRIM_400000_NS6detail17trampoline_kernelINS0_14default_configENS1_35adjacent_difference_config_selectorILb1EdEEZNS1_24adjacent_difference_implIS3_Lb1ELb0EPdS7_N6thrust23THRUST_200600_302600_NS5minusIdEEEE10hipError_tPvRmT2_T3_mT4_P12ihipStream_tbEUlT_E_NS1_11comp_targetILNS1_3genE3ELNS1_11target_archE908ELNS1_3gpuE7ELNS1_3repE0EEENS1_30default_config_static_selectorELNS0_4arch9wavefront6targetE0EEEvT1_
; %bb.0:
	.section	.rodata,"a",@progbits
	.p2align	6, 0x0
	.amdhsa_kernel _ZN7rocprim17ROCPRIM_400000_NS6detail17trampoline_kernelINS0_14default_configENS1_35adjacent_difference_config_selectorILb1EdEEZNS1_24adjacent_difference_implIS3_Lb1ELb0EPdS7_N6thrust23THRUST_200600_302600_NS5minusIdEEEE10hipError_tPvRmT2_T3_mT4_P12ihipStream_tbEUlT_E_NS1_11comp_targetILNS1_3genE3ELNS1_11target_archE908ELNS1_3gpuE7ELNS1_3repE0EEENS1_30default_config_static_selectorELNS0_4arch9wavefront6targetE0EEEvT1_
		.amdhsa_group_segment_fixed_size 0
		.amdhsa_private_segment_fixed_size 0
		.amdhsa_kernarg_size 56
		.amdhsa_user_sgpr_count 15
		.amdhsa_user_sgpr_dispatch_ptr 0
		.amdhsa_user_sgpr_queue_ptr 0
		.amdhsa_user_sgpr_kernarg_segment_ptr 1
		.amdhsa_user_sgpr_dispatch_id 0
		.amdhsa_user_sgpr_private_segment_size 0
		.amdhsa_wavefront_size32 1
		.amdhsa_uses_dynamic_stack 0
		.amdhsa_enable_private_segment 0
		.amdhsa_system_sgpr_workgroup_id_x 1
		.amdhsa_system_sgpr_workgroup_id_y 0
		.amdhsa_system_sgpr_workgroup_id_z 0
		.amdhsa_system_sgpr_workgroup_info 0
		.amdhsa_system_vgpr_workitem_id 0
		.amdhsa_next_free_vgpr 1
		.amdhsa_next_free_sgpr 1
		.amdhsa_reserve_vcc 0
		.amdhsa_float_round_mode_32 0
		.amdhsa_float_round_mode_16_64 0
		.amdhsa_float_denorm_mode_32 3
		.amdhsa_float_denorm_mode_16_64 3
		.amdhsa_dx10_clamp 1
		.amdhsa_ieee_mode 1
		.amdhsa_fp16_overflow 0
		.amdhsa_workgroup_processor_mode 1
		.amdhsa_memory_ordered 1
		.amdhsa_forward_progress 0
		.amdhsa_shared_vgpr_count 0
		.amdhsa_exception_fp_ieee_invalid_op 0
		.amdhsa_exception_fp_denorm_src 0
		.amdhsa_exception_fp_ieee_div_zero 0
		.amdhsa_exception_fp_ieee_overflow 0
		.amdhsa_exception_fp_ieee_underflow 0
		.amdhsa_exception_fp_ieee_inexact 0
		.amdhsa_exception_int_div_zero 0
	.end_amdhsa_kernel
	.section	.text._ZN7rocprim17ROCPRIM_400000_NS6detail17trampoline_kernelINS0_14default_configENS1_35adjacent_difference_config_selectorILb1EdEEZNS1_24adjacent_difference_implIS3_Lb1ELb0EPdS7_N6thrust23THRUST_200600_302600_NS5minusIdEEEE10hipError_tPvRmT2_T3_mT4_P12ihipStream_tbEUlT_E_NS1_11comp_targetILNS1_3genE3ELNS1_11target_archE908ELNS1_3gpuE7ELNS1_3repE0EEENS1_30default_config_static_selectorELNS0_4arch9wavefront6targetE0EEEvT1_,"axG",@progbits,_ZN7rocprim17ROCPRIM_400000_NS6detail17trampoline_kernelINS0_14default_configENS1_35adjacent_difference_config_selectorILb1EdEEZNS1_24adjacent_difference_implIS3_Lb1ELb0EPdS7_N6thrust23THRUST_200600_302600_NS5minusIdEEEE10hipError_tPvRmT2_T3_mT4_P12ihipStream_tbEUlT_E_NS1_11comp_targetILNS1_3genE3ELNS1_11target_archE908ELNS1_3gpuE7ELNS1_3repE0EEENS1_30default_config_static_selectorELNS0_4arch9wavefront6targetE0EEEvT1_,comdat
.Lfunc_end23:
	.size	_ZN7rocprim17ROCPRIM_400000_NS6detail17trampoline_kernelINS0_14default_configENS1_35adjacent_difference_config_selectorILb1EdEEZNS1_24adjacent_difference_implIS3_Lb1ELb0EPdS7_N6thrust23THRUST_200600_302600_NS5minusIdEEEE10hipError_tPvRmT2_T3_mT4_P12ihipStream_tbEUlT_E_NS1_11comp_targetILNS1_3genE3ELNS1_11target_archE908ELNS1_3gpuE7ELNS1_3repE0EEENS1_30default_config_static_selectorELNS0_4arch9wavefront6targetE0EEEvT1_, .Lfunc_end23-_ZN7rocprim17ROCPRIM_400000_NS6detail17trampoline_kernelINS0_14default_configENS1_35adjacent_difference_config_selectorILb1EdEEZNS1_24adjacent_difference_implIS3_Lb1ELb0EPdS7_N6thrust23THRUST_200600_302600_NS5minusIdEEEE10hipError_tPvRmT2_T3_mT4_P12ihipStream_tbEUlT_E_NS1_11comp_targetILNS1_3genE3ELNS1_11target_archE908ELNS1_3gpuE7ELNS1_3repE0EEENS1_30default_config_static_selectorELNS0_4arch9wavefront6targetE0EEEvT1_
                                        ; -- End function
	.section	.AMDGPU.csdata,"",@progbits
; Kernel info:
; codeLenInByte = 0
; NumSgprs: 0
; NumVgprs: 0
; ScratchSize: 0
; MemoryBound: 0
; FloatMode: 240
; IeeeMode: 1
; LDSByteSize: 0 bytes/workgroup (compile time only)
; SGPRBlocks: 0
; VGPRBlocks: 0
; NumSGPRsForWavesPerEU: 1
; NumVGPRsForWavesPerEU: 1
; Occupancy: 16
; WaveLimiterHint : 0
; COMPUTE_PGM_RSRC2:SCRATCH_EN: 0
; COMPUTE_PGM_RSRC2:USER_SGPR: 15
; COMPUTE_PGM_RSRC2:TRAP_HANDLER: 0
; COMPUTE_PGM_RSRC2:TGID_X_EN: 1
; COMPUTE_PGM_RSRC2:TGID_Y_EN: 0
; COMPUTE_PGM_RSRC2:TGID_Z_EN: 0
; COMPUTE_PGM_RSRC2:TIDIG_COMP_CNT: 0
	.section	.text._ZN7rocprim17ROCPRIM_400000_NS6detail17trampoline_kernelINS0_14default_configENS1_35adjacent_difference_config_selectorILb1EdEEZNS1_24adjacent_difference_implIS3_Lb1ELb0EPdS7_N6thrust23THRUST_200600_302600_NS5minusIdEEEE10hipError_tPvRmT2_T3_mT4_P12ihipStream_tbEUlT_E_NS1_11comp_targetILNS1_3genE2ELNS1_11target_archE906ELNS1_3gpuE6ELNS1_3repE0EEENS1_30default_config_static_selectorELNS0_4arch9wavefront6targetE0EEEvT1_,"axG",@progbits,_ZN7rocprim17ROCPRIM_400000_NS6detail17trampoline_kernelINS0_14default_configENS1_35adjacent_difference_config_selectorILb1EdEEZNS1_24adjacent_difference_implIS3_Lb1ELb0EPdS7_N6thrust23THRUST_200600_302600_NS5minusIdEEEE10hipError_tPvRmT2_T3_mT4_P12ihipStream_tbEUlT_E_NS1_11comp_targetILNS1_3genE2ELNS1_11target_archE906ELNS1_3gpuE6ELNS1_3repE0EEENS1_30default_config_static_selectorELNS0_4arch9wavefront6targetE0EEEvT1_,comdat
	.protected	_ZN7rocprim17ROCPRIM_400000_NS6detail17trampoline_kernelINS0_14default_configENS1_35adjacent_difference_config_selectorILb1EdEEZNS1_24adjacent_difference_implIS3_Lb1ELb0EPdS7_N6thrust23THRUST_200600_302600_NS5minusIdEEEE10hipError_tPvRmT2_T3_mT4_P12ihipStream_tbEUlT_E_NS1_11comp_targetILNS1_3genE2ELNS1_11target_archE906ELNS1_3gpuE6ELNS1_3repE0EEENS1_30default_config_static_selectorELNS0_4arch9wavefront6targetE0EEEvT1_ ; -- Begin function _ZN7rocprim17ROCPRIM_400000_NS6detail17trampoline_kernelINS0_14default_configENS1_35adjacent_difference_config_selectorILb1EdEEZNS1_24adjacent_difference_implIS3_Lb1ELb0EPdS7_N6thrust23THRUST_200600_302600_NS5minusIdEEEE10hipError_tPvRmT2_T3_mT4_P12ihipStream_tbEUlT_E_NS1_11comp_targetILNS1_3genE2ELNS1_11target_archE906ELNS1_3gpuE6ELNS1_3repE0EEENS1_30default_config_static_selectorELNS0_4arch9wavefront6targetE0EEEvT1_
	.globl	_ZN7rocprim17ROCPRIM_400000_NS6detail17trampoline_kernelINS0_14default_configENS1_35adjacent_difference_config_selectorILb1EdEEZNS1_24adjacent_difference_implIS3_Lb1ELb0EPdS7_N6thrust23THRUST_200600_302600_NS5minusIdEEEE10hipError_tPvRmT2_T3_mT4_P12ihipStream_tbEUlT_E_NS1_11comp_targetILNS1_3genE2ELNS1_11target_archE906ELNS1_3gpuE6ELNS1_3repE0EEENS1_30default_config_static_selectorELNS0_4arch9wavefront6targetE0EEEvT1_
	.p2align	8
	.type	_ZN7rocprim17ROCPRIM_400000_NS6detail17trampoline_kernelINS0_14default_configENS1_35adjacent_difference_config_selectorILb1EdEEZNS1_24adjacent_difference_implIS3_Lb1ELb0EPdS7_N6thrust23THRUST_200600_302600_NS5minusIdEEEE10hipError_tPvRmT2_T3_mT4_P12ihipStream_tbEUlT_E_NS1_11comp_targetILNS1_3genE2ELNS1_11target_archE906ELNS1_3gpuE6ELNS1_3repE0EEENS1_30default_config_static_selectorELNS0_4arch9wavefront6targetE0EEEvT1_,@function
_ZN7rocprim17ROCPRIM_400000_NS6detail17trampoline_kernelINS0_14default_configENS1_35adjacent_difference_config_selectorILb1EdEEZNS1_24adjacent_difference_implIS3_Lb1ELb0EPdS7_N6thrust23THRUST_200600_302600_NS5minusIdEEEE10hipError_tPvRmT2_T3_mT4_P12ihipStream_tbEUlT_E_NS1_11comp_targetILNS1_3genE2ELNS1_11target_archE906ELNS1_3gpuE6ELNS1_3repE0EEENS1_30default_config_static_selectorELNS0_4arch9wavefront6targetE0EEEvT1_: ; @_ZN7rocprim17ROCPRIM_400000_NS6detail17trampoline_kernelINS0_14default_configENS1_35adjacent_difference_config_selectorILb1EdEEZNS1_24adjacent_difference_implIS3_Lb1ELb0EPdS7_N6thrust23THRUST_200600_302600_NS5minusIdEEEE10hipError_tPvRmT2_T3_mT4_P12ihipStream_tbEUlT_E_NS1_11comp_targetILNS1_3genE2ELNS1_11target_archE906ELNS1_3gpuE6ELNS1_3repE0EEENS1_30default_config_static_selectorELNS0_4arch9wavefront6targetE0EEEvT1_
; %bb.0:
	.section	.rodata,"a",@progbits
	.p2align	6, 0x0
	.amdhsa_kernel _ZN7rocprim17ROCPRIM_400000_NS6detail17trampoline_kernelINS0_14default_configENS1_35adjacent_difference_config_selectorILb1EdEEZNS1_24adjacent_difference_implIS3_Lb1ELb0EPdS7_N6thrust23THRUST_200600_302600_NS5minusIdEEEE10hipError_tPvRmT2_T3_mT4_P12ihipStream_tbEUlT_E_NS1_11comp_targetILNS1_3genE2ELNS1_11target_archE906ELNS1_3gpuE6ELNS1_3repE0EEENS1_30default_config_static_selectorELNS0_4arch9wavefront6targetE0EEEvT1_
		.amdhsa_group_segment_fixed_size 0
		.amdhsa_private_segment_fixed_size 0
		.amdhsa_kernarg_size 56
		.amdhsa_user_sgpr_count 15
		.amdhsa_user_sgpr_dispatch_ptr 0
		.amdhsa_user_sgpr_queue_ptr 0
		.amdhsa_user_sgpr_kernarg_segment_ptr 1
		.amdhsa_user_sgpr_dispatch_id 0
		.amdhsa_user_sgpr_private_segment_size 0
		.amdhsa_wavefront_size32 1
		.amdhsa_uses_dynamic_stack 0
		.amdhsa_enable_private_segment 0
		.amdhsa_system_sgpr_workgroup_id_x 1
		.amdhsa_system_sgpr_workgroup_id_y 0
		.amdhsa_system_sgpr_workgroup_id_z 0
		.amdhsa_system_sgpr_workgroup_info 0
		.amdhsa_system_vgpr_workitem_id 0
		.amdhsa_next_free_vgpr 1
		.amdhsa_next_free_sgpr 1
		.amdhsa_reserve_vcc 0
		.amdhsa_float_round_mode_32 0
		.amdhsa_float_round_mode_16_64 0
		.amdhsa_float_denorm_mode_32 3
		.amdhsa_float_denorm_mode_16_64 3
		.amdhsa_dx10_clamp 1
		.amdhsa_ieee_mode 1
		.amdhsa_fp16_overflow 0
		.amdhsa_workgroup_processor_mode 1
		.amdhsa_memory_ordered 1
		.amdhsa_forward_progress 0
		.amdhsa_shared_vgpr_count 0
		.amdhsa_exception_fp_ieee_invalid_op 0
		.amdhsa_exception_fp_denorm_src 0
		.amdhsa_exception_fp_ieee_div_zero 0
		.amdhsa_exception_fp_ieee_overflow 0
		.amdhsa_exception_fp_ieee_underflow 0
		.amdhsa_exception_fp_ieee_inexact 0
		.amdhsa_exception_int_div_zero 0
	.end_amdhsa_kernel
	.section	.text._ZN7rocprim17ROCPRIM_400000_NS6detail17trampoline_kernelINS0_14default_configENS1_35adjacent_difference_config_selectorILb1EdEEZNS1_24adjacent_difference_implIS3_Lb1ELb0EPdS7_N6thrust23THRUST_200600_302600_NS5minusIdEEEE10hipError_tPvRmT2_T3_mT4_P12ihipStream_tbEUlT_E_NS1_11comp_targetILNS1_3genE2ELNS1_11target_archE906ELNS1_3gpuE6ELNS1_3repE0EEENS1_30default_config_static_selectorELNS0_4arch9wavefront6targetE0EEEvT1_,"axG",@progbits,_ZN7rocprim17ROCPRIM_400000_NS6detail17trampoline_kernelINS0_14default_configENS1_35adjacent_difference_config_selectorILb1EdEEZNS1_24adjacent_difference_implIS3_Lb1ELb0EPdS7_N6thrust23THRUST_200600_302600_NS5minusIdEEEE10hipError_tPvRmT2_T3_mT4_P12ihipStream_tbEUlT_E_NS1_11comp_targetILNS1_3genE2ELNS1_11target_archE906ELNS1_3gpuE6ELNS1_3repE0EEENS1_30default_config_static_selectorELNS0_4arch9wavefront6targetE0EEEvT1_,comdat
.Lfunc_end24:
	.size	_ZN7rocprim17ROCPRIM_400000_NS6detail17trampoline_kernelINS0_14default_configENS1_35adjacent_difference_config_selectorILb1EdEEZNS1_24adjacent_difference_implIS3_Lb1ELb0EPdS7_N6thrust23THRUST_200600_302600_NS5minusIdEEEE10hipError_tPvRmT2_T3_mT4_P12ihipStream_tbEUlT_E_NS1_11comp_targetILNS1_3genE2ELNS1_11target_archE906ELNS1_3gpuE6ELNS1_3repE0EEENS1_30default_config_static_selectorELNS0_4arch9wavefront6targetE0EEEvT1_, .Lfunc_end24-_ZN7rocprim17ROCPRIM_400000_NS6detail17trampoline_kernelINS0_14default_configENS1_35adjacent_difference_config_selectorILb1EdEEZNS1_24adjacent_difference_implIS3_Lb1ELb0EPdS7_N6thrust23THRUST_200600_302600_NS5minusIdEEEE10hipError_tPvRmT2_T3_mT4_P12ihipStream_tbEUlT_E_NS1_11comp_targetILNS1_3genE2ELNS1_11target_archE906ELNS1_3gpuE6ELNS1_3repE0EEENS1_30default_config_static_selectorELNS0_4arch9wavefront6targetE0EEEvT1_
                                        ; -- End function
	.section	.AMDGPU.csdata,"",@progbits
; Kernel info:
; codeLenInByte = 0
; NumSgprs: 0
; NumVgprs: 0
; ScratchSize: 0
; MemoryBound: 0
; FloatMode: 240
; IeeeMode: 1
; LDSByteSize: 0 bytes/workgroup (compile time only)
; SGPRBlocks: 0
; VGPRBlocks: 0
; NumSGPRsForWavesPerEU: 1
; NumVGPRsForWavesPerEU: 1
; Occupancy: 16
; WaveLimiterHint : 0
; COMPUTE_PGM_RSRC2:SCRATCH_EN: 0
; COMPUTE_PGM_RSRC2:USER_SGPR: 15
; COMPUTE_PGM_RSRC2:TRAP_HANDLER: 0
; COMPUTE_PGM_RSRC2:TGID_X_EN: 1
; COMPUTE_PGM_RSRC2:TGID_Y_EN: 0
; COMPUTE_PGM_RSRC2:TGID_Z_EN: 0
; COMPUTE_PGM_RSRC2:TIDIG_COMP_CNT: 0
	.section	.text._ZN7rocprim17ROCPRIM_400000_NS6detail17trampoline_kernelINS0_14default_configENS1_35adjacent_difference_config_selectorILb1EdEEZNS1_24adjacent_difference_implIS3_Lb1ELb0EPdS7_N6thrust23THRUST_200600_302600_NS5minusIdEEEE10hipError_tPvRmT2_T3_mT4_P12ihipStream_tbEUlT_E_NS1_11comp_targetILNS1_3genE9ELNS1_11target_archE1100ELNS1_3gpuE3ELNS1_3repE0EEENS1_30default_config_static_selectorELNS0_4arch9wavefront6targetE0EEEvT1_,"axG",@progbits,_ZN7rocprim17ROCPRIM_400000_NS6detail17trampoline_kernelINS0_14default_configENS1_35adjacent_difference_config_selectorILb1EdEEZNS1_24adjacent_difference_implIS3_Lb1ELb0EPdS7_N6thrust23THRUST_200600_302600_NS5minusIdEEEE10hipError_tPvRmT2_T3_mT4_P12ihipStream_tbEUlT_E_NS1_11comp_targetILNS1_3genE9ELNS1_11target_archE1100ELNS1_3gpuE3ELNS1_3repE0EEENS1_30default_config_static_selectorELNS0_4arch9wavefront6targetE0EEEvT1_,comdat
	.protected	_ZN7rocprim17ROCPRIM_400000_NS6detail17trampoline_kernelINS0_14default_configENS1_35adjacent_difference_config_selectorILb1EdEEZNS1_24adjacent_difference_implIS3_Lb1ELb0EPdS7_N6thrust23THRUST_200600_302600_NS5minusIdEEEE10hipError_tPvRmT2_T3_mT4_P12ihipStream_tbEUlT_E_NS1_11comp_targetILNS1_3genE9ELNS1_11target_archE1100ELNS1_3gpuE3ELNS1_3repE0EEENS1_30default_config_static_selectorELNS0_4arch9wavefront6targetE0EEEvT1_ ; -- Begin function _ZN7rocprim17ROCPRIM_400000_NS6detail17trampoline_kernelINS0_14default_configENS1_35adjacent_difference_config_selectorILb1EdEEZNS1_24adjacent_difference_implIS3_Lb1ELb0EPdS7_N6thrust23THRUST_200600_302600_NS5minusIdEEEE10hipError_tPvRmT2_T3_mT4_P12ihipStream_tbEUlT_E_NS1_11comp_targetILNS1_3genE9ELNS1_11target_archE1100ELNS1_3gpuE3ELNS1_3repE0EEENS1_30default_config_static_selectorELNS0_4arch9wavefront6targetE0EEEvT1_
	.globl	_ZN7rocprim17ROCPRIM_400000_NS6detail17trampoline_kernelINS0_14default_configENS1_35adjacent_difference_config_selectorILb1EdEEZNS1_24adjacent_difference_implIS3_Lb1ELb0EPdS7_N6thrust23THRUST_200600_302600_NS5minusIdEEEE10hipError_tPvRmT2_T3_mT4_P12ihipStream_tbEUlT_E_NS1_11comp_targetILNS1_3genE9ELNS1_11target_archE1100ELNS1_3gpuE3ELNS1_3repE0EEENS1_30default_config_static_selectorELNS0_4arch9wavefront6targetE0EEEvT1_
	.p2align	8
	.type	_ZN7rocprim17ROCPRIM_400000_NS6detail17trampoline_kernelINS0_14default_configENS1_35adjacent_difference_config_selectorILb1EdEEZNS1_24adjacent_difference_implIS3_Lb1ELb0EPdS7_N6thrust23THRUST_200600_302600_NS5minusIdEEEE10hipError_tPvRmT2_T3_mT4_P12ihipStream_tbEUlT_E_NS1_11comp_targetILNS1_3genE9ELNS1_11target_archE1100ELNS1_3gpuE3ELNS1_3repE0EEENS1_30default_config_static_selectorELNS0_4arch9wavefront6targetE0EEEvT1_,@function
_ZN7rocprim17ROCPRIM_400000_NS6detail17trampoline_kernelINS0_14default_configENS1_35adjacent_difference_config_selectorILb1EdEEZNS1_24adjacent_difference_implIS3_Lb1ELb0EPdS7_N6thrust23THRUST_200600_302600_NS5minusIdEEEE10hipError_tPvRmT2_T3_mT4_P12ihipStream_tbEUlT_E_NS1_11comp_targetILNS1_3genE9ELNS1_11target_archE1100ELNS1_3gpuE3ELNS1_3repE0EEENS1_30default_config_static_selectorELNS0_4arch9wavefront6targetE0EEEvT1_: ; @_ZN7rocprim17ROCPRIM_400000_NS6detail17trampoline_kernelINS0_14default_configENS1_35adjacent_difference_config_selectorILb1EdEEZNS1_24adjacent_difference_implIS3_Lb1ELb0EPdS7_N6thrust23THRUST_200600_302600_NS5minusIdEEEE10hipError_tPvRmT2_T3_mT4_P12ihipStream_tbEUlT_E_NS1_11comp_targetILNS1_3genE9ELNS1_11target_archE1100ELNS1_3gpuE3ELNS1_3repE0EEENS1_30default_config_static_selectorELNS0_4arch9wavefront6targetE0EEEvT1_
; %bb.0:
	s_load_b256 s[4:11], s[0:1], 0x0
	s_mov_b32 s2, 0x411a7a30
	s_mov_b32 s16, s15
	s_waitcnt lgkmcnt(0)
	s_lshl_b64 s[12:13], s[6:7], 3
	s_delay_alu instid0(SALU_CYCLE_1) | instskip(SKIP_4) | instid1(VALU_DEP_1)
	s_add_u32 s23, s4, s12
	s_addc_u32 s24, s5, s13
	s_add_u32 s2, 0x76, s2
	s_addc_u32 s3, 0, 0
	v_add_co_u32 v1, s2, 0x20000000, s2
	s_cmp_lg_u32 s2, 0
	s_addc_u32 s3, s3, 0x11a7b9
	s_delay_alu instid0(VALU_DEP_1) | instskip(SKIP_1) | instid1(VALU_DEP_1)
	v_readfirstlane_b32 s2, v1
	s_mul_i32 s4, s3, 0xfffff180
	s_mul_hi_u32 s5, s2, 0xfffff180
	s_mul_i32 s6, s2, 0xfffff180
	s_sub_i32 s5, s5, s2
	s_mul_hi_u32 s7, s2, s6
	s_add_i32 s5, s5, s4
	s_mul_hi_u32 s14, s3, s6
	s_mul_i32 s4, s3, s6
	s_mul_hi_u32 s6, s2, s5
	s_mul_i32 s2, s2, s5
	s_mul_hi_u32 s15, s3, s5
	s_add_u32 s2, s7, s2
	s_addc_u32 s6, 0, s6
	s_add_u32 s2, s2, s4
	s_mul_i32 s5, s3, s5
	s_addc_u32 s2, s6, s14
	s_addc_u32 s4, s15, 0
	s_add_u32 s2, s2, s5
	s_addc_u32 s4, 0, s4
	v_add_co_u32 v1, s2, v1, s2
	s_delay_alu instid0(VALU_DEP_1) | instskip(SKIP_1) | instid1(VALU_DEP_1)
	s_cmp_lg_u32 s2, 0
	s_addc_u32 s2, s3, s4
	v_readfirstlane_b32 s3, v1
	s_mul_i32 s5, s10, s2
	s_mul_hi_u32 s4, s10, s2
	s_mul_hi_u32 s6, s11, s2
	s_mul_i32 s2, s11, s2
	s_mul_hi_u32 s7, s10, s3
	s_mul_hi_u32 s14, s11, s3
	s_mul_i32 s3, s11, s3
	s_add_u32 s5, s7, s5
	s_addc_u32 s4, 0, s4
	s_add_u32 s3, s5, s3
	s_addc_u32 s3, s4, s14
	s_addc_u32 s4, s6, 0
	s_add_u32 s5, s3, s2
	s_addc_u32 s4, 0, s4
	s_mul_i32 s3, s5, 0xe80
	s_add_u32 s2, s5, 1
	v_sub_co_u32 v1, s3, s10, s3
	s_mul_hi_u32 s6, s5, 0xe80
	s_addc_u32 s7, s4, 0
	s_mul_i32 s14, s4, 0xe80
	s_delay_alu instid0(VALU_DEP_1)
	v_subrev_co_u32 v2, s15, 0xe80, v1
	s_add_u32 s17, s5, 2
	s_addc_u32 s18, s4, 0
	s_add_i32 s6, s6, s14
	s_cmp_lg_u32 s3, 0
	v_readfirstlane_b32 s3, v2
	s_subb_u32 s6, s11, s6
	s_cmp_lg_u32 s15, 0
	s_subb_u32 s14, s6, 0
	s_delay_alu instid0(VALU_DEP_1) | instskip(SKIP_4) | instid1(SALU_CYCLE_1)
	s_cmpk_gt_u32 s3, 0xe7f
	s_cselect_b32 s3, -1, 0
	s_cmp_eq_u32 s14, 0
	v_readfirstlane_b32 s14, v1
	s_cselect_b32 s3, s3, -1
	s_cmp_lg_u32 s3, 0
	s_cselect_b32 s15, s17, s2
	s_cselect_b32 s7, s18, s7
	s_cmpk_gt_u32 s14, 0xe7f
	s_mov_b32 s17, 0
	s_cselect_b32 s2, -1, 0
	s_cmp_eq_u32 s6, 0
	s_cselect_b32 s2, s2, -1
	s_delay_alu instid0(SALU_CYCLE_1)
	s_cmp_lg_u32 s2, 0
	s_load_b128 s[0:3], s[0:1], 0x28
	s_cselect_b32 s6, s7, s4
	s_cselect_b32 s7, s15, s5
	s_mul_i32 s4, s6, 0xe80
	s_mul_hi_u32 s5, s7, 0xe80
	s_mul_i32 s14, s7, 0xe80
	s_add_i32 s5, s5, s4
	s_sub_u32 s4, s10, s14
	s_subb_u32 s5, s11, s5
	s_delay_alu instid0(SALU_CYCLE_1) | instskip(SKIP_1) | instid1(SALU_CYCLE_1)
	s_cmp_lg_u64 s[4:5], 0
	s_cselect_b32 s4, -1, 0
	v_cndmask_b32_e64 v1, 0, 1, s4
	s_delay_alu instid0(VALU_DEP_1) | instskip(NEXT) | instid1(VALU_DEP_1)
	v_readfirstlane_b32 s4, v1
	s_add_u32 s14, s7, s4
	s_addc_u32 s15, s6, 0
	s_waitcnt lgkmcnt(0)
	s_add_u32 s4, s2, s16
	s_addc_u32 s5, s3, 0
	s_add_u32 s18, s14, -1
	s_addc_u32 s19, s15, -1
	s_mul_i32 s6, s16, 0xe80
	v_cmp_ge_u64_e64 s22, s[4:5], s[18:19]
	s_mov_b32 s7, -1
	s_mul_i32 s11, s18, 0xfffff180
	s_delay_alu instid0(VALU_DEP_1)
	s_and_b32 vcc_lo, exec_lo, s22
	s_cbranch_vccz .LBB25_60
; %bb.1:
	s_mov_b32 s7, s17
	s_add_i32 s25, s11, s10
	s_lshl_b64 s[20:21], s[6:7], 3
	s_mov_b32 s7, exec_lo
	s_add_u32 s20, s23, s20
	s_addc_u32 s21, s24, s21
                                        ; implicit-def: $vgpr1_vgpr2
	v_cmpx_gt_u32_e64 s25, v0
	s_cbranch_execz .LBB25_3
; %bb.2:
	v_lshlrev_b32_e32 v1, 3, v0
	global_load_b64 v[1:2], v1, s[20:21]
.LBB25_3:
	s_or_b32 exec_lo, exec_lo, s7
	v_or_b32_e32 v3, 0x80, v0
	s_delay_alu instid0(VALU_DEP_1)
	v_cmp_gt_u32_e32 vcc_lo, s25, v3
                                        ; implicit-def: $vgpr3_vgpr4
	s_and_saveexec_b32 s7, vcc_lo
	s_cbranch_execz .LBB25_5
; %bb.4:
	v_lshlrev_b32_e32 v3, 3, v0
	global_load_b64 v[3:4], v3, s[20:21] offset:1024
.LBB25_5:
	s_or_b32 exec_lo, exec_lo, s7
	v_or_b32_e32 v5, 0x100, v0
	s_delay_alu instid0(VALU_DEP_1)
	v_cmp_gt_u32_e32 vcc_lo, s25, v5
                                        ; implicit-def: $vgpr5_vgpr6
	s_and_saveexec_b32 s7, vcc_lo
	s_cbranch_execz .LBB25_7
; %bb.6:
	v_lshlrev_b32_e32 v5, 3, v0
	global_load_b64 v[5:6], v5, s[20:21] offset:2048
.LBB25_7:
	s_or_b32 exec_lo, exec_lo, s7
	v_or_b32_e32 v7, 0x180, v0
	s_delay_alu instid0(VALU_DEP_1)
	v_cmp_gt_u32_e32 vcc_lo, s25, v7
                                        ; implicit-def: $vgpr7_vgpr8
	s_and_saveexec_b32 s7, vcc_lo
	s_cbranch_execz .LBB25_9
; %bb.8:
	v_lshlrev_b32_e32 v7, 3, v0
	global_load_b64 v[7:8], v7, s[20:21] offset:3072
.LBB25_9:
	s_or_b32 exec_lo, exec_lo, s7
	v_or_b32_e32 v11, 0x200, v0
	s_mov_b32 s7, exec_lo
                                        ; implicit-def: $vgpr9_vgpr10
	s_delay_alu instid0(VALU_DEP_1)
	v_cmpx_gt_u32_e64 s25, v11
	s_cbranch_execz .LBB25_11
; %bb.10:
	v_lshlrev_b32_e32 v9, 3, v11
	global_load_b64 v[9:10], v9, s[20:21]
.LBB25_11:
	s_or_b32 exec_lo, exec_lo, s7
	v_or_b32_e32 v13, 0x280, v0
	s_mov_b32 s7, exec_lo
                                        ; implicit-def: $vgpr11_vgpr12
	s_delay_alu instid0(VALU_DEP_1)
	v_cmpx_gt_u32_e64 s25, v13
	s_cbranch_execz .LBB25_13
; %bb.12:
	v_lshlrev_b32_e32 v11, 3, v13
	global_load_b64 v[11:12], v11, s[20:21]
.LBB25_13:
	s_or_b32 exec_lo, exec_lo, s7
	v_or_b32_e32 v15, 0x300, v0
	s_mov_b32 s7, exec_lo
                                        ; implicit-def: $vgpr13_vgpr14
	s_delay_alu instid0(VALU_DEP_1)
	v_cmpx_gt_u32_e64 s25, v15
	s_cbranch_execz .LBB25_15
; %bb.14:
	v_lshlrev_b32_e32 v13, 3, v15
	global_load_b64 v[13:14], v13, s[20:21]
.LBB25_15:
	s_or_b32 exec_lo, exec_lo, s7
	v_or_b32_e32 v17, 0x380, v0
	s_mov_b32 s7, exec_lo
                                        ; implicit-def: $vgpr15_vgpr16
	s_delay_alu instid0(VALU_DEP_1)
	v_cmpx_gt_u32_e64 s25, v17
	s_cbranch_execz .LBB25_17
; %bb.16:
	v_lshlrev_b32_e32 v15, 3, v17
	global_load_b64 v[15:16], v15, s[20:21]
.LBB25_17:
	s_or_b32 exec_lo, exec_lo, s7
	v_or_b32_e32 v19, 0x400, v0
	s_mov_b32 s7, exec_lo
                                        ; implicit-def: $vgpr17_vgpr18
	s_delay_alu instid0(VALU_DEP_1)
	v_cmpx_gt_u32_e64 s25, v19
	s_cbranch_execz .LBB25_19
; %bb.18:
	v_lshlrev_b32_e32 v17, 3, v19
	global_load_b64 v[17:18], v17, s[20:21]
.LBB25_19:
	s_or_b32 exec_lo, exec_lo, s7
	v_or_b32_e32 v21, 0x480, v0
	s_mov_b32 s7, exec_lo
                                        ; implicit-def: $vgpr19_vgpr20
	s_delay_alu instid0(VALU_DEP_1)
	v_cmpx_gt_u32_e64 s25, v21
	s_cbranch_execz .LBB25_21
; %bb.20:
	v_lshlrev_b32_e32 v19, 3, v21
	global_load_b64 v[19:20], v19, s[20:21]
.LBB25_21:
	s_or_b32 exec_lo, exec_lo, s7
	v_or_b32_e32 v23, 0x500, v0
	s_mov_b32 s7, exec_lo
                                        ; implicit-def: $vgpr21_vgpr22
	s_delay_alu instid0(VALU_DEP_1)
	v_cmpx_gt_u32_e64 s25, v23
	s_cbranch_execz .LBB25_23
; %bb.22:
	v_lshlrev_b32_e32 v21, 3, v23
	global_load_b64 v[21:22], v21, s[20:21]
.LBB25_23:
	s_or_b32 exec_lo, exec_lo, s7
	v_or_b32_e32 v25, 0x580, v0
	s_mov_b32 s7, exec_lo
                                        ; implicit-def: $vgpr23_vgpr24
	s_delay_alu instid0(VALU_DEP_1)
	v_cmpx_gt_u32_e64 s25, v25
	s_cbranch_execz .LBB25_25
; %bb.24:
	v_lshlrev_b32_e32 v23, 3, v25
	global_load_b64 v[23:24], v23, s[20:21]
.LBB25_25:
	s_or_b32 exec_lo, exec_lo, s7
	v_or_b32_e32 v27, 0x600, v0
	s_mov_b32 s7, exec_lo
                                        ; implicit-def: $vgpr25_vgpr26
	s_delay_alu instid0(VALU_DEP_1)
	v_cmpx_gt_u32_e64 s25, v27
	s_cbranch_execz .LBB25_27
; %bb.26:
	v_lshlrev_b32_e32 v25, 3, v27
	global_load_b64 v[25:26], v25, s[20:21]
.LBB25_27:
	s_or_b32 exec_lo, exec_lo, s7
	v_or_b32_e32 v29, 0x680, v0
	s_mov_b32 s7, exec_lo
                                        ; implicit-def: $vgpr27_vgpr28
	s_delay_alu instid0(VALU_DEP_1)
	v_cmpx_gt_u32_e64 s25, v29
	s_cbranch_execz .LBB25_29
; %bb.28:
	v_lshlrev_b32_e32 v27, 3, v29
	global_load_b64 v[27:28], v27, s[20:21]
.LBB25_29:
	s_or_b32 exec_lo, exec_lo, s7
	v_or_b32_e32 v31, 0x700, v0
	s_mov_b32 s7, exec_lo
                                        ; implicit-def: $vgpr29_vgpr30
	s_delay_alu instid0(VALU_DEP_1)
	v_cmpx_gt_u32_e64 s25, v31
	s_cbranch_execz .LBB25_31
; %bb.30:
	v_lshlrev_b32_e32 v29, 3, v31
	global_load_b64 v[29:30], v29, s[20:21]
.LBB25_31:
	s_or_b32 exec_lo, exec_lo, s7
	v_or_b32_e32 v33, 0x780, v0
	s_mov_b32 s7, exec_lo
                                        ; implicit-def: $vgpr31_vgpr32
	s_delay_alu instid0(VALU_DEP_1)
	v_cmpx_gt_u32_e64 s25, v33
	s_cbranch_execz .LBB25_33
; %bb.32:
	v_lshlrev_b32_e32 v31, 3, v33
	global_load_b64 v[31:32], v31, s[20:21]
.LBB25_33:
	s_or_b32 exec_lo, exec_lo, s7
	v_or_b32_e32 v35, 0x800, v0
	s_mov_b32 s7, exec_lo
                                        ; implicit-def: $vgpr33_vgpr34
	s_delay_alu instid0(VALU_DEP_1)
	v_cmpx_gt_u32_e64 s25, v35
	s_cbranch_execz .LBB25_35
; %bb.34:
	v_lshlrev_b32_e32 v33, 3, v35
	global_load_b64 v[33:34], v33, s[20:21]
.LBB25_35:
	s_or_b32 exec_lo, exec_lo, s7
	v_or_b32_e32 v37, 0x880, v0
	s_mov_b32 s7, exec_lo
                                        ; implicit-def: $vgpr35_vgpr36
	s_delay_alu instid0(VALU_DEP_1)
	v_cmpx_gt_u32_e64 s25, v37
	s_cbranch_execz .LBB25_37
; %bb.36:
	v_lshlrev_b32_e32 v35, 3, v37
	global_load_b64 v[35:36], v35, s[20:21]
.LBB25_37:
	s_or_b32 exec_lo, exec_lo, s7
	v_or_b32_e32 v39, 0x900, v0
	s_mov_b32 s7, exec_lo
                                        ; implicit-def: $vgpr37_vgpr38
	s_delay_alu instid0(VALU_DEP_1)
	v_cmpx_gt_u32_e64 s25, v39
	s_cbranch_execz .LBB25_39
; %bb.38:
	v_lshlrev_b32_e32 v37, 3, v39
	global_load_b64 v[37:38], v37, s[20:21]
.LBB25_39:
	s_or_b32 exec_lo, exec_lo, s7
	v_or_b32_e32 v41, 0x980, v0
	s_mov_b32 s7, exec_lo
                                        ; implicit-def: $vgpr39_vgpr40
	s_delay_alu instid0(VALU_DEP_1)
	v_cmpx_gt_u32_e64 s25, v41
	s_cbranch_execz .LBB25_41
; %bb.40:
	v_lshlrev_b32_e32 v39, 3, v41
	global_load_b64 v[39:40], v39, s[20:21]
.LBB25_41:
	s_or_b32 exec_lo, exec_lo, s7
	v_or_b32_e32 v43, 0xa00, v0
	s_mov_b32 s7, exec_lo
                                        ; implicit-def: $vgpr41_vgpr42
	s_delay_alu instid0(VALU_DEP_1)
	v_cmpx_gt_u32_e64 s25, v43
	s_cbranch_execz .LBB25_43
; %bb.42:
	v_lshlrev_b32_e32 v41, 3, v43
	global_load_b64 v[41:42], v41, s[20:21]
.LBB25_43:
	s_or_b32 exec_lo, exec_lo, s7
	v_or_b32_e32 v45, 0xa80, v0
	s_mov_b32 s7, exec_lo
                                        ; implicit-def: $vgpr43_vgpr44
	s_delay_alu instid0(VALU_DEP_1)
	v_cmpx_gt_u32_e64 s25, v45
	s_cbranch_execz .LBB25_45
; %bb.44:
	v_lshlrev_b32_e32 v43, 3, v45
	global_load_b64 v[43:44], v43, s[20:21]
.LBB25_45:
	s_or_b32 exec_lo, exec_lo, s7
	v_or_b32_e32 v47, 0xb00, v0
	s_mov_b32 s7, exec_lo
                                        ; implicit-def: $vgpr45_vgpr46
	s_delay_alu instid0(VALU_DEP_1)
	v_cmpx_gt_u32_e64 s25, v47
	s_cbranch_execz .LBB25_47
; %bb.46:
	v_lshlrev_b32_e32 v45, 3, v47
	global_load_b64 v[45:46], v45, s[20:21]
.LBB25_47:
	s_or_b32 exec_lo, exec_lo, s7
	v_or_b32_e32 v49, 0xb80, v0
	s_mov_b32 s7, exec_lo
                                        ; implicit-def: $vgpr47_vgpr48
	s_delay_alu instid0(VALU_DEP_1)
	v_cmpx_gt_u32_e64 s25, v49
	s_cbranch_execz .LBB25_49
; %bb.48:
	v_lshlrev_b32_e32 v47, 3, v49
	global_load_b64 v[47:48], v47, s[20:21]
.LBB25_49:
	s_or_b32 exec_lo, exec_lo, s7
	v_or_b32_e32 v51, 0xc00, v0
	s_mov_b32 s7, exec_lo
                                        ; implicit-def: $vgpr49_vgpr50
	s_delay_alu instid0(VALU_DEP_1)
	v_cmpx_gt_u32_e64 s25, v51
	s_cbranch_execz .LBB25_51
; %bb.50:
	v_lshlrev_b32_e32 v49, 3, v51
	global_load_b64 v[49:50], v49, s[20:21]
.LBB25_51:
	s_or_b32 exec_lo, exec_lo, s7
	v_or_b32_e32 v53, 0xc80, v0
	s_mov_b32 s7, exec_lo
                                        ; implicit-def: $vgpr51_vgpr52
	s_delay_alu instid0(VALU_DEP_1)
	v_cmpx_gt_u32_e64 s25, v53
	s_cbranch_execz .LBB25_53
; %bb.52:
	v_lshlrev_b32_e32 v51, 3, v53
	global_load_b64 v[51:52], v51, s[20:21]
.LBB25_53:
	s_or_b32 exec_lo, exec_lo, s7
	v_or_b32_e32 v55, 0xd00, v0
	s_mov_b32 s7, exec_lo
                                        ; implicit-def: $vgpr53_vgpr54
	s_delay_alu instid0(VALU_DEP_1)
	v_cmpx_gt_u32_e64 s25, v55
	s_cbranch_execz .LBB25_55
; %bb.54:
	v_lshlrev_b32_e32 v53, 3, v55
	global_load_b64 v[53:54], v53, s[20:21]
.LBB25_55:
	s_or_b32 exec_lo, exec_lo, s7
	v_or_b32_e32 v57, 0xd80, v0
	s_mov_b32 s7, exec_lo
                                        ; implicit-def: $vgpr55_vgpr56
	s_delay_alu instid0(VALU_DEP_1)
	v_cmpx_gt_u32_e64 s25, v57
	s_cbranch_execz .LBB25_57
; %bb.56:
	v_lshlrev_b32_e32 v55, 3, v57
	global_load_b64 v[55:56], v55, s[20:21]
.LBB25_57:
	s_or_b32 exec_lo, exec_lo, s7
	v_or_b32_e32 v59, 0xe00, v0
	s_mov_b32 s7, exec_lo
                                        ; implicit-def: $vgpr57_vgpr58
	s_delay_alu instid0(VALU_DEP_1)
	v_cmpx_gt_u32_e64 s25, v59
	s_cbranch_execz .LBB25_59
; %bb.58:
	v_lshlrev_b32_e32 v57, 3, v59
	global_load_b64 v[57:58], v57, s[20:21]
.LBB25_59:
	s_or_b32 exec_lo, exec_lo, s7
	v_lshlrev_b32_e32 v59, 3, v0
	s_mov_b32 s7, 0
	s_waitcnt vmcnt(0)
	ds_store_2addr_stride64_b64 v59, v[1:2], v[3:4] offset1:2
	ds_store_2addr_stride64_b64 v59, v[5:6], v[7:8] offset0:4 offset1:6
	ds_store_2addr_stride64_b64 v59, v[9:10], v[11:12] offset0:8 offset1:10
	;; [unrolled: 1-line block ×13, first 2 shown]
	ds_store_b64 v59, v[57:58] offset:28672
	s_waitcnt lgkmcnt(0)
	s_barrier
.LBB25_60:
	v_lshlrev_b32_e32 v147, 3, v0
	s_and_b32 vcc_lo, exec_lo, s7
	s_cbranch_vccz .LBB25_62
; %bb.61:
	s_mov_b32 s7, 0
	s_delay_alu instid0(SALU_CYCLE_1) | instskip(NEXT) | instid1(SALU_CYCLE_1)
	s_lshl_b64 s[20:21], s[6:7], 3
	s_add_u32 s20, s23, s20
	s_addc_u32 s21, s24, s21
	v_add_co_u32 v49, s7, s20, v147
	s_delay_alu instid0(VALU_DEP_1)
	v_add_co_ci_u32_e64 v50, null, s21, 0, s7
	s_clause 0x3
	global_load_b64 v[1:2], v147, s[20:21]
	global_load_b64 v[3:4], v147, s[20:21] offset:1024
	global_load_b64 v[5:6], v147, s[20:21] offset:2048
	;; [unrolled: 1-line block ×3, first 2 shown]
	v_add_co_u32 v9, vcc_lo, 0x1000, v49
	v_add_co_ci_u32_e32 v10, vcc_lo, 0, v50, vcc_lo
	v_add_co_u32 v11, vcc_lo, v49, 0x2000
	v_add_co_ci_u32_e32 v12, vcc_lo, 0, v50, vcc_lo
	;; [unrolled: 2-line block ×10, first 2 shown]
	s_clause 0x18
	global_load_b64 v[15:16], v[11:12], off offset:-4096
	global_load_b64 v[17:18], v[9:10], off offset:1024
	global_load_b64 v[19:20], v[9:10], off offset:2048
	;; [unrolled: 1-line block ×12, first 2 shown]
	global_load_b64 v[11:12], v[11:12], off
	global_load_b64 v[43:44], v[25:26], off offset:-4096
	global_load_b64 v[25:26], v[25:26], off
	global_load_b64 v[45:46], v[39:40], off offset:-4096
	global_load_b64 v[39:40], v[39:40], off
	global_load_b64 v[51:52], v[41:42], off offset:1024
	global_load_b64 v[53:54], v[41:42], off offset:2048
	;; [unrolled: 1-line block ×6, first 2 shown]
	global_load_b64 v[49:50], v[49:50], off
	s_waitcnt vmcnt(27)
	ds_store_2addr_stride64_b64 v147, v[1:2], v[3:4] offset1:2
	s_waitcnt vmcnt(25)
	ds_store_2addr_stride64_b64 v147, v[5:6], v[7:8] offset0:4 offset1:6
	s_waitcnt vmcnt(23)
	ds_store_2addr_stride64_b64 v147, v[15:16], v[17:18] offset0:8 offset1:10
	;; [unrolled: 2-line block ×4, first 2 shown]
	ds_store_2addr_stride64_b64 v147, v[29:30], v[13:14] offset0:20 offset1:22
	s_waitcnt vmcnt(10)
	ds_store_2addr_stride64_b64 v147, v[43:44], v[31:32] offset0:24 offset1:26
	ds_store_2addr_stride64_b64 v147, v[33:34], v[23:24] offset0:28 offset1:30
	s_waitcnt vmcnt(9)
	ds_store_2addr_stride64_b64 v147, v[25:26], v[35:36] offset0:32 offset1:34
	;; [unrolled: 3-line block ×3, first 2 shown]
	s_waitcnt vmcnt(4)
	ds_store_2addr_stride64_b64 v147, v[53:54], v[41:42] offset0:44 offset1:46
	s_waitcnt vmcnt(3)
	ds_store_2addr_stride64_b64 v147, v[39:40], v[55:56] offset0:48 offset1:50
	;; [unrolled: 2-line block ×3, first 2 shown]
	s_waitcnt vmcnt(0)
	ds_store_b64 v147, v[49:50] offset:28672
	s_waitcnt lgkmcnt(0)
	s_barrier
.LBB25_62:
	v_mul_u32_u24_e32 v1, 29, v0
	buffer_gl0_inv
	s_cmp_eq_u64 s[4:5], 0
	v_lshlrev_b32_e32 v1, 3, v1
	ds_load_b64 v[145:146], v1 offset:224
	ds_load_2addr_b64 v[97:100], v1 offset0:26 offset1:27
	ds_load_2addr_b64 v[89:92], v1 offset0:24 offset1:25
	ds_load_2addr_b64 v[57:60], v1 offset1:1
	ds_load_2addr_b64 v[61:64], v1 offset0:2 offset1:3
	ds_load_2addr_b64 v[65:68], v1 offset0:4 offset1:5
	ds_load_2addr_b64 v[69:72], v1 offset0:6 offset1:7
	ds_load_2addr_b64 v[77:80], v1 offset0:8 offset1:9
	ds_load_2addr_b64 v[81:84], v1 offset0:10 offset1:11
	ds_load_2addr_b64 v[85:88], v1 offset0:12 offset1:13
	ds_load_2addr_b64 v[93:96], v1 offset0:14 offset1:15
	ds_load_2addr_b64 v[101:104], v1 offset0:16 offset1:17
	ds_load_2addr_b64 v[105:108], v1 offset0:18 offset1:19
	ds_load_2addr_b64 v[109:112], v1 offset0:20 offset1:21
	ds_load_2addr_b64 v[113:116], v1 offset0:22 offset1:23
	s_waitcnt lgkmcnt(0)
	s_barrier
	buffer_gl0_inv
	s_cbranch_scc1 .LBB25_67
; %bb.63:
	s_lshl_b64 s[2:3], s[2:3], 3
	s_delay_alu instid0(SALU_CYCLE_1) | instskip(SKIP_2) | instid1(SALU_CYCLE_1)
	s_add_u32 s2, s0, s2
	s_addc_u32 s3, s1, s3
	s_lshl_b64 s[0:1], s[16:17], 3
	s_add_u32 s0, s2, s0
	s_addc_u32 s1, s3, s1
	s_add_u32 s0, s0, -8
	s_addc_u32 s1, s1, -1
	s_cmp_eq_u64 s[4:5], s[18:19]
	s_load_b64 s[0:1], s[0:1], 0x0
	s_cbranch_scc1 .LBB25_68
; %bb.64:
	s_waitcnt lgkmcnt(0)
	v_dual_mov_b32 v2, s1 :: v_dual_mov_b32 v1, s0
	s_mov_b32 s2, 0
	s_mov_b32 s3, exec_lo
	ds_store_b64 v147, v[145:146]
	s_waitcnt lgkmcnt(0)
	s_barrier
	buffer_gl0_inv
	v_cmpx_ne_u32_e32 0, v0
	s_cbranch_execz .LBB25_66
; %bb.65:
	v_add_nc_u32_e32 v1, -8, v147
	ds_load_b64 v[1:2], v1
.LBB25_66:
	s_or_b32 exec_lo, exec_lo, s3
	v_add_f64 v[117:118], v[145:146], -v[99:100]
	v_add_f64 v[3:4], v[99:100], -v[97:98]
	;; [unrolled: 1-line block ×28, first 2 shown]
	s_waitcnt lgkmcnt(0)
	v_add_f64 v[73:74], v[57:58], -v[1:2]
	s_and_b32 vcc_lo, exec_lo, s2
	s_cbranch_vccnz .LBB25_69
	s_branch .LBB25_72
.LBB25_67:
                                        ; implicit-def: $vgpr73_vgpr74
                                        ; implicit-def: $vgpr143_vgpr144
                                        ; implicit-def: $vgpr141_vgpr142
                                        ; implicit-def: $vgpr139_vgpr140
                                        ; implicit-def: $vgpr137_vgpr138
                                        ; implicit-def: $vgpr135_vgpr136
                                        ; implicit-def: $vgpr133_vgpr134
                                        ; implicit-def: $vgpr131_vgpr132
                                        ; implicit-def: $vgpr129_vgpr130
                                        ; implicit-def: $vgpr127_vgpr128
                                        ; implicit-def: $vgpr125_vgpr126
                                        ; implicit-def: $vgpr123_vgpr124
                                        ; implicit-def: $vgpr121_vgpr122
                                        ; implicit-def: $vgpr119_vgpr120
                                        ; implicit-def: $vgpr117_vgpr118
                                        ; implicit-def: $vgpr1_vgpr2_vgpr3_vgpr4
                                        ; implicit-def: $vgpr5_vgpr6_vgpr7_vgpr8
                                        ; implicit-def: $vgpr9_vgpr10_vgpr11_vgpr12
                                        ; implicit-def: $vgpr13_vgpr14_vgpr15_vgpr16
                                        ; implicit-def: $vgpr17_vgpr18_vgpr19_vgpr20
                                        ; implicit-def: $vgpr21_vgpr22_vgpr23_vgpr24
                                        ; implicit-def: $vgpr25_vgpr26_vgpr27_vgpr28
                                        ; implicit-def: $vgpr29_vgpr30_vgpr31_vgpr32
                                        ; implicit-def: $vgpr33_vgpr34_vgpr35_vgpr36
                                        ; implicit-def: $vgpr37_vgpr38_vgpr39_vgpr40
                                        ; implicit-def: $vgpr41_vgpr42_vgpr43_vgpr44
                                        ; implicit-def: $vgpr45_vgpr46_vgpr47_vgpr48
                                        ; implicit-def: $vgpr49_vgpr50_vgpr51_vgpr52
                                        ; implicit-def: $vgpr53_vgpr54_vgpr55_vgpr56
	s_branch .LBB25_73
.LBB25_68:
                                        ; implicit-def: $vgpr73_vgpr74
                                        ; implicit-def: $vgpr143_vgpr144
                                        ; implicit-def: $vgpr141_vgpr142
                                        ; implicit-def: $vgpr139_vgpr140
                                        ; implicit-def: $vgpr137_vgpr138
                                        ; implicit-def: $vgpr135_vgpr136
                                        ; implicit-def: $vgpr133_vgpr134
                                        ; implicit-def: $vgpr131_vgpr132
                                        ; implicit-def: $vgpr129_vgpr130
                                        ; implicit-def: $vgpr127_vgpr128
                                        ; implicit-def: $vgpr125_vgpr126
                                        ; implicit-def: $vgpr123_vgpr124
                                        ; implicit-def: $vgpr121_vgpr122
                                        ; implicit-def: $vgpr119_vgpr120
                                        ; implicit-def: $vgpr117_vgpr118
                                        ; implicit-def: $vgpr1_vgpr2_vgpr3_vgpr4
                                        ; implicit-def: $vgpr5_vgpr6_vgpr7_vgpr8
                                        ; implicit-def: $vgpr9_vgpr10_vgpr11_vgpr12
                                        ; implicit-def: $vgpr13_vgpr14_vgpr15_vgpr16
                                        ; implicit-def: $vgpr17_vgpr18_vgpr19_vgpr20
                                        ; implicit-def: $vgpr21_vgpr22_vgpr23_vgpr24
                                        ; implicit-def: $vgpr25_vgpr26_vgpr27_vgpr28
                                        ; implicit-def: $vgpr29_vgpr30_vgpr31_vgpr32
                                        ; implicit-def: $vgpr33_vgpr34_vgpr35_vgpr36
                                        ; implicit-def: $vgpr37_vgpr38_vgpr39_vgpr40
                                        ; implicit-def: $vgpr41_vgpr42_vgpr43_vgpr44
                                        ; implicit-def: $vgpr45_vgpr46_vgpr47_vgpr48
                                        ; implicit-def: $vgpr49_vgpr50_vgpr51_vgpr52
                                        ; implicit-def: $vgpr53_vgpr54_vgpr55_vgpr56
	s_cbranch_execz .LBB25_72
.LBB25_69:
	v_mul_u32_u24_e32 v5, 29, v0
	s_waitcnt lgkmcnt(0)
	v_dual_mov_b32 v2, s1 :: v_dual_mov_b32 v1, s0
	s_mov_b32 s0, exec_lo
	ds_store_b64 v147, v[145:146]
	s_waitcnt lgkmcnt(0)
	s_barrier
	buffer_gl0_inv
	v_cmpx_ne_u32_e32 0, v0
	s_cbranch_execz .LBB25_71
; %bb.70:
	v_add_nc_u32_e32 v1, -8, v147
	ds_load_b64 v[1:2], v1
.LBB25_71:
	s_or_b32 exec_lo, exec_lo, s0
	v_add_f64 v[3:4], v[145:146], -v[99:100]
	v_add_f64 v[6:7], v[99:100], -v[97:98]
	;; [unrolled: 1-line block ×9, first 2 shown]
	v_add_nc_u32_e32 v31, 27, v5
	s_mul_i32 s5, s4, 0xfffff180
	v_add_f64 v[18:19], v[111:112], -v[109:110]
	s_add_i32 s5, s5, s10
	v_add_nc_u32_e32 v36, 22, v5
	v_cmp_gt_u32_e32 vcc_lo, s5, v31
	v_add_nc_u32_e32 v30, 28, v5
	v_add_f64 v[26:27], v[103:104], -v[101:102]
	v_add_nc_u32_e32 v35, 23, v5
	v_add_f64 v[24:25], v[105:106], -v[103:104]
	v_add_f64 v[28:29], v[101:102], -v[95:96]
	v_cmp_gt_u32_e64 s1, s5, v30
	v_add_f64 v[41:42], v[65:66], -v[63:64]
	v_cmp_gt_u32_e64 s4, s5, v35
	v_add_f64 v[45:46], v[59:60], -v[57:58]
	s_waitcnt lgkmcnt(0)
	v_add_f64 v[1:2], v[57:58], -v[1:2]
	v_cndmask_b32_e64 v118, v146, v4, s1
	v_cndmask_b32_e64 v117, v145, v3, s1
	v_dual_cndmask_b32 v4, v100, v7 :: v_dual_cndmask_b32 v3, v99, v6
	v_cmp_gt_u32_e32 vcc_lo, s5, v36
	v_add_nc_u32_e32 v6, 20, v5
	v_add_nc_u32_e32 v32, 26, v5
	v_add_f64 v[35:36], v[83:84], -v[81:82]
	v_cmp_gt_u32_e64 s1, s5, v5
	v_dual_cndmask_b32 v123, v113, v16 :: v_dual_cndmask_b32 v124, v114, v17
	v_cmp_gt_u32_e32 vcc_lo, s5, v6
	v_add_nc_u32_e32 v6, 19, v5
	v_add_nc_u32_e32 v34, 24, v5
	v_cmp_gt_u32_e64 s0, s5, v32
	v_dual_cndmask_b32 v125, v109, v20 :: v_dual_cndmask_b32 v126, v110, v21
	s_delay_alu instid0(VALU_DEP_4)
	v_cmp_gt_u32_e32 vcc_lo, s5, v6
	v_add_nc_u32_e32 v33, 25, v5
	v_cmp_gt_u32_e64 s3, s5, v34
	v_cndmask_b32_e64 v119, v97, v8, s0
	v_cndmask_b32_e64 v120, v98, v9, s0
	v_cndmask_b32_e32 v20, v108, v23, vcc_lo
	v_cmp_gt_u32_e64 s2, s5, v33
	v_cndmask_b32_e64 v122, v90, v13, s3
	v_cndmask_b32_e64 v121, v89, v12, s3
	;; [unrolled: 1-line block ×3, first 2 shown]
	v_add_nc_u32_e32 v6, 17, v5
	v_cndmask_b32_e64 v8, v92, v11, s2
	v_cndmask_b32_e64 v11, v115, v14, s4
	v_add_f64 v[13:14], v[93:94], -v[87:88]
	v_add_nc_u32_e32 v37, 21, v5
	v_cndmask_b32_e64 v7, v91, v10, s2
	v_add_f64 v[9:10], v[95:96], -v[93:94]
	v_add_f64 v[33:34], v[85:86], -v[83:84]
	v_cndmask_b32_e64 v74, v58, v2, s1
	v_cmp_gt_u32_e64 s0, s5, v37
	v_add_f64 v[37:38], v[69:70], -v[67:68]
	v_cndmask_b32_e64 v73, v57, v1, s1
	s_delay_alu instid0(VALU_DEP_3) | instskip(SKIP_3) | instid1(VALU_DEP_1)
	v_cndmask_b32_e64 v16, v112, v19, s0
	v_cndmask_b32_e64 v15, v111, v18, s0
	v_add_f64 v[17:18], v[87:88], -v[85:86]
	v_add_nc_u32_e32 v19, 18, v5
	v_cmp_gt_u32_e64 s0, s5, v19
	v_cndmask_b32_e32 v19, v107, v22, vcc_lo
	v_cmp_gt_u32_e32 vcc_lo, s5, v6
	v_add_nc_u32_e32 v6, 16, v5
	v_add_f64 v[21:22], v[81:82], -v[79:80]
	v_cndmask_b32_e64 v127, v105, v24, s0
	v_cndmask_b32_e64 v128, v106, v25, s0
	v_dual_cndmask_b32 v24, v104, v27 :: v_dual_cndmask_b32 v23, v103, v26
	v_cmp_gt_u32_e32 vcc_lo, s5, v6
	v_add_nc_u32_e32 v6, 14, v5
	v_add_nc_u32_e32 v27, 15, v5
	v_add_f64 v[25:26], v[79:80], -v[77:78]
	v_cndmask_b32_e32 v130, v102, v29, vcc_lo
	v_add_f64 v[29:30], v[77:78], -v[71:72]
	v_cndmask_b32_e32 v129, v101, v28, vcc_lo
	v_cmp_gt_u32_e32 vcc_lo, s5, v6
	v_add_nc_u32_e32 v6, 13, v5
	v_cmp_gt_u32_e64 s0, s5, v27
	v_dual_cndmask_b32 v132, v94, v14 :: v_dual_add_nc_u32 v31, 12, v5
	v_cndmask_b32_e32 v131, v93, v13, vcc_lo
	s_delay_alu instid0(VALU_DEP_4)
	v_cmp_gt_u32_e32 vcc_lo, s5, v6
	v_add_nc_u32_e32 v6, 11, v5
	v_cndmask_b32_e64 v28, v96, v10, s0
	v_cndmask_b32_e64 v27, v95, v9, s0
	v_add_f64 v[9:10], v[71:72], -v[69:70]
	v_cmp_gt_u32_e64 s0, s5, v31
	v_add_f64 v[13:14], v[67:68], -v[65:66]
	v_dual_cndmask_b32 v32, v88, v18 :: v_dual_cndmask_b32 v31, v87, v17
	v_cmp_gt_u32_e32 vcc_lo, s5, v6
	v_add_nc_u32_e32 v6, 10, v5
	v_add_f64 v[17:18], v[63:64], -v[61:62]
	v_cndmask_b32_e64 v134, v86, v34, s0
	v_cndmask_b32_e64 v133, v85, v33, s0
	v_dual_cndmask_b32 v36, v84, v36 :: v_dual_cndmask_b32 v35, v83, v35
	v_cmp_gt_u32_e32 vcc_lo, s5, v6
	v_add_nc_u32_e32 v6, 8, v5
	v_add_f64 v[33:34], v[61:62], -v[59:60]
	v_dual_cndmask_b32 v136, v82, v22 :: v_dual_cndmask_b32 v135, v81, v21
	s_delay_alu instid0(VALU_DEP_3) | instskip(SKIP_3) | instid1(VALU_DEP_3)
	v_cmp_gt_u32_e32 vcc_lo, s5, v6
	v_add_nc_u32_e32 v6, 6, v5
	v_dual_cndmask_b32 v138, v78, v30 :: v_dual_add_nc_u32 v21, 7, v5
	v_cndmask_b32_e32 v137, v77, v29, vcc_lo
	v_cmp_gt_u32_e32 vcc_lo, s5, v6
	v_add_nc_u32_e32 v6, 4, v5
	v_dual_cndmask_b32 v140, v70, v38 :: v_dual_cndmask_b32 v139, v69, v37
	s_delay_alu instid0(VALU_DEP_2) | instskip(SKIP_3) | instid1(VALU_DEP_3)
	v_cmp_gt_u32_e32 vcc_lo, s5, v6
	v_add_nc_u32_e32 v39, 9, v5
	v_add_nc_u32_e32 v6, 2, v5
	v_cndmask_b32_e32 v142, v66, v42, vcc_lo
	v_cmp_gt_u32_e64 s0, s5, v39
	v_cndmask_b32_e32 v141, v65, v41, vcc_lo
	s_delay_alu instid0(VALU_DEP_4) | instskip(NEXT) | instid1(VALU_DEP_3)
	v_cmp_gt_u32_e32 vcc_lo, s5, v6
	v_cndmask_b32_e64 v40, v80, v26, s0
	v_cndmask_b32_e64 v39, v79, v25, s0
	v_cmp_gt_u32_e64 s0, s5, v21
	v_add_nc_u32_e32 v21, 5, v5
	s_delay_alu instid0(VALU_DEP_2) | instskip(SKIP_1) | instid1(VALU_DEP_3)
	v_cndmask_b32_e64 v44, v72, v10, s0
	v_cndmask_b32_e64 v43, v71, v9, s0
	v_cmp_gt_u32_e64 s0, s5, v21
	v_dual_cndmask_b32 v144, v62, v34 :: v_dual_add_nc_u32 v9, 3, v5
	v_cndmask_b32_e32 v143, v61, v33, vcc_lo
	s_delay_alu instid0(VALU_DEP_3) | instskip(SKIP_1) | instid1(VALU_DEP_4)
	v_cndmask_b32_e64 v48, v68, v14, s0
	v_cndmask_b32_e64 v47, v67, v13, s0
	v_cmp_gt_u32_e64 s0, s5, v9
	v_add_nc_u32_e32 v9, 1, v5
	s_delay_alu instid0(VALU_DEP_2) | instskip(SKIP_1) | instid1(VALU_DEP_3)
	v_cndmask_b32_e64 v52, v64, v18, s0
	v_cndmask_b32_e64 v51, v63, v17, s0
	v_cmp_gt_u32_e64 s0, s5, v9
	s_delay_alu instid0(VALU_DEP_1)
	v_cndmask_b32_e64 v56, v60, v46, s0
	v_cndmask_b32_e64 v55, v59, v45, s0
.LBB25_72:
	s_waitcnt lgkmcnt(0)
	s_cbranch_execnz .LBB25_81
.LBB25_73:
	v_add_f64 v[117:118], v[145:146], -v[99:100]
	v_add_f64 v[3:4], v[99:100], -v[97:98]
	v_add_f64 v[119:120], v[97:98], -v[91:92]
	v_add_f64 v[7:8], v[91:92], -v[89:90]
	v_add_f64 v[121:122], v[89:90], -v[115:116]
	v_add_f64 v[11:12], v[115:116], -v[113:114]
	v_add_f64 v[123:124], v[113:114], -v[111:112]
	v_add_f64 v[15:16], v[111:112], -v[109:110]
	v_add_f64 v[125:126], v[109:110], -v[107:108]
	v_add_f64 v[19:20], v[107:108], -v[105:106]
	v_add_f64 v[127:128], v[105:106], -v[103:104]
	v_add_f64 v[23:24], v[103:104], -v[101:102]
	v_add_f64 v[129:130], v[101:102], -v[95:96]
	v_add_f64 v[27:28], v[95:96], -v[93:94]
	v_add_f64 v[131:132], v[93:94], -v[87:88]
	v_add_f64 v[31:32], v[87:88], -v[85:86]
	v_add_f64 v[133:134], v[85:86], -v[83:84]
	v_add_f64 v[35:36], v[83:84], -v[81:82]
	v_add_f64 v[135:136], v[81:82], -v[79:80]
	v_add_f64 v[39:40], v[79:80], -v[77:78]
	v_add_f64 v[137:138], v[77:78], -v[71:72]
	v_add_f64 v[43:44], v[71:72], -v[69:70]
	v_add_f64 v[139:140], v[69:70], -v[67:68]
	v_add_f64 v[47:48], v[67:68], -v[65:66]
	v_add_f64 v[141:142], v[65:66], -v[63:64]
	v_add_f64 v[51:52], v[63:64], -v[61:62]
	v_add_f64 v[143:144], v[61:62], -v[59:60]
	v_add_f64 v[55:56], v[59:60], -v[57:58]
	v_cmp_ne_u32_e32 vcc_lo, 0, v0
	s_cmp_eq_u64 s[14:15], 1
	s_cbranch_scc1 .LBB25_77
; %bb.74:
	v_dual_mov_b32 v74, v58 :: v_dual_mov_b32 v73, v57
	s_mov_b32 s0, 0
	ds_store_b64 v147, v[145:146]
	s_waitcnt lgkmcnt(0)
	s_barrier
	buffer_gl0_inv
	s_and_saveexec_b32 s1, vcc_lo
	s_cbranch_execz .LBB25_76
; %bb.75:
	v_add_nc_u32_e32 v1, -8, v147
	ds_load_b64 v[1:2], v1
	s_waitcnt lgkmcnt(0)
	v_add_f64 v[73:74], v[57:58], -v[1:2]
.LBB25_76:
	s_or_b32 exec_lo, exec_lo, s1
	s_delay_alu instid0(SALU_CYCLE_1)
	s_and_not1_b32 vcc_lo, exec_lo, s0
	s_cbranch_vccz .LBB25_78
	s_branch .LBB25_81
.LBB25_77:
                                        ; implicit-def: $vgpr73_vgpr74_vgpr75_vgpr76
.LBB25_78:
	v_mad_u32_u24 v1, v0, 29, 28
	v_mad_u32_u24 v2, v0, 29, 27
	;; [unrolled: 1-line block ×3, first 2 shown]
	v_mul_u32_u24_e32 v5, 29, v0
	ds_store_b64 v147, v[145:146]
	v_cmp_gt_u32_e32 vcc_lo, s10, v1
	v_mad_u32_u24 v1, v0, 29, 25
	v_cmp_gt_u32_e64 s0, s10, v2
	v_mad_u32_u24 v2, v0, 29, 24
	v_cmp_gt_u32_e64 s1, s10, v5
	v_dual_cndmask_b32 v118, v146, v118 :: v_dual_cndmask_b32 v117, v145, v117
	v_cmp_gt_u32_e32 vcc_lo, s10, v6
	v_cndmask_b32_e64 v4, v100, v4, s0
	v_cndmask_b32_e64 v3, v99, v3, s0
	v_cmp_gt_u32_e64 s0, s10, v1
	v_mad_u32_u24 v1, v0, 29, 23
	v_dual_cndmask_b32 v120, v98, v120 :: v_dual_cndmask_b32 v119, v97, v119
	v_cmp_gt_u32_e32 vcc_lo, s10, v2
	v_mad_u32_u24 v2, v0, 29, 22
	v_cndmask_b32_e64 v8, v92, v8, s0
	v_cndmask_b32_e64 v7, v91, v7, s0
	v_cmp_gt_u32_e64 s0, s10, v1
	v_mad_u32_u24 v1, v0, 29, 21
	v_dual_cndmask_b32 v122, v90, v122 :: v_dual_cndmask_b32 v121, v89, v121
	v_cmp_gt_u32_e32 vcc_lo, s10, v2
	v_mad_u32_u24 v2, v0, 29, 20
	;; [unrolled: 7-line block ×11, first 2 shown]
	v_cndmask_b32_e64 v48, v68, v48, s0
	v_cndmask_b32_e64 v47, v67, v47, s0
	v_cmp_gt_u32_e64 s0, s10, v1
	v_mad_u32_u24 v1, v0, 29, 1
	v_dual_cndmask_b32 v142, v66, v142 :: v_dual_cndmask_b32 v141, v65, v141
	v_cmp_gt_u32_e32 vcc_lo, s10, v2
	s_delay_alu instid0(VALU_DEP_4)
	v_cndmask_b32_e64 v52, v64, v52, s0
	v_cndmask_b32_e64 v51, v63, v51, s0
	v_cmp_gt_u32_e64 s0, s10, v1
	s_waitcnt lgkmcnt(0)
	v_dual_cndmask_b32 v144, v62, v144 :: v_dual_cndmask_b32 v143, v61, v143
	v_cmp_ne_u32_e32 vcc_lo, 0, v0
	s_delay_alu instid0(VALU_DEP_3) | instskip(SKIP_4) | instid1(SALU_CYCLE_1)
	v_cndmask_b32_e64 v56, v60, v56, s0
	v_cndmask_b32_e64 v55, v59, v55, s0
	s_barrier
	buffer_gl0_inv
	s_and_b32 s1, vcc_lo, s1
	s_and_saveexec_b32 s0, s1
	s_cbranch_execz .LBB25_80
; %bb.79:
	v_add_nc_u32_e32 v1, -8, v147
	ds_load_b64 v[1:2], v1
	s_waitcnt lgkmcnt(0)
	v_add_f64 v[57:58], v[57:58], -v[1:2]
.LBB25_80:
	s_or_b32 exec_lo, exec_lo, s0
	s_delay_alu instid0(VALU_DEP_1)
	v_dual_mov_b32 v74, v58 :: v_dual_mov_b32 v73, v57
.LBB25_81:
	v_mul_u32_u24_e32 v5, 0xe8, v0
	v_mul_i32_i24_e32 v6, 0xffffff20, v0
	s_add_u32 s3, s8, s12
	s_addc_u32 s2, s9, s13
	s_and_b32 vcc_lo, exec_lo, s22
	s_barrier
	buffer_gl0_inv
	s_cbranch_vccz .LBB25_139
; %bb.82:
	v_mad_u32_u24 v1, 0xe8, v0, v6
	ds_store_2addr_b64 v5, v[73:74], v[55:56] offset1:1
	ds_store_2addr_b64 v5, v[143:144], v[51:52] offset0:2 offset1:3
	ds_store_2addr_b64 v5, v[141:142], v[47:48] offset0:4 offset1:5
	ds_store_2addr_b64 v5, v[139:140], v[43:44] offset0:6 offset1:7
	ds_store_2addr_b64 v5, v[137:138], v[39:40] offset0:8 offset1:9
	ds_store_2addr_b64 v5, v[135:136], v[35:36] offset0:10 offset1:11
	ds_store_2addr_b64 v5, v[133:134], v[31:32] offset0:12 offset1:13
	ds_store_2addr_b64 v5, v[131:132], v[27:28] offset0:14 offset1:15
	ds_store_2addr_b64 v5, v[129:130], v[23:24] offset0:16 offset1:17
	ds_store_2addr_b64 v5, v[127:128], v[19:20] offset0:18 offset1:19
	ds_store_2addr_b64 v5, v[125:126], v[15:16] offset0:20 offset1:21
	ds_store_2addr_b64 v5, v[123:124], v[11:12] offset0:22 offset1:23
	ds_store_2addr_b64 v5, v[121:122], v[7:8] offset0:24 offset1:25
	ds_store_2addr_b64 v5, v[119:120], v[3:4] offset0:26 offset1:27
	ds_store_b64 v5, v[117:118] offset:224
	s_waitcnt lgkmcnt(0)
	s_barrier
	buffer_gl0_inv
	ds_load_2addr_stride64_b64 v[111:114], v1 offset0:2 offset1:4
	ds_load_2addr_stride64_b64 v[107:110], v1 offset0:6 offset1:8
	;; [unrolled: 1-line block ×14, first 2 shown]
	s_mov_b32 s7, 0
	s_add_i32 s11, s11, s10
	s_lshl_b64 s[0:1], s[6:7], 3
	s_delay_alu instid0(SALU_CYCLE_1) | instskip(SKIP_2) | instid1(VALU_DEP_1)
	s_add_u32 s0, s3, s0
	s_addc_u32 s1, s2, s1
	v_add_co_u32 v1, s0, s0, v147
	v_add_co_ci_u32_e64 v2, null, s1, 0, s0
	s_mov_b32 s0, exec_lo
	v_cmpx_gt_u32_e64 s11, v0
	s_cbranch_execz .LBB25_84
; %bb.83:
	v_add_nc_u32_e32 v9, v5, v6
	ds_load_b64 v[9:10], v9
	s_waitcnt lgkmcnt(0)
	global_store_b64 v[1:2], v[9:10], off
.LBB25_84:
	s_or_b32 exec_lo, exec_lo, s0
	v_or_b32_e32 v9, 0x80, v0
	s_mov_b32 s0, exec_lo
	s_delay_alu instid0(VALU_DEP_1)
	v_cmpx_gt_u32_e64 s11, v9
	s_cbranch_execz .LBB25_86
; %bb.85:
	s_waitcnt lgkmcnt(13)
	global_store_b64 v[1:2], v[111:112], off offset:1024
.LBB25_86:
	s_or_b32 exec_lo, exec_lo, s0
	v_or_b32_e32 v9, 0x100, v0
	s_mov_b32 s0, exec_lo
	s_delay_alu instid0(VALU_DEP_1)
	v_cmpx_gt_u32_e64 s11, v9
	s_cbranch_execz .LBB25_88
; %bb.87:
	s_waitcnt lgkmcnt(13)
	global_store_b64 v[1:2], v[113:114], off offset:2048
.LBB25_88:
	;; [unrolled: 10-line block ×3, first 2 shown]
	s_or_b32 exec_lo, exec_lo, s0
	v_or_b32_e32 v9, 0x200, v0
	s_mov_b32 s0, exec_lo
	s_delay_alu instid0(VALU_DEP_1)
	v_cmpx_gt_u32_e64 s11, v9
	s_cbranch_execz .LBB25_92
; %bb.91:
	v_add_co_u32 v9, vcc_lo, 0x1000, v1
	v_add_co_ci_u32_e32 v10, vcc_lo, 0, v2, vcc_lo
	s_waitcnt lgkmcnt(12)
	global_store_b64 v[9:10], v[109:110], off
.LBB25_92:
	s_or_b32 exec_lo, exec_lo, s0
	v_or_b32_e32 v9, 0x280, v0
	s_mov_b32 s0, exec_lo
	s_delay_alu instid0(VALU_DEP_1)
	v_cmpx_gt_u32_e64 s11, v9
	s_cbranch_execz .LBB25_94
; %bb.93:
	v_add_co_u32 v9, vcc_lo, 0x1000, v1
	v_add_co_ci_u32_e32 v10, vcc_lo, 0, v2, vcc_lo
	s_waitcnt lgkmcnt(11)
	global_store_b64 v[9:10], v[103:104], off offset:1024
.LBB25_94:
	s_or_b32 exec_lo, exec_lo, s0
	v_or_b32_e32 v9, 0x300, v0
	s_mov_b32 s0, exec_lo
	s_delay_alu instid0(VALU_DEP_1)
	v_cmpx_gt_u32_e64 s11, v9
	s_cbranch_execz .LBB25_96
; %bb.95:
	v_add_co_u32 v9, vcc_lo, 0x1000, v1
	v_add_co_ci_u32_e32 v10, vcc_lo, 0, v2, vcc_lo
	s_waitcnt lgkmcnt(11)
	global_store_b64 v[9:10], v[105:106], off offset:2048
.LBB25_96:
	s_or_b32 exec_lo, exec_lo, s0
	v_or_b32_e32 v9, 0x380, v0
	s_mov_b32 s0, exec_lo
	s_delay_alu instid0(VALU_DEP_1)
	v_cmpx_gt_u32_e64 s11, v9
	s_cbranch_execz .LBB25_98
; %bb.97:
	v_add_co_u32 v9, vcc_lo, 0x1000, v1
	v_add_co_ci_u32_e32 v10, vcc_lo, 0, v2, vcc_lo
	s_waitcnt lgkmcnt(10)
	global_store_b64 v[9:10], v[99:100], off offset:3072
.LBB25_98:
	s_or_b32 exec_lo, exec_lo, s0
	v_or_b32_e32 v9, 0x400, v0
	s_mov_b32 s0, exec_lo
	s_delay_alu instid0(VALU_DEP_1)
	v_cmpx_gt_u32_e64 s11, v9
	s_cbranch_execz .LBB25_100
; %bb.99:
	v_add_co_u32 v9, vcc_lo, 0x2000, v1
	v_add_co_ci_u32_e32 v10, vcc_lo, 0, v2, vcc_lo
	s_waitcnt lgkmcnt(10)
	global_store_b64 v[9:10], v[101:102], off
.LBB25_100:
	s_or_b32 exec_lo, exec_lo, s0
	v_or_b32_e32 v9, 0x480, v0
	s_mov_b32 s0, exec_lo
	s_delay_alu instid0(VALU_DEP_1)
	v_cmpx_gt_u32_e64 s11, v9
	s_cbranch_execz .LBB25_102
; %bb.101:
	v_add_co_u32 v9, vcc_lo, 0x2000, v1
	v_add_co_ci_u32_e32 v10, vcc_lo, 0, v2, vcc_lo
	s_waitcnt lgkmcnt(9)
	global_store_b64 v[9:10], v[95:96], off offset:1024
.LBB25_102:
	s_or_b32 exec_lo, exec_lo, s0
	v_or_b32_e32 v9, 0x500, v0
	s_mov_b32 s0, exec_lo
	s_delay_alu instid0(VALU_DEP_1)
	v_cmpx_gt_u32_e64 s11, v9
	s_cbranch_execz .LBB25_104
; %bb.103:
	v_add_co_u32 v9, vcc_lo, 0x2000, v1
	v_add_co_ci_u32_e32 v10, vcc_lo, 0, v2, vcc_lo
	s_waitcnt lgkmcnt(9)
	global_store_b64 v[9:10], v[97:98], off offset:2048
.LBB25_104:
	s_or_b32 exec_lo, exec_lo, s0
	v_or_b32_e32 v9, 0x580, v0
	s_mov_b32 s0, exec_lo
	s_delay_alu instid0(VALU_DEP_1)
	v_cmpx_gt_u32_e64 s11, v9
	s_cbranch_execz .LBB25_106
; %bb.105:
	v_add_co_u32 v9, vcc_lo, 0x2000, v1
	v_add_co_ci_u32_e32 v10, vcc_lo, 0, v2, vcc_lo
	s_waitcnt lgkmcnt(8)
	global_store_b64 v[9:10], v[91:92], off offset:3072
.LBB25_106:
	;; [unrolled: 48-line block ×6, first 2 shown]
	s_or_b32 exec_lo, exec_lo, s0
	v_or_b32_e32 v9, 0xe00, v0
	s_delay_alu instid0(VALU_DEP_1)
	v_cmp_gt_u32_e64 s4, s11, v9
	s_branch .LBB25_141
.LBB25_139:
	s_mov_b32 s4, 0
                                        ; implicit-def: $vgpr59_vgpr60
                                        ; implicit-def: $vgpr1_vgpr2
	s_cbranch_execz .LBB25_141
; %bb.140:
	v_mad_u32_u24 v0, 0xe8, v0, v6
	ds_store_2addr_b64 v5, v[73:74], v[55:56] offset1:1
	ds_store_2addr_b64 v5, v[143:144], v[51:52] offset0:2 offset1:3
	ds_store_2addr_b64 v5, v[141:142], v[47:48] offset0:4 offset1:5
	;; [unrolled: 1-line block ×13, first 2 shown]
	ds_store_b64 v5, v[117:118] offset:224
	s_waitcnt lgkmcnt(0)
	s_waitcnt_vscnt null, 0x0
	s_barrier
	buffer_gl0_inv
	ds_load_2addr_stride64_b64 v[3:6], v0 offset1:2
	s_mov_b32 s7, 0
	ds_load_2addr_stride64_b64 v[7:10], v0 offset0:4 offset1:6
	ds_load_2addr_stride64_b64 v[11:14], v0 offset0:8 offset1:10
	;; [unrolled: 1-line block ×13, first 2 shown]
	ds_load_b64 v[59:60], v0 offset:28672
	s_lshl_b64 s[0:1], s[6:7], 3
	s_delay_alu instid0(SALU_CYCLE_1) | instskip(SKIP_2) | instid1(VALU_DEP_1)
	s_add_u32 s0, s3, s0
	s_addc_u32 s1, s2, s1
	v_add_co_u32 v1, s2, s0, v147
	v_add_co_ci_u32_e64 v2, null, s1, 0, s2
	s_or_b32 s4, s4, exec_lo
	s_waitcnt lgkmcnt(14)
	s_clause 0x1
	global_store_b64 v147, v[3:4], s[0:1]
	global_store_b64 v147, v[5:6], s[0:1] offset:1024
	s_waitcnt lgkmcnt(13)
	s_clause 0x1
	global_store_b64 v147, v[7:8], s[0:1] offset:2048
	global_store_b64 v147, v[9:10], s[0:1] offset:3072
	v_add_co_u32 v3, vcc_lo, 0x1000, v1
	v_add_co_ci_u32_e32 v4, vcc_lo, 0, v2, vcc_lo
	v_add_co_u32 v5, vcc_lo, v1, 0x2000
	v_add_co_ci_u32_e32 v6, vcc_lo, 0, v2, vcc_lo
	v_add_co_u32 v7, vcc_lo, 0x2000, v1
	v_add_co_ci_u32_e32 v8, vcc_lo, 0, v2, vcc_lo
	s_waitcnt lgkmcnt(10)
	s_clause 0x4
	global_store_b64 v[5:6], v[19:20], off
	global_store_b64 v[3:4], v[13:14], off offset:1024
	global_store_b64 v[3:4], v[15:16], off offset:2048
	global_store_b64 v[3:4], v[17:18], off offset:3072
	global_store_b64 v[7:8], v[21:22], off offset:1024
	v_add_co_u32 v3, vcc_lo, 0x3000, v1
	v_add_co_ci_u32_e32 v4, vcc_lo, 0, v2, vcc_lo
	v_add_co_u32 v9, vcc_lo, v1, 0x4000
	v_add_co_ci_u32_e32 v10, vcc_lo, 0, v2, vcc_lo
	;; [unrolled: 2-line block ×3, first 2 shown]
	s_waitcnt lgkmcnt(9)
	s_clause 0x1
	global_store_b64 v[7:8], v[23:24], off offset:2048
	global_store_b64 v[7:8], v[25:26], off offset:3072
	s_waitcnt lgkmcnt(8)
	global_store_b64 v[3:4], v[29:30], off offset:1024
	s_waitcnt lgkmcnt(7)
	s_clause 0x1
	global_store_b64 v[3:4], v[31:32], off offset:2048
	global_store_b64 v[3:4], v[33:34], off offset:3072
	s_waitcnt lgkmcnt(6)
	global_store_b64 v[13:14], v[37:38], off offset:1024
	s_waitcnt lgkmcnt(5)
	s_clause 0x1
	global_store_b64 v[13:14], v[39:40], off offset:2048
	global_store_b64 v[13:14], v[41:42], off offset:3072
	v_add_co_u32 v3, vcc_lo, 0x5000, v1
	v_add_co_ci_u32_e32 v4, vcc_lo, 0, v2, vcc_lo
	v_add_co_u32 v7, vcc_lo, v1, 0x6000
	v_add_co_ci_u32_e32 v8, vcc_lo, 0, v2, vcc_lo
	;; [unrolled: 2-line block ×3, first 2 shown]
	s_clause 0x1
	global_store_b64 v[9:10], v[27:28], off offset:-4096
	global_store_b64 v[9:10], v[35:36], off
	s_waitcnt lgkmcnt(4)
	global_store_b64 v[7:8], v[43:44], off offset:-4096
	s_waitcnt lgkmcnt(2)
	s_clause 0x4
	global_store_b64 v[7:8], v[51:52], off
	global_store_b64 v[3:4], v[45:46], off offset:1024
	global_store_b64 v[3:4], v[47:48], off offset:2048
	;; [unrolled: 1-line block ×4, first 2 shown]
	s_waitcnt lgkmcnt(1)
	s_clause 0x2
	global_store_b64 v[13:14], v[55:56], off offset:2048
	global_store_b64 v[5:6], v[11:12], off offset:-4096
	global_store_b64 v[13:14], v[57:58], off offset:3072
.LBB25_141:
	s_delay_alu instid0(VALU_DEP_1)
	s_and_saveexec_b32 s0, s4
	s_cbranch_execnz .LBB25_143
; %bb.142:
	s_nop 0
	s_sendmsg sendmsg(MSG_DEALLOC_VGPRS)
	s_endpgm
.LBB25_143:
	v_add_co_u32 v0, vcc_lo, 0x7000, v1
	v_add_co_ci_u32_e32 v1, vcc_lo, 0, v2, vcc_lo
	s_waitcnt lgkmcnt(0)
	global_store_b64 v[0:1], v[59:60], off
	s_nop 0
	s_sendmsg sendmsg(MSG_DEALLOC_VGPRS)
	s_endpgm
	.section	.rodata,"a",@progbits
	.p2align	6, 0x0
	.amdhsa_kernel _ZN7rocprim17ROCPRIM_400000_NS6detail17trampoline_kernelINS0_14default_configENS1_35adjacent_difference_config_selectorILb1EdEEZNS1_24adjacent_difference_implIS3_Lb1ELb0EPdS7_N6thrust23THRUST_200600_302600_NS5minusIdEEEE10hipError_tPvRmT2_T3_mT4_P12ihipStream_tbEUlT_E_NS1_11comp_targetILNS1_3genE9ELNS1_11target_archE1100ELNS1_3gpuE3ELNS1_3repE0EEENS1_30default_config_static_selectorELNS0_4arch9wavefront6targetE0EEEvT1_
		.amdhsa_group_segment_fixed_size 29696
		.amdhsa_private_segment_fixed_size 0
		.amdhsa_kernarg_size 56
		.amdhsa_user_sgpr_count 15
		.amdhsa_user_sgpr_dispatch_ptr 0
		.amdhsa_user_sgpr_queue_ptr 0
		.amdhsa_user_sgpr_kernarg_segment_ptr 1
		.amdhsa_user_sgpr_dispatch_id 0
		.amdhsa_user_sgpr_private_segment_size 0
		.amdhsa_wavefront_size32 1
		.amdhsa_uses_dynamic_stack 0
		.amdhsa_enable_private_segment 0
		.amdhsa_system_sgpr_workgroup_id_x 1
		.amdhsa_system_sgpr_workgroup_id_y 0
		.amdhsa_system_sgpr_workgroup_id_z 0
		.amdhsa_system_sgpr_workgroup_info 0
		.amdhsa_system_vgpr_workitem_id 0
		.amdhsa_next_free_vgpr 148
		.amdhsa_next_free_sgpr 26
		.amdhsa_reserve_vcc 1
		.amdhsa_float_round_mode_32 0
		.amdhsa_float_round_mode_16_64 0
		.amdhsa_float_denorm_mode_32 3
		.amdhsa_float_denorm_mode_16_64 3
		.amdhsa_dx10_clamp 1
		.amdhsa_ieee_mode 1
		.amdhsa_fp16_overflow 0
		.amdhsa_workgroup_processor_mode 1
		.amdhsa_memory_ordered 1
		.amdhsa_forward_progress 0
		.amdhsa_shared_vgpr_count 0
		.amdhsa_exception_fp_ieee_invalid_op 0
		.amdhsa_exception_fp_denorm_src 0
		.amdhsa_exception_fp_ieee_div_zero 0
		.amdhsa_exception_fp_ieee_overflow 0
		.amdhsa_exception_fp_ieee_underflow 0
		.amdhsa_exception_fp_ieee_inexact 0
		.amdhsa_exception_int_div_zero 0
	.end_amdhsa_kernel
	.section	.text._ZN7rocprim17ROCPRIM_400000_NS6detail17trampoline_kernelINS0_14default_configENS1_35adjacent_difference_config_selectorILb1EdEEZNS1_24adjacent_difference_implIS3_Lb1ELb0EPdS7_N6thrust23THRUST_200600_302600_NS5minusIdEEEE10hipError_tPvRmT2_T3_mT4_P12ihipStream_tbEUlT_E_NS1_11comp_targetILNS1_3genE9ELNS1_11target_archE1100ELNS1_3gpuE3ELNS1_3repE0EEENS1_30default_config_static_selectorELNS0_4arch9wavefront6targetE0EEEvT1_,"axG",@progbits,_ZN7rocprim17ROCPRIM_400000_NS6detail17trampoline_kernelINS0_14default_configENS1_35adjacent_difference_config_selectorILb1EdEEZNS1_24adjacent_difference_implIS3_Lb1ELb0EPdS7_N6thrust23THRUST_200600_302600_NS5minusIdEEEE10hipError_tPvRmT2_T3_mT4_P12ihipStream_tbEUlT_E_NS1_11comp_targetILNS1_3genE9ELNS1_11target_archE1100ELNS1_3gpuE3ELNS1_3repE0EEENS1_30default_config_static_selectorELNS0_4arch9wavefront6targetE0EEEvT1_,comdat
.Lfunc_end25:
	.size	_ZN7rocprim17ROCPRIM_400000_NS6detail17trampoline_kernelINS0_14default_configENS1_35adjacent_difference_config_selectorILb1EdEEZNS1_24adjacent_difference_implIS3_Lb1ELb0EPdS7_N6thrust23THRUST_200600_302600_NS5minusIdEEEE10hipError_tPvRmT2_T3_mT4_P12ihipStream_tbEUlT_E_NS1_11comp_targetILNS1_3genE9ELNS1_11target_archE1100ELNS1_3gpuE3ELNS1_3repE0EEENS1_30default_config_static_selectorELNS0_4arch9wavefront6targetE0EEEvT1_, .Lfunc_end25-_ZN7rocprim17ROCPRIM_400000_NS6detail17trampoline_kernelINS0_14default_configENS1_35adjacent_difference_config_selectorILb1EdEEZNS1_24adjacent_difference_implIS3_Lb1ELb0EPdS7_N6thrust23THRUST_200600_302600_NS5minusIdEEEE10hipError_tPvRmT2_T3_mT4_P12ihipStream_tbEUlT_E_NS1_11comp_targetILNS1_3genE9ELNS1_11target_archE1100ELNS1_3gpuE3ELNS1_3repE0EEENS1_30default_config_static_selectorELNS0_4arch9wavefront6targetE0EEEvT1_
                                        ; -- End function
	.section	.AMDGPU.csdata,"",@progbits
; Kernel info:
; codeLenInByte = 8100
; NumSgprs: 28
; NumVgprs: 148
; ScratchSize: 0
; MemoryBound: 0
; FloatMode: 240
; IeeeMode: 1
; LDSByteSize: 29696 bytes/workgroup (compile time only)
; SGPRBlocks: 3
; VGPRBlocks: 18
; NumSGPRsForWavesPerEU: 28
; NumVGPRsForWavesPerEU: 148
; Occupancy: 4
; WaveLimiterHint : 1
; COMPUTE_PGM_RSRC2:SCRATCH_EN: 0
; COMPUTE_PGM_RSRC2:USER_SGPR: 15
; COMPUTE_PGM_RSRC2:TRAP_HANDLER: 0
; COMPUTE_PGM_RSRC2:TGID_X_EN: 1
; COMPUTE_PGM_RSRC2:TGID_Y_EN: 0
; COMPUTE_PGM_RSRC2:TGID_Z_EN: 0
; COMPUTE_PGM_RSRC2:TIDIG_COMP_CNT: 0
	.section	.text._ZN7rocprim17ROCPRIM_400000_NS6detail17trampoline_kernelINS0_14default_configENS1_35adjacent_difference_config_selectorILb1EdEEZNS1_24adjacent_difference_implIS3_Lb1ELb0EPdS7_N6thrust23THRUST_200600_302600_NS5minusIdEEEE10hipError_tPvRmT2_T3_mT4_P12ihipStream_tbEUlT_E_NS1_11comp_targetILNS1_3genE8ELNS1_11target_archE1030ELNS1_3gpuE2ELNS1_3repE0EEENS1_30default_config_static_selectorELNS0_4arch9wavefront6targetE0EEEvT1_,"axG",@progbits,_ZN7rocprim17ROCPRIM_400000_NS6detail17trampoline_kernelINS0_14default_configENS1_35adjacent_difference_config_selectorILb1EdEEZNS1_24adjacent_difference_implIS3_Lb1ELb0EPdS7_N6thrust23THRUST_200600_302600_NS5minusIdEEEE10hipError_tPvRmT2_T3_mT4_P12ihipStream_tbEUlT_E_NS1_11comp_targetILNS1_3genE8ELNS1_11target_archE1030ELNS1_3gpuE2ELNS1_3repE0EEENS1_30default_config_static_selectorELNS0_4arch9wavefront6targetE0EEEvT1_,comdat
	.protected	_ZN7rocprim17ROCPRIM_400000_NS6detail17trampoline_kernelINS0_14default_configENS1_35adjacent_difference_config_selectorILb1EdEEZNS1_24adjacent_difference_implIS3_Lb1ELb0EPdS7_N6thrust23THRUST_200600_302600_NS5minusIdEEEE10hipError_tPvRmT2_T3_mT4_P12ihipStream_tbEUlT_E_NS1_11comp_targetILNS1_3genE8ELNS1_11target_archE1030ELNS1_3gpuE2ELNS1_3repE0EEENS1_30default_config_static_selectorELNS0_4arch9wavefront6targetE0EEEvT1_ ; -- Begin function _ZN7rocprim17ROCPRIM_400000_NS6detail17trampoline_kernelINS0_14default_configENS1_35adjacent_difference_config_selectorILb1EdEEZNS1_24adjacent_difference_implIS3_Lb1ELb0EPdS7_N6thrust23THRUST_200600_302600_NS5minusIdEEEE10hipError_tPvRmT2_T3_mT4_P12ihipStream_tbEUlT_E_NS1_11comp_targetILNS1_3genE8ELNS1_11target_archE1030ELNS1_3gpuE2ELNS1_3repE0EEENS1_30default_config_static_selectorELNS0_4arch9wavefront6targetE0EEEvT1_
	.globl	_ZN7rocprim17ROCPRIM_400000_NS6detail17trampoline_kernelINS0_14default_configENS1_35adjacent_difference_config_selectorILb1EdEEZNS1_24adjacent_difference_implIS3_Lb1ELb0EPdS7_N6thrust23THRUST_200600_302600_NS5minusIdEEEE10hipError_tPvRmT2_T3_mT4_P12ihipStream_tbEUlT_E_NS1_11comp_targetILNS1_3genE8ELNS1_11target_archE1030ELNS1_3gpuE2ELNS1_3repE0EEENS1_30default_config_static_selectorELNS0_4arch9wavefront6targetE0EEEvT1_
	.p2align	8
	.type	_ZN7rocprim17ROCPRIM_400000_NS6detail17trampoline_kernelINS0_14default_configENS1_35adjacent_difference_config_selectorILb1EdEEZNS1_24adjacent_difference_implIS3_Lb1ELb0EPdS7_N6thrust23THRUST_200600_302600_NS5minusIdEEEE10hipError_tPvRmT2_T3_mT4_P12ihipStream_tbEUlT_E_NS1_11comp_targetILNS1_3genE8ELNS1_11target_archE1030ELNS1_3gpuE2ELNS1_3repE0EEENS1_30default_config_static_selectorELNS0_4arch9wavefront6targetE0EEEvT1_,@function
_ZN7rocprim17ROCPRIM_400000_NS6detail17trampoline_kernelINS0_14default_configENS1_35adjacent_difference_config_selectorILb1EdEEZNS1_24adjacent_difference_implIS3_Lb1ELb0EPdS7_N6thrust23THRUST_200600_302600_NS5minusIdEEEE10hipError_tPvRmT2_T3_mT4_P12ihipStream_tbEUlT_E_NS1_11comp_targetILNS1_3genE8ELNS1_11target_archE1030ELNS1_3gpuE2ELNS1_3repE0EEENS1_30default_config_static_selectorELNS0_4arch9wavefront6targetE0EEEvT1_: ; @_ZN7rocprim17ROCPRIM_400000_NS6detail17trampoline_kernelINS0_14default_configENS1_35adjacent_difference_config_selectorILb1EdEEZNS1_24adjacent_difference_implIS3_Lb1ELb0EPdS7_N6thrust23THRUST_200600_302600_NS5minusIdEEEE10hipError_tPvRmT2_T3_mT4_P12ihipStream_tbEUlT_E_NS1_11comp_targetILNS1_3genE8ELNS1_11target_archE1030ELNS1_3gpuE2ELNS1_3repE0EEENS1_30default_config_static_selectorELNS0_4arch9wavefront6targetE0EEEvT1_
; %bb.0:
	.section	.rodata,"a",@progbits
	.p2align	6, 0x0
	.amdhsa_kernel _ZN7rocprim17ROCPRIM_400000_NS6detail17trampoline_kernelINS0_14default_configENS1_35adjacent_difference_config_selectorILb1EdEEZNS1_24adjacent_difference_implIS3_Lb1ELb0EPdS7_N6thrust23THRUST_200600_302600_NS5minusIdEEEE10hipError_tPvRmT2_T3_mT4_P12ihipStream_tbEUlT_E_NS1_11comp_targetILNS1_3genE8ELNS1_11target_archE1030ELNS1_3gpuE2ELNS1_3repE0EEENS1_30default_config_static_selectorELNS0_4arch9wavefront6targetE0EEEvT1_
		.amdhsa_group_segment_fixed_size 0
		.amdhsa_private_segment_fixed_size 0
		.amdhsa_kernarg_size 56
		.amdhsa_user_sgpr_count 15
		.amdhsa_user_sgpr_dispatch_ptr 0
		.amdhsa_user_sgpr_queue_ptr 0
		.amdhsa_user_sgpr_kernarg_segment_ptr 1
		.amdhsa_user_sgpr_dispatch_id 0
		.amdhsa_user_sgpr_private_segment_size 0
		.amdhsa_wavefront_size32 1
		.amdhsa_uses_dynamic_stack 0
		.amdhsa_enable_private_segment 0
		.amdhsa_system_sgpr_workgroup_id_x 1
		.amdhsa_system_sgpr_workgroup_id_y 0
		.amdhsa_system_sgpr_workgroup_id_z 0
		.amdhsa_system_sgpr_workgroup_info 0
		.amdhsa_system_vgpr_workitem_id 0
		.amdhsa_next_free_vgpr 1
		.amdhsa_next_free_sgpr 1
		.amdhsa_reserve_vcc 0
		.amdhsa_float_round_mode_32 0
		.amdhsa_float_round_mode_16_64 0
		.amdhsa_float_denorm_mode_32 3
		.amdhsa_float_denorm_mode_16_64 3
		.amdhsa_dx10_clamp 1
		.amdhsa_ieee_mode 1
		.amdhsa_fp16_overflow 0
		.amdhsa_workgroup_processor_mode 1
		.amdhsa_memory_ordered 1
		.amdhsa_forward_progress 0
		.amdhsa_shared_vgpr_count 0
		.amdhsa_exception_fp_ieee_invalid_op 0
		.amdhsa_exception_fp_denorm_src 0
		.amdhsa_exception_fp_ieee_div_zero 0
		.amdhsa_exception_fp_ieee_overflow 0
		.amdhsa_exception_fp_ieee_underflow 0
		.amdhsa_exception_fp_ieee_inexact 0
		.amdhsa_exception_int_div_zero 0
	.end_amdhsa_kernel
	.section	.text._ZN7rocprim17ROCPRIM_400000_NS6detail17trampoline_kernelINS0_14default_configENS1_35adjacent_difference_config_selectorILb1EdEEZNS1_24adjacent_difference_implIS3_Lb1ELb0EPdS7_N6thrust23THRUST_200600_302600_NS5minusIdEEEE10hipError_tPvRmT2_T3_mT4_P12ihipStream_tbEUlT_E_NS1_11comp_targetILNS1_3genE8ELNS1_11target_archE1030ELNS1_3gpuE2ELNS1_3repE0EEENS1_30default_config_static_selectorELNS0_4arch9wavefront6targetE0EEEvT1_,"axG",@progbits,_ZN7rocprim17ROCPRIM_400000_NS6detail17trampoline_kernelINS0_14default_configENS1_35adjacent_difference_config_selectorILb1EdEEZNS1_24adjacent_difference_implIS3_Lb1ELb0EPdS7_N6thrust23THRUST_200600_302600_NS5minusIdEEEE10hipError_tPvRmT2_T3_mT4_P12ihipStream_tbEUlT_E_NS1_11comp_targetILNS1_3genE8ELNS1_11target_archE1030ELNS1_3gpuE2ELNS1_3repE0EEENS1_30default_config_static_selectorELNS0_4arch9wavefront6targetE0EEEvT1_,comdat
.Lfunc_end26:
	.size	_ZN7rocprim17ROCPRIM_400000_NS6detail17trampoline_kernelINS0_14default_configENS1_35adjacent_difference_config_selectorILb1EdEEZNS1_24adjacent_difference_implIS3_Lb1ELb0EPdS7_N6thrust23THRUST_200600_302600_NS5minusIdEEEE10hipError_tPvRmT2_T3_mT4_P12ihipStream_tbEUlT_E_NS1_11comp_targetILNS1_3genE8ELNS1_11target_archE1030ELNS1_3gpuE2ELNS1_3repE0EEENS1_30default_config_static_selectorELNS0_4arch9wavefront6targetE0EEEvT1_, .Lfunc_end26-_ZN7rocprim17ROCPRIM_400000_NS6detail17trampoline_kernelINS0_14default_configENS1_35adjacent_difference_config_selectorILb1EdEEZNS1_24adjacent_difference_implIS3_Lb1ELb0EPdS7_N6thrust23THRUST_200600_302600_NS5minusIdEEEE10hipError_tPvRmT2_T3_mT4_P12ihipStream_tbEUlT_E_NS1_11comp_targetILNS1_3genE8ELNS1_11target_archE1030ELNS1_3gpuE2ELNS1_3repE0EEENS1_30default_config_static_selectorELNS0_4arch9wavefront6targetE0EEEvT1_
                                        ; -- End function
	.section	.AMDGPU.csdata,"",@progbits
; Kernel info:
; codeLenInByte = 0
; NumSgprs: 0
; NumVgprs: 0
; ScratchSize: 0
; MemoryBound: 0
; FloatMode: 240
; IeeeMode: 1
; LDSByteSize: 0 bytes/workgroup (compile time only)
; SGPRBlocks: 0
; VGPRBlocks: 0
; NumSGPRsForWavesPerEU: 1
; NumVGPRsForWavesPerEU: 1
; Occupancy: 16
; WaveLimiterHint : 0
; COMPUTE_PGM_RSRC2:SCRATCH_EN: 0
; COMPUTE_PGM_RSRC2:USER_SGPR: 15
; COMPUTE_PGM_RSRC2:TRAP_HANDLER: 0
; COMPUTE_PGM_RSRC2:TGID_X_EN: 1
; COMPUTE_PGM_RSRC2:TGID_Y_EN: 0
; COMPUTE_PGM_RSRC2:TGID_Z_EN: 0
; COMPUTE_PGM_RSRC2:TIDIG_COMP_CNT: 0
	.section	.text._ZN7rocprim17ROCPRIM_400000_NS6detail17trampoline_kernelINS0_14default_configENS1_35adjacent_difference_config_selectorILb0EdEEZNS1_24adjacent_difference_implIS3_Lb0ELb0EPdS7_N6thrust23THRUST_200600_302600_NS4plusIdEEEE10hipError_tPvRmT2_T3_mT4_P12ihipStream_tbEUlT_E_NS1_11comp_targetILNS1_3genE0ELNS1_11target_archE4294967295ELNS1_3gpuE0ELNS1_3repE0EEENS1_30default_config_static_selectorELNS0_4arch9wavefront6targetE0EEEvT1_,"axG",@progbits,_ZN7rocprim17ROCPRIM_400000_NS6detail17trampoline_kernelINS0_14default_configENS1_35adjacent_difference_config_selectorILb0EdEEZNS1_24adjacent_difference_implIS3_Lb0ELb0EPdS7_N6thrust23THRUST_200600_302600_NS4plusIdEEEE10hipError_tPvRmT2_T3_mT4_P12ihipStream_tbEUlT_E_NS1_11comp_targetILNS1_3genE0ELNS1_11target_archE4294967295ELNS1_3gpuE0ELNS1_3repE0EEENS1_30default_config_static_selectorELNS0_4arch9wavefront6targetE0EEEvT1_,comdat
	.protected	_ZN7rocprim17ROCPRIM_400000_NS6detail17trampoline_kernelINS0_14default_configENS1_35adjacent_difference_config_selectorILb0EdEEZNS1_24adjacent_difference_implIS3_Lb0ELb0EPdS7_N6thrust23THRUST_200600_302600_NS4plusIdEEEE10hipError_tPvRmT2_T3_mT4_P12ihipStream_tbEUlT_E_NS1_11comp_targetILNS1_3genE0ELNS1_11target_archE4294967295ELNS1_3gpuE0ELNS1_3repE0EEENS1_30default_config_static_selectorELNS0_4arch9wavefront6targetE0EEEvT1_ ; -- Begin function _ZN7rocprim17ROCPRIM_400000_NS6detail17trampoline_kernelINS0_14default_configENS1_35adjacent_difference_config_selectorILb0EdEEZNS1_24adjacent_difference_implIS3_Lb0ELb0EPdS7_N6thrust23THRUST_200600_302600_NS4plusIdEEEE10hipError_tPvRmT2_T3_mT4_P12ihipStream_tbEUlT_E_NS1_11comp_targetILNS1_3genE0ELNS1_11target_archE4294967295ELNS1_3gpuE0ELNS1_3repE0EEENS1_30default_config_static_selectorELNS0_4arch9wavefront6targetE0EEEvT1_
	.globl	_ZN7rocprim17ROCPRIM_400000_NS6detail17trampoline_kernelINS0_14default_configENS1_35adjacent_difference_config_selectorILb0EdEEZNS1_24adjacent_difference_implIS3_Lb0ELb0EPdS7_N6thrust23THRUST_200600_302600_NS4plusIdEEEE10hipError_tPvRmT2_T3_mT4_P12ihipStream_tbEUlT_E_NS1_11comp_targetILNS1_3genE0ELNS1_11target_archE4294967295ELNS1_3gpuE0ELNS1_3repE0EEENS1_30default_config_static_selectorELNS0_4arch9wavefront6targetE0EEEvT1_
	.p2align	8
	.type	_ZN7rocprim17ROCPRIM_400000_NS6detail17trampoline_kernelINS0_14default_configENS1_35adjacent_difference_config_selectorILb0EdEEZNS1_24adjacent_difference_implIS3_Lb0ELb0EPdS7_N6thrust23THRUST_200600_302600_NS4plusIdEEEE10hipError_tPvRmT2_T3_mT4_P12ihipStream_tbEUlT_E_NS1_11comp_targetILNS1_3genE0ELNS1_11target_archE4294967295ELNS1_3gpuE0ELNS1_3repE0EEENS1_30default_config_static_selectorELNS0_4arch9wavefront6targetE0EEEvT1_,@function
_ZN7rocprim17ROCPRIM_400000_NS6detail17trampoline_kernelINS0_14default_configENS1_35adjacent_difference_config_selectorILb0EdEEZNS1_24adjacent_difference_implIS3_Lb0ELb0EPdS7_N6thrust23THRUST_200600_302600_NS4plusIdEEEE10hipError_tPvRmT2_T3_mT4_P12ihipStream_tbEUlT_E_NS1_11comp_targetILNS1_3genE0ELNS1_11target_archE4294967295ELNS1_3gpuE0ELNS1_3repE0EEENS1_30default_config_static_selectorELNS0_4arch9wavefront6targetE0EEEvT1_: ; @_ZN7rocprim17ROCPRIM_400000_NS6detail17trampoline_kernelINS0_14default_configENS1_35adjacent_difference_config_selectorILb0EdEEZNS1_24adjacent_difference_implIS3_Lb0ELb0EPdS7_N6thrust23THRUST_200600_302600_NS4plusIdEEEE10hipError_tPvRmT2_T3_mT4_P12ihipStream_tbEUlT_E_NS1_11comp_targetILNS1_3genE0ELNS1_11target_archE4294967295ELNS1_3gpuE0ELNS1_3repE0EEENS1_30default_config_static_selectorELNS0_4arch9wavefront6targetE0EEEvT1_
; %bb.0:
	.section	.rodata,"a",@progbits
	.p2align	6, 0x0
	.amdhsa_kernel _ZN7rocprim17ROCPRIM_400000_NS6detail17trampoline_kernelINS0_14default_configENS1_35adjacent_difference_config_selectorILb0EdEEZNS1_24adjacent_difference_implIS3_Lb0ELb0EPdS7_N6thrust23THRUST_200600_302600_NS4plusIdEEEE10hipError_tPvRmT2_T3_mT4_P12ihipStream_tbEUlT_E_NS1_11comp_targetILNS1_3genE0ELNS1_11target_archE4294967295ELNS1_3gpuE0ELNS1_3repE0EEENS1_30default_config_static_selectorELNS0_4arch9wavefront6targetE0EEEvT1_
		.amdhsa_group_segment_fixed_size 0
		.amdhsa_private_segment_fixed_size 0
		.amdhsa_kernarg_size 56
		.amdhsa_user_sgpr_count 15
		.amdhsa_user_sgpr_dispatch_ptr 0
		.amdhsa_user_sgpr_queue_ptr 0
		.amdhsa_user_sgpr_kernarg_segment_ptr 1
		.amdhsa_user_sgpr_dispatch_id 0
		.amdhsa_user_sgpr_private_segment_size 0
		.amdhsa_wavefront_size32 1
		.amdhsa_uses_dynamic_stack 0
		.amdhsa_enable_private_segment 0
		.amdhsa_system_sgpr_workgroup_id_x 1
		.amdhsa_system_sgpr_workgroup_id_y 0
		.amdhsa_system_sgpr_workgroup_id_z 0
		.amdhsa_system_sgpr_workgroup_info 0
		.amdhsa_system_vgpr_workitem_id 0
		.amdhsa_next_free_vgpr 1
		.amdhsa_next_free_sgpr 1
		.amdhsa_reserve_vcc 0
		.amdhsa_float_round_mode_32 0
		.amdhsa_float_round_mode_16_64 0
		.amdhsa_float_denorm_mode_32 3
		.amdhsa_float_denorm_mode_16_64 3
		.amdhsa_dx10_clamp 1
		.amdhsa_ieee_mode 1
		.amdhsa_fp16_overflow 0
		.amdhsa_workgroup_processor_mode 1
		.amdhsa_memory_ordered 1
		.amdhsa_forward_progress 0
		.amdhsa_shared_vgpr_count 0
		.amdhsa_exception_fp_ieee_invalid_op 0
		.amdhsa_exception_fp_denorm_src 0
		.amdhsa_exception_fp_ieee_div_zero 0
		.amdhsa_exception_fp_ieee_overflow 0
		.amdhsa_exception_fp_ieee_underflow 0
		.amdhsa_exception_fp_ieee_inexact 0
		.amdhsa_exception_int_div_zero 0
	.end_amdhsa_kernel
	.section	.text._ZN7rocprim17ROCPRIM_400000_NS6detail17trampoline_kernelINS0_14default_configENS1_35adjacent_difference_config_selectorILb0EdEEZNS1_24adjacent_difference_implIS3_Lb0ELb0EPdS7_N6thrust23THRUST_200600_302600_NS4plusIdEEEE10hipError_tPvRmT2_T3_mT4_P12ihipStream_tbEUlT_E_NS1_11comp_targetILNS1_3genE0ELNS1_11target_archE4294967295ELNS1_3gpuE0ELNS1_3repE0EEENS1_30default_config_static_selectorELNS0_4arch9wavefront6targetE0EEEvT1_,"axG",@progbits,_ZN7rocprim17ROCPRIM_400000_NS6detail17trampoline_kernelINS0_14default_configENS1_35adjacent_difference_config_selectorILb0EdEEZNS1_24adjacent_difference_implIS3_Lb0ELb0EPdS7_N6thrust23THRUST_200600_302600_NS4plusIdEEEE10hipError_tPvRmT2_T3_mT4_P12ihipStream_tbEUlT_E_NS1_11comp_targetILNS1_3genE0ELNS1_11target_archE4294967295ELNS1_3gpuE0ELNS1_3repE0EEENS1_30default_config_static_selectorELNS0_4arch9wavefront6targetE0EEEvT1_,comdat
.Lfunc_end27:
	.size	_ZN7rocprim17ROCPRIM_400000_NS6detail17trampoline_kernelINS0_14default_configENS1_35adjacent_difference_config_selectorILb0EdEEZNS1_24adjacent_difference_implIS3_Lb0ELb0EPdS7_N6thrust23THRUST_200600_302600_NS4plusIdEEEE10hipError_tPvRmT2_T3_mT4_P12ihipStream_tbEUlT_E_NS1_11comp_targetILNS1_3genE0ELNS1_11target_archE4294967295ELNS1_3gpuE0ELNS1_3repE0EEENS1_30default_config_static_selectorELNS0_4arch9wavefront6targetE0EEEvT1_, .Lfunc_end27-_ZN7rocprim17ROCPRIM_400000_NS6detail17trampoline_kernelINS0_14default_configENS1_35adjacent_difference_config_selectorILb0EdEEZNS1_24adjacent_difference_implIS3_Lb0ELb0EPdS7_N6thrust23THRUST_200600_302600_NS4plusIdEEEE10hipError_tPvRmT2_T3_mT4_P12ihipStream_tbEUlT_E_NS1_11comp_targetILNS1_3genE0ELNS1_11target_archE4294967295ELNS1_3gpuE0ELNS1_3repE0EEENS1_30default_config_static_selectorELNS0_4arch9wavefront6targetE0EEEvT1_
                                        ; -- End function
	.section	.AMDGPU.csdata,"",@progbits
; Kernel info:
; codeLenInByte = 0
; NumSgprs: 0
; NumVgprs: 0
; ScratchSize: 0
; MemoryBound: 0
; FloatMode: 240
; IeeeMode: 1
; LDSByteSize: 0 bytes/workgroup (compile time only)
; SGPRBlocks: 0
; VGPRBlocks: 0
; NumSGPRsForWavesPerEU: 1
; NumVGPRsForWavesPerEU: 1
; Occupancy: 16
; WaveLimiterHint : 0
; COMPUTE_PGM_RSRC2:SCRATCH_EN: 0
; COMPUTE_PGM_RSRC2:USER_SGPR: 15
; COMPUTE_PGM_RSRC2:TRAP_HANDLER: 0
; COMPUTE_PGM_RSRC2:TGID_X_EN: 1
; COMPUTE_PGM_RSRC2:TGID_Y_EN: 0
; COMPUTE_PGM_RSRC2:TGID_Z_EN: 0
; COMPUTE_PGM_RSRC2:TIDIG_COMP_CNT: 0
	.section	.text._ZN7rocprim17ROCPRIM_400000_NS6detail17trampoline_kernelINS0_14default_configENS1_35adjacent_difference_config_selectorILb0EdEEZNS1_24adjacent_difference_implIS3_Lb0ELb0EPdS7_N6thrust23THRUST_200600_302600_NS4plusIdEEEE10hipError_tPvRmT2_T3_mT4_P12ihipStream_tbEUlT_E_NS1_11comp_targetILNS1_3genE10ELNS1_11target_archE1201ELNS1_3gpuE5ELNS1_3repE0EEENS1_30default_config_static_selectorELNS0_4arch9wavefront6targetE0EEEvT1_,"axG",@progbits,_ZN7rocprim17ROCPRIM_400000_NS6detail17trampoline_kernelINS0_14default_configENS1_35adjacent_difference_config_selectorILb0EdEEZNS1_24adjacent_difference_implIS3_Lb0ELb0EPdS7_N6thrust23THRUST_200600_302600_NS4plusIdEEEE10hipError_tPvRmT2_T3_mT4_P12ihipStream_tbEUlT_E_NS1_11comp_targetILNS1_3genE10ELNS1_11target_archE1201ELNS1_3gpuE5ELNS1_3repE0EEENS1_30default_config_static_selectorELNS0_4arch9wavefront6targetE0EEEvT1_,comdat
	.protected	_ZN7rocprim17ROCPRIM_400000_NS6detail17trampoline_kernelINS0_14default_configENS1_35adjacent_difference_config_selectorILb0EdEEZNS1_24adjacent_difference_implIS3_Lb0ELb0EPdS7_N6thrust23THRUST_200600_302600_NS4plusIdEEEE10hipError_tPvRmT2_T3_mT4_P12ihipStream_tbEUlT_E_NS1_11comp_targetILNS1_3genE10ELNS1_11target_archE1201ELNS1_3gpuE5ELNS1_3repE0EEENS1_30default_config_static_selectorELNS0_4arch9wavefront6targetE0EEEvT1_ ; -- Begin function _ZN7rocprim17ROCPRIM_400000_NS6detail17trampoline_kernelINS0_14default_configENS1_35adjacent_difference_config_selectorILb0EdEEZNS1_24adjacent_difference_implIS3_Lb0ELb0EPdS7_N6thrust23THRUST_200600_302600_NS4plusIdEEEE10hipError_tPvRmT2_T3_mT4_P12ihipStream_tbEUlT_E_NS1_11comp_targetILNS1_3genE10ELNS1_11target_archE1201ELNS1_3gpuE5ELNS1_3repE0EEENS1_30default_config_static_selectorELNS0_4arch9wavefront6targetE0EEEvT1_
	.globl	_ZN7rocprim17ROCPRIM_400000_NS6detail17trampoline_kernelINS0_14default_configENS1_35adjacent_difference_config_selectorILb0EdEEZNS1_24adjacent_difference_implIS3_Lb0ELb0EPdS7_N6thrust23THRUST_200600_302600_NS4plusIdEEEE10hipError_tPvRmT2_T3_mT4_P12ihipStream_tbEUlT_E_NS1_11comp_targetILNS1_3genE10ELNS1_11target_archE1201ELNS1_3gpuE5ELNS1_3repE0EEENS1_30default_config_static_selectorELNS0_4arch9wavefront6targetE0EEEvT1_
	.p2align	8
	.type	_ZN7rocprim17ROCPRIM_400000_NS6detail17trampoline_kernelINS0_14default_configENS1_35adjacent_difference_config_selectorILb0EdEEZNS1_24adjacent_difference_implIS3_Lb0ELb0EPdS7_N6thrust23THRUST_200600_302600_NS4plusIdEEEE10hipError_tPvRmT2_T3_mT4_P12ihipStream_tbEUlT_E_NS1_11comp_targetILNS1_3genE10ELNS1_11target_archE1201ELNS1_3gpuE5ELNS1_3repE0EEENS1_30default_config_static_selectorELNS0_4arch9wavefront6targetE0EEEvT1_,@function
_ZN7rocprim17ROCPRIM_400000_NS6detail17trampoline_kernelINS0_14default_configENS1_35adjacent_difference_config_selectorILb0EdEEZNS1_24adjacent_difference_implIS3_Lb0ELb0EPdS7_N6thrust23THRUST_200600_302600_NS4plusIdEEEE10hipError_tPvRmT2_T3_mT4_P12ihipStream_tbEUlT_E_NS1_11comp_targetILNS1_3genE10ELNS1_11target_archE1201ELNS1_3gpuE5ELNS1_3repE0EEENS1_30default_config_static_selectorELNS0_4arch9wavefront6targetE0EEEvT1_: ; @_ZN7rocprim17ROCPRIM_400000_NS6detail17trampoline_kernelINS0_14default_configENS1_35adjacent_difference_config_selectorILb0EdEEZNS1_24adjacent_difference_implIS3_Lb0ELb0EPdS7_N6thrust23THRUST_200600_302600_NS4plusIdEEEE10hipError_tPvRmT2_T3_mT4_P12ihipStream_tbEUlT_E_NS1_11comp_targetILNS1_3genE10ELNS1_11target_archE1201ELNS1_3gpuE5ELNS1_3repE0EEENS1_30default_config_static_selectorELNS0_4arch9wavefront6targetE0EEEvT1_
; %bb.0:
	.section	.rodata,"a",@progbits
	.p2align	6, 0x0
	.amdhsa_kernel _ZN7rocprim17ROCPRIM_400000_NS6detail17trampoline_kernelINS0_14default_configENS1_35adjacent_difference_config_selectorILb0EdEEZNS1_24adjacent_difference_implIS3_Lb0ELb0EPdS7_N6thrust23THRUST_200600_302600_NS4plusIdEEEE10hipError_tPvRmT2_T3_mT4_P12ihipStream_tbEUlT_E_NS1_11comp_targetILNS1_3genE10ELNS1_11target_archE1201ELNS1_3gpuE5ELNS1_3repE0EEENS1_30default_config_static_selectorELNS0_4arch9wavefront6targetE0EEEvT1_
		.amdhsa_group_segment_fixed_size 0
		.amdhsa_private_segment_fixed_size 0
		.amdhsa_kernarg_size 56
		.amdhsa_user_sgpr_count 15
		.amdhsa_user_sgpr_dispatch_ptr 0
		.amdhsa_user_sgpr_queue_ptr 0
		.amdhsa_user_sgpr_kernarg_segment_ptr 1
		.amdhsa_user_sgpr_dispatch_id 0
		.amdhsa_user_sgpr_private_segment_size 0
		.amdhsa_wavefront_size32 1
		.amdhsa_uses_dynamic_stack 0
		.amdhsa_enable_private_segment 0
		.amdhsa_system_sgpr_workgroup_id_x 1
		.amdhsa_system_sgpr_workgroup_id_y 0
		.amdhsa_system_sgpr_workgroup_id_z 0
		.amdhsa_system_sgpr_workgroup_info 0
		.amdhsa_system_vgpr_workitem_id 0
		.amdhsa_next_free_vgpr 1
		.amdhsa_next_free_sgpr 1
		.amdhsa_reserve_vcc 0
		.amdhsa_float_round_mode_32 0
		.amdhsa_float_round_mode_16_64 0
		.amdhsa_float_denorm_mode_32 3
		.amdhsa_float_denorm_mode_16_64 3
		.amdhsa_dx10_clamp 1
		.amdhsa_ieee_mode 1
		.amdhsa_fp16_overflow 0
		.amdhsa_workgroup_processor_mode 1
		.amdhsa_memory_ordered 1
		.amdhsa_forward_progress 0
		.amdhsa_shared_vgpr_count 0
		.amdhsa_exception_fp_ieee_invalid_op 0
		.amdhsa_exception_fp_denorm_src 0
		.amdhsa_exception_fp_ieee_div_zero 0
		.amdhsa_exception_fp_ieee_overflow 0
		.amdhsa_exception_fp_ieee_underflow 0
		.amdhsa_exception_fp_ieee_inexact 0
		.amdhsa_exception_int_div_zero 0
	.end_amdhsa_kernel
	.section	.text._ZN7rocprim17ROCPRIM_400000_NS6detail17trampoline_kernelINS0_14default_configENS1_35adjacent_difference_config_selectorILb0EdEEZNS1_24adjacent_difference_implIS3_Lb0ELb0EPdS7_N6thrust23THRUST_200600_302600_NS4plusIdEEEE10hipError_tPvRmT2_T3_mT4_P12ihipStream_tbEUlT_E_NS1_11comp_targetILNS1_3genE10ELNS1_11target_archE1201ELNS1_3gpuE5ELNS1_3repE0EEENS1_30default_config_static_selectorELNS0_4arch9wavefront6targetE0EEEvT1_,"axG",@progbits,_ZN7rocprim17ROCPRIM_400000_NS6detail17trampoline_kernelINS0_14default_configENS1_35adjacent_difference_config_selectorILb0EdEEZNS1_24adjacent_difference_implIS3_Lb0ELb0EPdS7_N6thrust23THRUST_200600_302600_NS4plusIdEEEE10hipError_tPvRmT2_T3_mT4_P12ihipStream_tbEUlT_E_NS1_11comp_targetILNS1_3genE10ELNS1_11target_archE1201ELNS1_3gpuE5ELNS1_3repE0EEENS1_30default_config_static_selectorELNS0_4arch9wavefront6targetE0EEEvT1_,comdat
.Lfunc_end28:
	.size	_ZN7rocprim17ROCPRIM_400000_NS6detail17trampoline_kernelINS0_14default_configENS1_35adjacent_difference_config_selectorILb0EdEEZNS1_24adjacent_difference_implIS3_Lb0ELb0EPdS7_N6thrust23THRUST_200600_302600_NS4plusIdEEEE10hipError_tPvRmT2_T3_mT4_P12ihipStream_tbEUlT_E_NS1_11comp_targetILNS1_3genE10ELNS1_11target_archE1201ELNS1_3gpuE5ELNS1_3repE0EEENS1_30default_config_static_selectorELNS0_4arch9wavefront6targetE0EEEvT1_, .Lfunc_end28-_ZN7rocprim17ROCPRIM_400000_NS6detail17trampoline_kernelINS0_14default_configENS1_35adjacent_difference_config_selectorILb0EdEEZNS1_24adjacent_difference_implIS3_Lb0ELb0EPdS7_N6thrust23THRUST_200600_302600_NS4plusIdEEEE10hipError_tPvRmT2_T3_mT4_P12ihipStream_tbEUlT_E_NS1_11comp_targetILNS1_3genE10ELNS1_11target_archE1201ELNS1_3gpuE5ELNS1_3repE0EEENS1_30default_config_static_selectorELNS0_4arch9wavefront6targetE0EEEvT1_
                                        ; -- End function
	.section	.AMDGPU.csdata,"",@progbits
; Kernel info:
; codeLenInByte = 0
; NumSgprs: 0
; NumVgprs: 0
; ScratchSize: 0
; MemoryBound: 0
; FloatMode: 240
; IeeeMode: 1
; LDSByteSize: 0 bytes/workgroup (compile time only)
; SGPRBlocks: 0
; VGPRBlocks: 0
; NumSGPRsForWavesPerEU: 1
; NumVGPRsForWavesPerEU: 1
; Occupancy: 16
; WaveLimiterHint : 0
; COMPUTE_PGM_RSRC2:SCRATCH_EN: 0
; COMPUTE_PGM_RSRC2:USER_SGPR: 15
; COMPUTE_PGM_RSRC2:TRAP_HANDLER: 0
; COMPUTE_PGM_RSRC2:TGID_X_EN: 1
; COMPUTE_PGM_RSRC2:TGID_Y_EN: 0
; COMPUTE_PGM_RSRC2:TGID_Z_EN: 0
; COMPUTE_PGM_RSRC2:TIDIG_COMP_CNT: 0
	.section	.text._ZN7rocprim17ROCPRIM_400000_NS6detail17trampoline_kernelINS0_14default_configENS1_35adjacent_difference_config_selectorILb0EdEEZNS1_24adjacent_difference_implIS3_Lb0ELb0EPdS7_N6thrust23THRUST_200600_302600_NS4plusIdEEEE10hipError_tPvRmT2_T3_mT4_P12ihipStream_tbEUlT_E_NS1_11comp_targetILNS1_3genE5ELNS1_11target_archE942ELNS1_3gpuE9ELNS1_3repE0EEENS1_30default_config_static_selectorELNS0_4arch9wavefront6targetE0EEEvT1_,"axG",@progbits,_ZN7rocprim17ROCPRIM_400000_NS6detail17trampoline_kernelINS0_14default_configENS1_35adjacent_difference_config_selectorILb0EdEEZNS1_24adjacent_difference_implIS3_Lb0ELb0EPdS7_N6thrust23THRUST_200600_302600_NS4plusIdEEEE10hipError_tPvRmT2_T3_mT4_P12ihipStream_tbEUlT_E_NS1_11comp_targetILNS1_3genE5ELNS1_11target_archE942ELNS1_3gpuE9ELNS1_3repE0EEENS1_30default_config_static_selectorELNS0_4arch9wavefront6targetE0EEEvT1_,comdat
	.protected	_ZN7rocprim17ROCPRIM_400000_NS6detail17trampoline_kernelINS0_14default_configENS1_35adjacent_difference_config_selectorILb0EdEEZNS1_24adjacent_difference_implIS3_Lb0ELb0EPdS7_N6thrust23THRUST_200600_302600_NS4plusIdEEEE10hipError_tPvRmT2_T3_mT4_P12ihipStream_tbEUlT_E_NS1_11comp_targetILNS1_3genE5ELNS1_11target_archE942ELNS1_3gpuE9ELNS1_3repE0EEENS1_30default_config_static_selectorELNS0_4arch9wavefront6targetE0EEEvT1_ ; -- Begin function _ZN7rocprim17ROCPRIM_400000_NS6detail17trampoline_kernelINS0_14default_configENS1_35adjacent_difference_config_selectorILb0EdEEZNS1_24adjacent_difference_implIS3_Lb0ELb0EPdS7_N6thrust23THRUST_200600_302600_NS4plusIdEEEE10hipError_tPvRmT2_T3_mT4_P12ihipStream_tbEUlT_E_NS1_11comp_targetILNS1_3genE5ELNS1_11target_archE942ELNS1_3gpuE9ELNS1_3repE0EEENS1_30default_config_static_selectorELNS0_4arch9wavefront6targetE0EEEvT1_
	.globl	_ZN7rocprim17ROCPRIM_400000_NS6detail17trampoline_kernelINS0_14default_configENS1_35adjacent_difference_config_selectorILb0EdEEZNS1_24adjacent_difference_implIS3_Lb0ELb0EPdS7_N6thrust23THRUST_200600_302600_NS4plusIdEEEE10hipError_tPvRmT2_T3_mT4_P12ihipStream_tbEUlT_E_NS1_11comp_targetILNS1_3genE5ELNS1_11target_archE942ELNS1_3gpuE9ELNS1_3repE0EEENS1_30default_config_static_selectorELNS0_4arch9wavefront6targetE0EEEvT1_
	.p2align	8
	.type	_ZN7rocprim17ROCPRIM_400000_NS6detail17trampoline_kernelINS0_14default_configENS1_35adjacent_difference_config_selectorILb0EdEEZNS1_24adjacent_difference_implIS3_Lb0ELb0EPdS7_N6thrust23THRUST_200600_302600_NS4plusIdEEEE10hipError_tPvRmT2_T3_mT4_P12ihipStream_tbEUlT_E_NS1_11comp_targetILNS1_3genE5ELNS1_11target_archE942ELNS1_3gpuE9ELNS1_3repE0EEENS1_30default_config_static_selectorELNS0_4arch9wavefront6targetE0EEEvT1_,@function
_ZN7rocprim17ROCPRIM_400000_NS6detail17trampoline_kernelINS0_14default_configENS1_35adjacent_difference_config_selectorILb0EdEEZNS1_24adjacent_difference_implIS3_Lb0ELb0EPdS7_N6thrust23THRUST_200600_302600_NS4plusIdEEEE10hipError_tPvRmT2_T3_mT4_P12ihipStream_tbEUlT_E_NS1_11comp_targetILNS1_3genE5ELNS1_11target_archE942ELNS1_3gpuE9ELNS1_3repE0EEENS1_30default_config_static_selectorELNS0_4arch9wavefront6targetE0EEEvT1_: ; @_ZN7rocprim17ROCPRIM_400000_NS6detail17trampoline_kernelINS0_14default_configENS1_35adjacent_difference_config_selectorILb0EdEEZNS1_24adjacent_difference_implIS3_Lb0ELb0EPdS7_N6thrust23THRUST_200600_302600_NS4plusIdEEEE10hipError_tPvRmT2_T3_mT4_P12ihipStream_tbEUlT_E_NS1_11comp_targetILNS1_3genE5ELNS1_11target_archE942ELNS1_3gpuE9ELNS1_3repE0EEENS1_30default_config_static_selectorELNS0_4arch9wavefront6targetE0EEEvT1_
; %bb.0:
	.section	.rodata,"a",@progbits
	.p2align	6, 0x0
	.amdhsa_kernel _ZN7rocprim17ROCPRIM_400000_NS6detail17trampoline_kernelINS0_14default_configENS1_35adjacent_difference_config_selectorILb0EdEEZNS1_24adjacent_difference_implIS3_Lb0ELb0EPdS7_N6thrust23THRUST_200600_302600_NS4plusIdEEEE10hipError_tPvRmT2_T3_mT4_P12ihipStream_tbEUlT_E_NS1_11comp_targetILNS1_3genE5ELNS1_11target_archE942ELNS1_3gpuE9ELNS1_3repE0EEENS1_30default_config_static_selectorELNS0_4arch9wavefront6targetE0EEEvT1_
		.amdhsa_group_segment_fixed_size 0
		.amdhsa_private_segment_fixed_size 0
		.amdhsa_kernarg_size 56
		.amdhsa_user_sgpr_count 15
		.amdhsa_user_sgpr_dispatch_ptr 0
		.amdhsa_user_sgpr_queue_ptr 0
		.amdhsa_user_sgpr_kernarg_segment_ptr 1
		.amdhsa_user_sgpr_dispatch_id 0
		.amdhsa_user_sgpr_private_segment_size 0
		.amdhsa_wavefront_size32 1
		.amdhsa_uses_dynamic_stack 0
		.amdhsa_enable_private_segment 0
		.amdhsa_system_sgpr_workgroup_id_x 1
		.amdhsa_system_sgpr_workgroup_id_y 0
		.amdhsa_system_sgpr_workgroup_id_z 0
		.amdhsa_system_sgpr_workgroup_info 0
		.amdhsa_system_vgpr_workitem_id 0
		.amdhsa_next_free_vgpr 1
		.amdhsa_next_free_sgpr 1
		.amdhsa_reserve_vcc 0
		.amdhsa_float_round_mode_32 0
		.amdhsa_float_round_mode_16_64 0
		.amdhsa_float_denorm_mode_32 3
		.amdhsa_float_denorm_mode_16_64 3
		.amdhsa_dx10_clamp 1
		.amdhsa_ieee_mode 1
		.amdhsa_fp16_overflow 0
		.amdhsa_workgroup_processor_mode 1
		.amdhsa_memory_ordered 1
		.amdhsa_forward_progress 0
		.amdhsa_shared_vgpr_count 0
		.amdhsa_exception_fp_ieee_invalid_op 0
		.amdhsa_exception_fp_denorm_src 0
		.amdhsa_exception_fp_ieee_div_zero 0
		.amdhsa_exception_fp_ieee_overflow 0
		.amdhsa_exception_fp_ieee_underflow 0
		.amdhsa_exception_fp_ieee_inexact 0
		.amdhsa_exception_int_div_zero 0
	.end_amdhsa_kernel
	.section	.text._ZN7rocprim17ROCPRIM_400000_NS6detail17trampoline_kernelINS0_14default_configENS1_35adjacent_difference_config_selectorILb0EdEEZNS1_24adjacent_difference_implIS3_Lb0ELb0EPdS7_N6thrust23THRUST_200600_302600_NS4plusIdEEEE10hipError_tPvRmT2_T3_mT4_P12ihipStream_tbEUlT_E_NS1_11comp_targetILNS1_3genE5ELNS1_11target_archE942ELNS1_3gpuE9ELNS1_3repE0EEENS1_30default_config_static_selectorELNS0_4arch9wavefront6targetE0EEEvT1_,"axG",@progbits,_ZN7rocprim17ROCPRIM_400000_NS6detail17trampoline_kernelINS0_14default_configENS1_35adjacent_difference_config_selectorILb0EdEEZNS1_24adjacent_difference_implIS3_Lb0ELb0EPdS7_N6thrust23THRUST_200600_302600_NS4plusIdEEEE10hipError_tPvRmT2_T3_mT4_P12ihipStream_tbEUlT_E_NS1_11comp_targetILNS1_3genE5ELNS1_11target_archE942ELNS1_3gpuE9ELNS1_3repE0EEENS1_30default_config_static_selectorELNS0_4arch9wavefront6targetE0EEEvT1_,comdat
.Lfunc_end29:
	.size	_ZN7rocprim17ROCPRIM_400000_NS6detail17trampoline_kernelINS0_14default_configENS1_35adjacent_difference_config_selectorILb0EdEEZNS1_24adjacent_difference_implIS3_Lb0ELb0EPdS7_N6thrust23THRUST_200600_302600_NS4plusIdEEEE10hipError_tPvRmT2_T3_mT4_P12ihipStream_tbEUlT_E_NS1_11comp_targetILNS1_3genE5ELNS1_11target_archE942ELNS1_3gpuE9ELNS1_3repE0EEENS1_30default_config_static_selectorELNS0_4arch9wavefront6targetE0EEEvT1_, .Lfunc_end29-_ZN7rocprim17ROCPRIM_400000_NS6detail17trampoline_kernelINS0_14default_configENS1_35adjacent_difference_config_selectorILb0EdEEZNS1_24adjacent_difference_implIS3_Lb0ELb0EPdS7_N6thrust23THRUST_200600_302600_NS4plusIdEEEE10hipError_tPvRmT2_T3_mT4_P12ihipStream_tbEUlT_E_NS1_11comp_targetILNS1_3genE5ELNS1_11target_archE942ELNS1_3gpuE9ELNS1_3repE0EEENS1_30default_config_static_selectorELNS0_4arch9wavefront6targetE0EEEvT1_
                                        ; -- End function
	.section	.AMDGPU.csdata,"",@progbits
; Kernel info:
; codeLenInByte = 0
; NumSgprs: 0
; NumVgprs: 0
; ScratchSize: 0
; MemoryBound: 0
; FloatMode: 240
; IeeeMode: 1
; LDSByteSize: 0 bytes/workgroup (compile time only)
; SGPRBlocks: 0
; VGPRBlocks: 0
; NumSGPRsForWavesPerEU: 1
; NumVGPRsForWavesPerEU: 1
; Occupancy: 16
; WaveLimiterHint : 0
; COMPUTE_PGM_RSRC2:SCRATCH_EN: 0
; COMPUTE_PGM_RSRC2:USER_SGPR: 15
; COMPUTE_PGM_RSRC2:TRAP_HANDLER: 0
; COMPUTE_PGM_RSRC2:TGID_X_EN: 1
; COMPUTE_PGM_RSRC2:TGID_Y_EN: 0
; COMPUTE_PGM_RSRC2:TGID_Z_EN: 0
; COMPUTE_PGM_RSRC2:TIDIG_COMP_CNT: 0
	.section	.text._ZN7rocprim17ROCPRIM_400000_NS6detail17trampoline_kernelINS0_14default_configENS1_35adjacent_difference_config_selectorILb0EdEEZNS1_24adjacent_difference_implIS3_Lb0ELb0EPdS7_N6thrust23THRUST_200600_302600_NS4plusIdEEEE10hipError_tPvRmT2_T3_mT4_P12ihipStream_tbEUlT_E_NS1_11comp_targetILNS1_3genE4ELNS1_11target_archE910ELNS1_3gpuE8ELNS1_3repE0EEENS1_30default_config_static_selectorELNS0_4arch9wavefront6targetE0EEEvT1_,"axG",@progbits,_ZN7rocprim17ROCPRIM_400000_NS6detail17trampoline_kernelINS0_14default_configENS1_35adjacent_difference_config_selectorILb0EdEEZNS1_24adjacent_difference_implIS3_Lb0ELb0EPdS7_N6thrust23THRUST_200600_302600_NS4plusIdEEEE10hipError_tPvRmT2_T3_mT4_P12ihipStream_tbEUlT_E_NS1_11comp_targetILNS1_3genE4ELNS1_11target_archE910ELNS1_3gpuE8ELNS1_3repE0EEENS1_30default_config_static_selectorELNS0_4arch9wavefront6targetE0EEEvT1_,comdat
	.protected	_ZN7rocprim17ROCPRIM_400000_NS6detail17trampoline_kernelINS0_14default_configENS1_35adjacent_difference_config_selectorILb0EdEEZNS1_24adjacent_difference_implIS3_Lb0ELb0EPdS7_N6thrust23THRUST_200600_302600_NS4plusIdEEEE10hipError_tPvRmT2_T3_mT4_P12ihipStream_tbEUlT_E_NS1_11comp_targetILNS1_3genE4ELNS1_11target_archE910ELNS1_3gpuE8ELNS1_3repE0EEENS1_30default_config_static_selectorELNS0_4arch9wavefront6targetE0EEEvT1_ ; -- Begin function _ZN7rocprim17ROCPRIM_400000_NS6detail17trampoline_kernelINS0_14default_configENS1_35adjacent_difference_config_selectorILb0EdEEZNS1_24adjacent_difference_implIS3_Lb0ELb0EPdS7_N6thrust23THRUST_200600_302600_NS4plusIdEEEE10hipError_tPvRmT2_T3_mT4_P12ihipStream_tbEUlT_E_NS1_11comp_targetILNS1_3genE4ELNS1_11target_archE910ELNS1_3gpuE8ELNS1_3repE0EEENS1_30default_config_static_selectorELNS0_4arch9wavefront6targetE0EEEvT1_
	.globl	_ZN7rocprim17ROCPRIM_400000_NS6detail17trampoline_kernelINS0_14default_configENS1_35adjacent_difference_config_selectorILb0EdEEZNS1_24adjacent_difference_implIS3_Lb0ELb0EPdS7_N6thrust23THRUST_200600_302600_NS4plusIdEEEE10hipError_tPvRmT2_T3_mT4_P12ihipStream_tbEUlT_E_NS1_11comp_targetILNS1_3genE4ELNS1_11target_archE910ELNS1_3gpuE8ELNS1_3repE0EEENS1_30default_config_static_selectorELNS0_4arch9wavefront6targetE0EEEvT1_
	.p2align	8
	.type	_ZN7rocprim17ROCPRIM_400000_NS6detail17trampoline_kernelINS0_14default_configENS1_35adjacent_difference_config_selectorILb0EdEEZNS1_24adjacent_difference_implIS3_Lb0ELb0EPdS7_N6thrust23THRUST_200600_302600_NS4plusIdEEEE10hipError_tPvRmT2_T3_mT4_P12ihipStream_tbEUlT_E_NS1_11comp_targetILNS1_3genE4ELNS1_11target_archE910ELNS1_3gpuE8ELNS1_3repE0EEENS1_30default_config_static_selectorELNS0_4arch9wavefront6targetE0EEEvT1_,@function
_ZN7rocprim17ROCPRIM_400000_NS6detail17trampoline_kernelINS0_14default_configENS1_35adjacent_difference_config_selectorILb0EdEEZNS1_24adjacent_difference_implIS3_Lb0ELb0EPdS7_N6thrust23THRUST_200600_302600_NS4plusIdEEEE10hipError_tPvRmT2_T3_mT4_P12ihipStream_tbEUlT_E_NS1_11comp_targetILNS1_3genE4ELNS1_11target_archE910ELNS1_3gpuE8ELNS1_3repE0EEENS1_30default_config_static_selectorELNS0_4arch9wavefront6targetE0EEEvT1_: ; @_ZN7rocprim17ROCPRIM_400000_NS6detail17trampoline_kernelINS0_14default_configENS1_35adjacent_difference_config_selectorILb0EdEEZNS1_24adjacent_difference_implIS3_Lb0ELb0EPdS7_N6thrust23THRUST_200600_302600_NS4plusIdEEEE10hipError_tPvRmT2_T3_mT4_P12ihipStream_tbEUlT_E_NS1_11comp_targetILNS1_3genE4ELNS1_11target_archE910ELNS1_3gpuE8ELNS1_3repE0EEENS1_30default_config_static_selectorELNS0_4arch9wavefront6targetE0EEEvT1_
; %bb.0:
	.section	.rodata,"a",@progbits
	.p2align	6, 0x0
	.amdhsa_kernel _ZN7rocprim17ROCPRIM_400000_NS6detail17trampoline_kernelINS0_14default_configENS1_35adjacent_difference_config_selectorILb0EdEEZNS1_24adjacent_difference_implIS3_Lb0ELb0EPdS7_N6thrust23THRUST_200600_302600_NS4plusIdEEEE10hipError_tPvRmT2_T3_mT4_P12ihipStream_tbEUlT_E_NS1_11comp_targetILNS1_3genE4ELNS1_11target_archE910ELNS1_3gpuE8ELNS1_3repE0EEENS1_30default_config_static_selectorELNS0_4arch9wavefront6targetE0EEEvT1_
		.amdhsa_group_segment_fixed_size 0
		.amdhsa_private_segment_fixed_size 0
		.amdhsa_kernarg_size 56
		.amdhsa_user_sgpr_count 15
		.amdhsa_user_sgpr_dispatch_ptr 0
		.amdhsa_user_sgpr_queue_ptr 0
		.amdhsa_user_sgpr_kernarg_segment_ptr 1
		.amdhsa_user_sgpr_dispatch_id 0
		.amdhsa_user_sgpr_private_segment_size 0
		.amdhsa_wavefront_size32 1
		.amdhsa_uses_dynamic_stack 0
		.amdhsa_enable_private_segment 0
		.amdhsa_system_sgpr_workgroup_id_x 1
		.amdhsa_system_sgpr_workgroup_id_y 0
		.amdhsa_system_sgpr_workgroup_id_z 0
		.amdhsa_system_sgpr_workgroup_info 0
		.amdhsa_system_vgpr_workitem_id 0
		.amdhsa_next_free_vgpr 1
		.amdhsa_next_free_sgpr 1
		.amdhsa_reserve_vcc 0
		.amdhsa_float_round_mode_32 0
		.amdhsa_float_round_mode_16_64 0
		.amdhsa_float_denorm_mode_32 3
		.amdhsa_float_denorm_mode_16_64 3
		.amdhsa_dx10_clamp 1
		.amdhsa_ieee_mode 1
		.amdhsa_fp16_overflow 0
		.amdhsa_workgroup_processor_mode 1
		.amdhsa_memory_ordered 1
		.amdhsa_forward_progress 0
		.amdhsa_shared_vgpr_count 0
		.amdhsa_exception_fp_ieee_invalid_op 0
		.amdhsa_exception_fp_denorm_src 0
		.amdhsa_exception_fp_ieee_div_zero 0
		.amdhsa_exception_fp_ieee_overflow 0
		.amdhsa_exception_fp_ieee_underflow 0
		.amdhsa_exception_fp_ieee_inexact 0
		.amdhsa_exception_int_div_zero 0
	.end_amdhsa_kernel
	.section	.text._ZN7rocprim17ROCPRIM_400000_NS6detail17trampoline_kernelINS0_14default_configENS1_35adjacent_difference_config_selectorILb0EdEEZNS1_24adjacent_difference_implIS3_Lb0ELb0EPdS7_N6thrust23THRUST_200600_302600_NS4plusIdEEEE10hipError_tPvRmT2_T3_mT4_P12ihipStream_tbEUlT_E_NS1_11comp_targetILNS1_3genE4ELNS1_11target_archE910ELNS1_3gpuE8ELNS1_3repE0EEENS1_30default_config_static_selectorELNS0_4arch9wavefront6targetE0EEEvT1_,"axG",@progbits,_ZN7rocprim17ROCPRIM_400000_NS6detail17trampoline_kernelINS0_14default_configENS1_35adjacent_difference_config_selectorILb0EdEEZNS1_24adjacent_difference_implIS3_Lb0ELb0EPdS7_N6thrust23THRUST_200600_302600_NS4plusIdEEEE10hipError_tPvRmT2_T3_mT4_P12ihipStream_tbEUlT_E_NS1_11comp_targetILNS1_3genE4ELNS1_11target_archE910ELNS1_3gpuE8ELNS1_3repE0EEENS1_30default_config_static_selectorELNS0_4arch9wavefront6targetE0EEEvT1_,comdat
.Lfunc_end30:
	.size	_ZN7rocprim17ROCPRIM_400000_NS6detail17trampoline_kernelINS0_14default_configENS1_35adjacent_difference_config_selectorILb0EdEEZNS1_24adjacent_difference_implIS3_Lb0ELb0EPdS7_N6thrust23THRUST_200600_302600_NS4plusIdEEEE10hipError_tPvRmT2_T3_mT4_P12ihipStream_tbEUlT_E_NS1_11comp_targetILNS1_3genE4ELNS1_11target_archE910ELNS1_3gpuE8ELNS1_3repE0EEENS1_30default_config_static_selectorELNS0_4arch9wavefront6targetE0EEEvT1_, .Lfunc_end30-_ZN7rocprim17ROCPRIM_400000_NS6detail17trampoline_kernelINS0_14default_configENS1_35adjacent_difference_config_selectorILb0EdEEZNS1_24adjacent_difference_implIS3_Lb0ELb0EPdS7_N6thrust23THRUST_200600_302600_NS4plusIdEEEE10hipError_tPvRmT2_T3_mT4_P12ihipStream_tbEUlT_E_NS1_11comp_targetILNS1_3genE4ELNS1_11target_archE910ELNS1_3gpuE8ELNS1_3repE0EEENS1_30default_config_static_selectorELNS0_4arch9wavefront6targetE0EEEvT1_
                                        ; -- End function
	.section	.AMDGPU.csdata,"",@progbits
; Kernel info:
; codeLenInByte = 0
; NumSgprs: 0
; NumVgprs: 0
; ScratchSize: 0
; MemoryBound: 0
; FloatMode: 240
; IeeeMode: 1
; LDSByteSize: 0 bytes/workgroup (compile time only)
; SGPRBlocks: 0
; VGPRBlocks: 0
; NumSGPRsForWavesPerEU: 1
; NumVGPRsForWavesPerEU: 1
; Occupancy: 16
; WaveLimiterHint : 0
; COMPUTE_PGM_RSRC2:SCRATCH_EN: 0
; COMPUTE_PGM_RSRC2:USER_SGPR: 15
; COMPUTE_PGM_RSRC2:TRAP_HANDLER: 0
; COMPUTE_PGM_RSRC2:TGID_X_EN: 1
; COMPUTE_PGM_RSRC2:TGID_Y_EN: 0
; COMPUTE_PGM_RSRC2:TGID_Z_EN: 0
; COMPUTE_PGM_RSRC2:TIDIG_COMP_CNT: 0
	.section	.text._ZN7rocprim17ROCPRIM_400000_NS6detail17trampoline_kernelINS0_14default_configENS1_35adjacent_difference_config_selectorILb0EdEEZNS1_24adjacent_difference_implIS3_Lb0ELb0EPdS7_N6thrust23THRUST_200600_302600_NS4plusIdEEEE10hipError_tPvRmT2_T3_mT4_P12ihipStream_tbEUlT_E_NS1_11comp_targetILNS1_3genE3ELNS1_11target_archE908ELNS1_3gpuE7ELNS1_3repE0EEENS1_30default_config_static_selectorELNS0_4arch9wavefront6targetE0EEEvT1_,"axG",@progbits,_ZN7rocprim17ROCPRIM_400000_NS6detail17trampoline_kernelINS0_14default_configENS1_35adjacent_difference_config_selectorILb0EdEEZNS1_24adjacent_difference_implIS3_Lb0ELb0EPdS7_N6thrust23THRUST_200600_302600_NS4plusIdEEEE10hipError_tPvRmT2_T3_mT4_P12ihipStream_tbEUlT_E_NS1_11comp_targetILNS1_3genE3ELNS1_11target_archE908ELNS1_3gpuE7ELNS1_3repE0EEENS1_30default_config_static_selectorELNS0_4arch9wavefront6targetE0EEEvT1_,comdat
	.protected	_ZN7rocprim17ROCPRIM_400000_NS6detail17trampoline_kernelINS0_14default_configENS1_35adjacent_difference_config_selectorILb0EdEEZNS1_24adjacent_difference_implIS3_Lb0ELb0EPdS7_N6thrust23THRUST_200600_302600_NS4plusIdEEEE10hipError_tPvRmT2_T3_mT4_P12ihipStream_tbEUlT_E_NS1_11comp_targetILNS1_3genE3ELNS1_11target_archE908ELNS1_3gpuE7ELNS1_3repE0EEENS1_30default_config_static_selectorELNS0_4arch9wavefront6targetE0EEEvT1_ ; -- Begin function _ZN7rocprim17ROCPRIM_400000_NS6detail17trampoline_kernelINS0_14default_configENS1_35adjacent_difference_config_selectorILb0EdEEZNS1_24adjacent_difference_implIS3_Lb0ELb0EPdS7_N6thrust23THRUST_200600_302600_NS4plusIdEEEE10hipError_tPvRmT2_T3_mT4_P12ihipStream_tbEUlT_E_NS1_11comp_targetILNS1_3genE3ELNS1_11target_archE908ELNS1_3gpuE7ELNS1_3repE0EEENS1_30default_config_static_selectorELNS0_4arch9wavefront6targetE0EEEvT1_
	.globl	_ZN7rocprim17ROCPRIM_400000_NS6detail17trampoline_kernelINS0_14default_configENS1_35adjacent_difference_config_selectorILb0EdEEZNS1_24adjacent_difference_implIS3_Lb0ELb0EPdS7_N6thrust23THRUST_200600_302600_NS4plusIdEEEE10hipError_tPvRmT2_T3_mT4_P12ihipStream_tbEUlT_E_NS1_11comp_targetILNS1_3genE3ELNS1_11target_archE908ELNS1_3gpuE7ELNS1_3repE0EEENS1_30default_config_static_selectorELNS0_4arch9wavefront6targetE0EEEvT1_
	.p2align	8
	.type	_ZN7rocprim17ROCPRIM_400000_NS6detail17trampoline_kernelINS0_14default_configENS1_35adjacent_difference_config_selectorILb0EdEEZNS1_24adjacent_difference_implIS3_Lb0ELb0EPdS7_N6thrust23THRUST_200600_302600_NS4plusIdEEEE10hipError_tPvRmT2_T3_mT4_P12ihipStream_tbEUlT_E_NS1_11comp_targetILNS1_3genE3ELNS1_11target_archE908ELNS1_3gpuE7ELNS1_3repE0EEENS1_30default_config_static_selectorELNS0_4arch9wavefront6targetE0EEEvT1_,@function
_ZN7rocprim17ROCPRIM_400000_NS6detail17trampoline_kernelINS0_14default_configENS1_35adjacent_difference_config_selectorILb0EdEEZNS1_24adjacent_difference_implIS3_Lb0ELb0EPdS7_N6thrust23THRUST_200600_302600_NS4plusIdEEEE10hipError_tPvRmT2_T3_mT4_P12ihipStream_tbEUlT_E_NS1_11comp_targetILNS1_3genE3ELNS1_11target_archE908ELNS1_3gpuE7ELNS1_3repE0EEENS1_30default_config_static_selectorELNS0_4arch9wavefront6targetE0EEEvT1_: ; @_ZN7rocprim17ROCPRIM_400000_NS6detail17trampoline_kernelINS0_14default_configENS1_35adjacent_difference_config_selectorILb0EdEEZNS1_24adjacent_difference_implIS3_Lb0ELb0EPdS7_N6thrust23THRUST_200600_302600_NS4plusIdEEEE10hipError_tPvRmT2_T3_mT4_P12ihipStream_tbEUlT_E_NS1_11comp_targetILNS1_3genE3ELNS1_11target_archE908ELNS1_3gpuE7ELNS1_3repE0EEENS1_30default_config_static_selectorELNS0_4arch9wavefront6targetE0EEEvT1_
; %bb.0:
	.section	.rodata,"a",@progbits
	.p2align	6, 0x0
	.amdhsa_kernel _ZN7rocprim17ROCPRIM_400000_NS6detail17trampoline_kernelINS0_14default_configENS1_35adjacent_difference_config_selectorILb0EdEEZNS1_24adjacent_difference_implIS3_Lb0ELb0EPdS7_N6thrust23THRUST_200600_302600_NS4plusIdEEEE10hipError_tPvRmT2_T3_mT4_P12ihipStream_tbEUlT_E_NS1_11comp_targetILNS1_3genE3ELNS1_11target_archE908ELNS1_3gpuE7ELNS1_3repE0EEENS1_30default_config_static_selectorELNS0_4arch9wavefront6targetE0EEEvT1_
		.amdhsa_group_segment_fixed_size 0
		.amdhsa_private_segment_fixed_size 0
		.amdhsa_kernarg_size 56
		.amdhsa_user_sgpr_count 15
		.amdhsa_user_sgpr_dispatch_ptr 0
		.amdhsa_user_sgpr_queue_ptr 0
		.amdhsa_user_sgpr_kernarg_segment_ptr 1
		.amdhsa_user_sgpr_dispatch_id 0
		.amdhsa_user_sgpr_private_segment_size 0
		.amdhsa_wavefront_size32 1
		.amdhsa_uses_dynamic_stack 0
		.amdhsa_enable_private_segment 0
		.amdhsa_system_sgpr_workgroup_id_x 1
		.amdhsa_system_sgpr_workgroup_id_y 0
		.amdhsa_system_sgpr_workgroup_id_z 0
		.amdhsa_system_sgpr_workgroup_info 0
		.amdhsa_system_vgpr_workitem_id 0
		.amdhsa_next_free_vgpr 1
		.amdhsa_next_free_sgpr 1
		.amdhsa_reserve_vcc 0
		.amdhsa_float_round_mode_32 0
		.amdhsa_float_round_mode_16_64 0
		.amdhsa_float_denorm_mode_32 3
		.amdhsa_float_denorm_mode_16_64 3
		.amdhsa_dx10_clamp 1
		.amdhsa_ieee_mode 1
		.amdhsa_fp16_overflow 0
		.amdhsa_workgroup_processor_mode 1
		.amdhsa_memory_ordered 1
		.amdhsa_forward_progress 0
		.amdhsa_shared_vgpr_count 0
		.amdhsa_exception_fp_ieee_invalid_op 0
		.amdhsa_exception_fp_denorm_src 0
		.amdhsa_exception_fp_ieee_div_zero 0
		.amdhsa_exception_fp_ieee_overflow 0
		.amdhsa_exception_fp_ieee_underflow 0
		.amdhsa_exception_fp_ieee_inexact 0
		.amdhsa_exception_int_div_zero 0
	.end_amdhsa_kernel
	.section	.text._ZN7rocprim17ROCPRIM_400000_NS6detail17trampoline_kernelINS0_14default_configENS1_35adjacent_difference_config_selectorILb0EdEEZNS1_24adjacent_difference_implIS3_Lb0ELb0EPdS7_N6thrust23THRUST_200600_302600_NS4plusIdEEEE10hipError_tPvRmT2_T3_mT4_P12ihipStream_tbEUlT_E_NS1_11comp_targetILNS1_3genE3ELNS1_11target_archE908ELNS1_3gpuE7ELNS1_3repE0EEENS1_30default_config_static_selectorELNS0_4arch9wavefront6targetE0EEEvT1_,"axG",@progbits,_ZN7rocprim17ROCPRIM_400000_NS6detail17trampoline_kernelINS0_14default_configENS1_35adjacent_difference_config_selectorILb0EdEEZNS1_24adjacent_difference_implIS3_Lb0ELb0EPdS7_N6thrust23THRUST_200600_302600_NS4plusIdEEEE10hipError_tPvRmT2_T3_mT4_P12ihipStream_tbEUlT_E_NS1_11comp_targetILNS1_3genE3ELNS1_11target_archE908ELNS1_3gpuE7ELNS1_3repE0EEENS1_30default_config_static_selectorELNS0_4arch9wavefront6targetE0EEEvT1_,comdat
.Lfunc_end31:
	.size	_ZN7rocprim17ROCPRIM_400000_NS6detail17trampoline_kernelINS0_14default_configENS1_35adjacent_difference_config_selectorILb0EdEEZNS1_24adjacent_difference_implIS3_Lb0ELb0EPdS7_N6thrust23THRUST_200600_302600_NS4plusIdEEEE10hipError_tPvRmT2_T3_mT4_P12ihipStream_tbEUlT_E_NS1_11comp_targetILNS1_3genE3ELNS1_11target_archE908ELNS1_3gpuE7ELNS1_3repE0EEENS1_30default_config_static_selectorELNS0_4arch9wavefront6targetE0EEEvT1_, .Lfunc_end31-_ZN7rocprim17ROCPRIM_400000_NS6detail17trampoline_kernelINS0_14default_configENS1_35adjacent_difference_config_selectorILb0EdEEZNS1_24adjacent_difference_implIS3_Lb0ELb0EPdS7_N6thrust23THRUST_200600_302600_NS4plusIdEEEE10hipError_tPvRmT2_T3_mT4_P12ihipStream_tbEUlT_E_NS1_11comp_targetILNS1_3genE3ELNS1_11target_archE908ELNS1_3gpuE7ELNS1_3repE0EEENS1_30default_config_static_selectorELNS0_4arch9wavefront6targetE0EEEvT1_
                                        ; -- End function
	.section	.AMDGPU.csdata,"",@progbits
; Kernel info:
; codeLenInByte = 0
; NumSgprs: 0
; NumVgprs: 0
; ScratchSize: 0
; MemoryBound: 0
; FloatMode: 240
; IeeeMode: 1
; LDSByteSize: 0 bytes/workgroup (compile time only)
; SGPRBlocks: 0
; VGPRBlocks: 0
; NumSGPRsForWavesPerEU: 1
; NumVGPRsForWavesPerEU: 1
; Occupancy: 16
; WaveLimiterHint : 0
; COMPUTE_PGM_RSRC2:SCRATCH_EN: 0
; COMPUTE_PGM_RSRC2:USER_SGPR: 15
; COMPUTE_PGM_RSRC2:TRAP_HANDLER: 0
; COMPUTE_PGM_RSRC2:TGID_X_EN: 1
; COMPUTE_PGM_RSRC2:TGID_Y_EN: 0
; COMPUTE_PGM_RSRC2:TGID_Z_EN: 0
; COMPUTE_PGM_RSRC2:TIDIG_COMP_CNT: 0
	.section	.text._ZN7rocprim17ROCPRIM_400000_NS6detail17trampoline_kernelINS0_14default_configENS1_35adjacent_difference_config_selectorILb0EdEEZNS1_24adjacent_difference_implIS3_Lb0ELb0EPdS7_N6thrust23THRUST_200600_302600_NS4plusIdEEEE10hipError_tPvRmT2_T3_mT4_P12ihipStream_tbEUlT_E_NS1_11comp_targetILNS1_3genE2ELNS1_11target_archE906ELNS1_3gpuE6ELNS1_3repE0EEENS1_30default_config_static_selectorELNS0_4arch9wavefront6targetE0EEEvT1_,"axG",@progbits,_ZN7rocprim17ROCPRIM_400000_NS6detail17trampoline_kernelINS0_14default_configENS1_35adjacent_difference_config_selectorILb0EdEEZNS1_24adjacent_difference_implIS3_Lb0ELb0EPdS7_N6thrust23THRUST_200600_302600_NS4plusIdEEEE10hipError_tPvRmT2_T3_mT4_P12ihipStream_tbEUlT_E_NS1_11comp_targetILNS1_3genE2ELNS1_11target_archE906ELNS1_3gpuE6ELNS1_3repE0EEENS1_30default_config_static_selectorELNS0_4arch9wavefront6targetE0EEEvT1_,comdat
	.protected	_ZN7rocprim17ROCPRIM_400000_NS6detail17trampoline_kernelINS0_14default_configENS1_35adjacent_difference_config_selectorILb0EdEEZNS1_24adjacent_difference_implIS3_Lb0ELb0EPdS7_N6thrust23THRUST_200600_302600_NS4plusIdEEEE10hipError_tPvRmT2_T3_mT4_P12ihipStream_tbEUlT_E_NS1_11comp_targetILNS1_3genE2ELNS1_11target_archE906ELNS1_3gpuE6ELNS1_3repE0EEENS1_30default_config_static_selectorELNS0_4arch9wavefront6targetE0EEEvT1_ ; -- Begin function _ZN7rocprim17ROCPRIM_400000_NS6detail17trampoline_kernelINS0_14default_configENS1_35adjacent_difference_config_selectorILb0EdEEZNS1_24adjacent_difference_implIS3_Lb0ELb0EPdS7_N6thrust23THRUST_200600_302600_NS4plusIdEEEE10hipError_tPvRmT2_T3_mT4_P12ihipStream_tbEUlT_E_NS1_11comp_targetILNS1_3genE2ELNS1_11target_archE906ELNS1_3gpuE6ELNS1_3repE0EEENS1_30default_config_static_selectorELNS0_4arch9wavefront6targetE0EEEvT1_
	.globl	_ZN7rocprim17ROCPRIM_400000_NS6detail17trampoline_kernelINS0_14default_configENS1_35adjacent_difference_config_selectorILb0EdEEZNS1_24adjacent_difference_implIS3_Lb0ELb0EPdS7_N6thrust23THRUST_200600_302600_NS4plusIdEEEE10hipError_tPvRmT2_T3_mT4_P12ihipStream_tbEUlT_E_NS1_11comp_targetILNS1_3genE2ELNS1_11target_archE906ELNS1_3gpuE6ELNS1_3repE0EEENS1_30default_config_static_selectorELNS0_4arch9wavefront6targetE0EEEvT1_
	.p2align	8
	.type	_ZN7rocprim17ROCPRIM_400000_NS6detail17trampoline_kernelINS0_14default_configENS1_35adjacent_difference_config_selectorILb0EdEEZNS1_24adjacent_difference_implIS3_Lb0ELb0EPdS7_N6thrust23THRUST_200600_302600_NS4plusIdEEEE10hipError_tPvRmT2_T3_mT4_P12ihipStream_tbEUlT_E_NS1_11comp_targetILNS1_3genE2ELNS1_11target_archE906ELNS1_3gpuE6ELNS1_3repE0EEENS1_30default_config_static_selectorELNS0_4arch9wavefront6targetE0EEEvT1_,@function
_ZN7rocprim17ROCPRIM_400000_NS6detail17trampoline_kernelINS0_14default_configENS1_35adjacent_difference_config_selectorILb0EdEEZNS1_24adjacent_difference_implIS3_Lb0ELb0EPdS7_N6thrust23THRUST_200600_302600_NS4plusIdEEEE10hipError_tPvRmT2_T3_mT4_P12ihipStream_tbEUlT_E_NS1_11comp_targetILNS1_3genE2ELNS1_11target_archE906ELNS1_3gpuE6ELNS1_3repE0EEENS1_30default_config_static_selectorELNS0_4arch9wavefront6targetE0EEEvT1_: ; @_ZN7rocprim17ROCPRIM_400000_NS6detail17trampoline_kernelINS0_14default_configENS1_35adjacent_difference_config_selectorILb0EdEEZNS1_24adjacent_difference_implIS3_Lb0ELb0EPdS7_N6thrust23THRUST_200600_302600_NS4plusIdEEEE10hipError_tPvRmT2_T3_mT4_P12ihipStream_tbEUlT_E_NS1_11comp_targetILNS1_3genE2ELNS1_11target_archE906ELNS1_3gpuE6ELNS1_3repE0EEENS1_30default_config_static_selectorELNS0_4arch9wavefront6targetE0EEEvT1_
; %bb.0:
	.section	.rodata,"a",@progbits
	.p2align	6, 0x0
	.amdhsa_kernel _ZN7rocprim17ROCPRIM_400000_NS6detail17trampoline_kernelINS0_14default_configENS1_35adjacent_difference_config_selectorILb0EdEEZNS1_24adjacent_difference_implIS3_Lb0ELb0EPdS7_N6thrust23THRUST_200600_302600_NS4plusIdEEEE10hipError_tPvRmT2_T3_mT4_P12ihipStream_tbEUlT_E_NS1_11comp_targetILNS1_3genE2ELNS1_11target_archE906ELNS1_3gpuE6ELNS1_3repE0EEENS1_30default_config_static_selectorELNS0_4arch9wavefront6targetE0EEEvT1_
		.amdhsa_group_segment_fixed_size 0
		.amdhsa_private_segment_fixed_size 0
		.amdhsa_kernarg_size 56
		.amdhsa_user_sgpr_count 15
		.amdhsa_user_sgpr_dispatch_ptr 0
		.amdhsa_user_sgpr_queue_ptr 0
		.amdhsa_user_sgpr_kernarg_segment_ptr 1
		.amdhsa_user_sgpr_dispatch_id 0
		.amdhsa_user_sgpr_private_segment_size 0
		.amdhsa_wavefront_size32 1
		.amdhsa_uses_dynamic_stack 0
		.amdhsa_enable_private_segment 0
		.amdhsa_system_sgpr_workgroup_id_x 1
		.amdhsa_system_sgpr_workgroup_id_y 0
		.amdhsa_system_sgpr_workgroup_id_z 0
		.amdhsa_system_sgpr_workgroup_info 0
		.amdhsa_system_vgpr_workitem_id 0
		.amdhsa_next_free_vgpr 1
		.amdhsa_next_free_sgpr 1
		.amdhsa_reserve_vcc 0
		.amdhsa_float_round_mode_32 0
		.amdhsa_float_round_mode_16_64 0
		.amdhsa_float_denorm_mode_32 3
		.amdhsa_float_denorm_mode_16_64 3
		.amdhsa_dx10_clamp 1
		.amdhsa_ieee_mode 1
		.amdhsa_fp16_overflow 0
		.amdhsa_workgroup_processor_mode 1
		.amdhsa_memory_ordered 1
		.amdhsa_forward_progress 0
		.amdhsa_shared_vgpr_count 0
		.amdhsa_exception_fp_ieee_invalid_op 0
		.amdhsa_exception_fp_denorm_src 0
		.amdhsa_exception_fp_ieee_div_zero 0
		.amdhsa_exception_fp_ieee_overflow 0
		.amdhsa_exception_fp_ieee_underflow 0
		.amdhsa_exception_fp_ieee_inexact 0
		.amdhsa_exception_int_div_zero 0
	.end_amdhsa_kernel
	.section	.text._ZN7rocprim17ROCPRIM_400000_NS6detail17trampoline_kernelINS0_14default_configENS1_35adjacent_difference_config_selectorILb0EdEEZNS1_24adjacent_difference_implIS3_Lb0ELb0EPdS7_N6thrust23THRUST_200600_302600_NS4plusIdEEEE10hipError_tPvRmT2_T3_mT4_P12ihipStream_tbEUlT_E_NS1_11comp_targetILNS1_3genE2ELNS1_11target_archE906ELNS1_3gpuE6ELNS1_3repE0EEENS1_30default_config_static_selectorELNS0_4arch9wavefront6targetE0EEEvT1_,"axG",@progbits,_ZN7rocprim17ROCPRIM_400000_NS6detail17trampoline_kernelINS0_14default_configENS1_35adjacent_difference_config_selectorILb0EdEEZNS1_24adjacent_difference_implIS3_Lb0ELb0EPdS7_N6thrust23THRUST_200600_302600_NS4plusIdEEEE10hipError_tPvRmT2_T3_mT4_P12ihipStream_tbEUlT_E_NS1_11comp_targetILNS1_3genE2ELNS1_11target_archE906ELNS1_3gpuE6ELNS1_3repE0EEENS1_30default_config_static_selectorELNS0_4arch9wavefront6targetE0EEEvT1_,comdat
.Lfunc_end32:
	.size	_ZN7rocprim17ROCPRIM_400000_NS6detail17trampoline_kernelINS0_14default_configENS1_35adjacent_difference_config_selectorILb0EdEEZNS1_24adjacent_difference_implIS3_Lb0ELb0EPdS7_N6thrust23THRUST_200600_302600_NS4plusIdEEEE10hipError_tPvRmT2_T3_mT4_P12ihipStream_tbEUlT_E_NS1_11comp_targetILNS1_3genE2ELNS1_11target_archE906ELNS1_3gpuE6ELNS1_3repE0EEENS1_30default_config_static_selectorELNS0_4arch9wavefront6targetE0EEEvT1_, .Lfunc_end32-_ZN7rocprim17ROCPRIM_400000_NS6detail17trampoline_kernelINS0_14default_configENS1_35adjacent_difference_config_selectorILb0EdEEZNS1_24adjacent_difference_implIS3_Lb0ELb0EPdS7_N6thrust23THRUST_200600_302600_NS4plusIdEEEE10hipError_tPvRmT2_T3_mT4_P12ihipStream_tbEUlT_E_NS1_11comp_targetILNS1_3genE2ELNS1_11target_archE906ELNS1_3gpuE6ELNS1_3repE0EEENS1_30default_config_static_selectorELNS0_4arch9wavefront6targetE0EEEvT1_
                                        ; -- End function
	.section	.AMDGPU.csdata,"",@progbits
; Kernel info:
; codeLenInByte = 0
; NumSgprs: 0
; NumVgprs: 0
; ScratchSize: 0
; MemoryBound: 0
; FloatMode: 240
; IeeeMode: 1
; LDSByteSize: 0 bytes/workgroup (compile time only)
; SGPRBlocks: 0
; VGPRBlocks: 0
; NumSGPRsForWavesPerEU: 1
; NumVGPRsForWavesPerEU: 1
; Occupancy: 16
; WaveLimiterHint : 0
; COMPUTE_PGM_RSRC2:SCRATCH_EN: 0
; COMPUTE_PGM_RSRC2:USER_SGPR: 15
; COMPUTE_PGM_RSRC2:TRAP_HANDLER: 0
; COMPUTE_PGM_RSRC2:TGID_X_EN: 1
; COMPUTE_PGM_RSRC2:TGID_Y_EN: 0
; COMPUTE_PGM_RSRC2:TGID_Z_EN: 0
; COMPUTE_PGM_RSRC2:TIDIG_COMP_CNT: 0
	.section	.text._ZN7rocprim17ROCPRIM_400000_NS6detail17trampoline_kernelINS0_14default_configENS1_35adjacent_difference_config_selectorILb0EdEEZNS1_24adjacent_difference_implIS3_Lb0ELb0EPdS7_N6thrust23THRUST_200600_302600_NS4plusIdEEEE10hipError_tPvRmT2_T3_mT4_P12ihipStream_tbEUlT_E_NS1_11comp_targetILNS1_3genE9ELNS1_11target_archE1100ELNS1_3gpuE3ELNS1_3repE0EEENS1_30default_config_static_selectorELNS0_4arch9wavefront6targetE0EEEvT1_,"axG",@progbits,_ZN7rocprim17ROCPRIM_400000_NS6detail17trampoline_kernelINS0_14default_configENS1_35adjacent_difference_config_selectorILb0EdEEZNS1_24adjacent_difference_implIS3_Lb0ELb0EPdS7_N6thrust23THRUST_200600_302600_NS4plusIdEEEE10hipError_tPvRmT2_T3_mT4_P12ihipStream_tbEUlT_E_NS1_11comp_targetILNS1_3genE9ELNS1_11target_archE1100ELNS1_3gpuE3ELNS1_3repE0EEENS1_30default_config_static_selectorELNS0_4arch9wavefront6targetE0EEEvT1_,comdat
	.protected	_ZN7rocprim17ROCPRIM_400000_NS6detail17trampoline_kernelINS0_14default_configENS1_35adjacent_difference_config_selectorILb0EdEEZNS1_24adjacent_difference_implIS3_Lb0ELb0EPdS7_N6thrust23THRUST_200600_302600_NS4plusIdEEEE10hipError_tPvRmT2_T3_mT4_P12ihipStream_tbEUlT_E_NS1_11comp_targetILNS1_3genE9ELNS1_11target_archE1100ELNS1_3gpuE3ELNS1_3repE0EEENS1_30default_config_static_selectorELNS0_4arch9wavefront6targetE0EEEvT1_ ; -- Begin function _ZN7rocprim17ROCPRIM_400000_NS6detail17trampoline_kernelINS0_14default_configENS1_35adjacent_difference_config_selectorILb0EdEEZNS1_24adjacent_difference_implIS3_Lb0ELb0EPdS7_N6thrust23THRUST_200600_302600_NS4plusIdEEEE10hipError_tPvRmT2_T3_mT4_P12ihipStream_tbEUlT_E_NS1_11comp_targetILNS1_3genE9ELNS1_11target_archE1100ELNS1_3gpuE3ELNS1_3repE0EEENS1_30default_config_static_selectorELNS0_4arch9wavefront6targetE0EEEvT1_
	.globl	_ZN7rocprim17ROCPRIM_400000_NS6detail17trampoline_kernelINS0_14default_configENS1_35adjacent_difference_config_selectorILb0EdEEZNS1_24adjacent_difference_implIS3_Lb0ELb0EPdS7_N6thrust23THRUST_200600_302600_NS4plusIdEEEE10hipError_tPvRmT2_T3_mT4_P12ihipStream_tbEUlT_E_NS1_11comp_targetILNS1_3genE9ELNS1_11target_archE1100ELNS1_3gpuE3ELNS1_3repE0EEENS1_30default_config_static_selectorELNS0_4arch9wavefront6targetE0EEEvT1_
	.p2align	8
	.type	_ZN7rocprim17ROCPRIM_400000_NS6detail17trampoline_kernelINS0_14default_configENS1_35adjacent_difference_config_selectorILb0EdEEZNS1_24adjacent_difference_implIS3_Lb0ELb0EPdS7_N6thrust23THRUST_200600_302600_NS4plusIdEEEE10hipError_tPvRmT2_T3_mT4_P12ihipStream_tbEUlT_E_NS1_11comp_targetILNS1_3genE9ELNS1_11target_archE1100ELNS1_3gpuE3ELNS1_3repE0EEENS1_30default_config_static_selectorELNS0_4arch9wavefront6targetE0EEEvT1_,@function
_ZN7rocprim17ROCPRIM_400000_NS6detail17trampoline_kernelINS0_14default_configENS1_35adjacent_difference_config_selectorILb0EdEEZNS1_24adjacent_difference_implIS3_Lb0ELb0EPdS7_N6thrust23THRUST_200600_302600_NS4plusIdEEEE10hipError_tPvRmT2_T3_mT4_P12ihipStream_tbEUlT_E_NS1_11comp_targetILNS1_3genE9ELNS1_11target_archE1100ELNS1_3gpuE3ELNS1_3repE0EEENS1_30default_config_static_selectorELNS0_4arch9wavefront6targetE0EEEvT1_: ; @_ZN7rocprim17ROCPRIM_400000_NS6detail17trampoline_kernelINS0_14default_configENS1_35adjacent_difference_config_selectorILb0EdEEZNS1_24adjacent_difference_implIS3_Lb0ELb0EPdS7_N6thrust23THRUST_200600_302600_NS4plusIdEEEE10hipError_tPvRmT2_T3_mT4_P12ihipStream_tbEUlT_E_NS1_11comp_targetILNS1_3genE9ELNS1_11target_archE1100ELNS1_3gpuE3ELNS1_3repE0EEENS1_30default_config_static_selectorELNS0_4arch9wavefront6targetE0EEEvT1_
; %bb.0:
	s_load_b256 s[4:11], s[0:1], 0x0
	s_mov_b32 s3, 0
	s_load_b64 s[0:1], s[0:1], 0x30
	s_mov_b32 s13, s3
	s_waitcnt lgkmcnt(0)
	s_lshl_b64 s[6:7], s[6:7], 3
	s_delay_alu instid0(SALU_CYCLE_1)
	s_add_u32 s16, s4, s6
	s_addc_u32 s17, s5, s7
	s_and_b32 s12, s10, 0x7ff
	s_lshl_b32 s2, s15, 11
	s_lshr_b64 s[4:5], s[10:11], 11
	s_cmp_lg_u64 s[12:13], 0
	s_cselect_b32 s11, -1, 0
	s_delay_alu instid0(SALU_CYCLE_1) | instskip(NEXT) | instid1(VALU_DEP_1)
	v_cndmask_b32_e64 v1, 0, 1, s11
	v_readfirstlane_b32 s11, v1
	s_delay_alu instid0(VALU_DEP_1)
	s_add_u32 s12, s4, s11
	s_addc_u32 s13, s5, 0
	s_add_u32 s0, s0, s15
	s_addc_u32 s1, s1, 0
	s_add_u32 s4, s12, -1
	s_addc_u32 s5, s13, -1
	s_delay_alu instid0(SALU_CYCLE_1) | instskip(NEXT) | instid1(VALU_DEP_1)
	v_cmp_ge_u64_e64 s11, s[0:1], s[4:5]
	s_and_b32 vcc_lo, exec_lo, s11
	s_cbranch_vccz .LBB33_6
; %bb.1:
	s_lshl_b32 s14, s4, 11
                                        ; implicit-def: $vgpr1_vgpr2_vgpr3_vgpr4
	s_delay_alu instid0(SALU_CYCLE_1)
	s_sub_i32 s18, s10, s14
	s_lshl_b64 s[14:15], s[2:3], 3
	s_mov_b32 s3, exec_lo
	s_add_u32 s14, s16, s14
	s_addc_u32 s15, s17, s15
	v_cmpx_gt_u32_e64 s18, v0
	s_cbranch_execz .LBB33_3
; %bb.2:
	v_lshlrev_b32_e32 v1, 3, v0
	global_load_b64 v[1:2], v1, s[14:15]
.LBB33_3:
	s_or_b32 exec_lo, exec_lo, s3
	v_or_b32_e32 v5, 0x400, v0
	s_mov_b32 s3, exec_lo
	s_delay_alu instid0(VALU_DEP_1)
	v_cmpx_gt_u32_e64 s18, v5
	s_cbranch_execz .LBB33_5
; %bb.4:
	v_lshlrev_b32_e32 v3, 3, v5
	global_load_b64 v[3:4], v3, s[14:15]
.LBB33_5:
	s_or_b32 exec_lo, exec_lo, s3
	v_lshrrev_b32_e32 v6, 2, v0
	v_lshrrev_b32_e32 v5, 2, v5
	v_lshlrev_b32_e32 v7, 3, v0
	s_delay_alu instid0(VALU_DEP_3) | instskip(NEXT) | instid1(VALU_DEP_3)
	v_and_b32_e32 v6, 0xf8, v6
	v_and_b32_e32 v5, 0x1f8, v5
	s_delay_alu instid0(VALU_DEP_2) | instskip(NEXT) | instid1(VALU_DEP_2)
	v_add_nc_u32_e32 v6, v6, v7
	v_add_nc_u32_e32 v5, v5, v7
	s_waitcnt vmcnt(0)
	ds_store_b64 v6, v[1:2]
	ds_store_b64 v5, v[3:4] offset:8192
	s_waitcnt lgkmcnt(0)
	s_barrier
	v_lshlrev_b32_e32 v11, 3, v0
	v_or_b32_e32 v12, 0x400, v0
	s_branch .LBB33_8
.LBB33_6:
	v_lshlrev_b32_e32 v11, 3, v0
	v_or_b32_e32 v12, 0x400, v0
	s_cbranch_execz .LBB33_8
; %bb.7:
	s_mov_b32 s3, 0
	v_lshrrev_b32_e32 v5, 2, v0
	s_lshl_b64 s[14:15], s[2:3], 3
	v_lshrrev_b32_e32 v6, 2, v12
	s_add_u32 s14, s16, s14
	s_addc_u32 s15, s17, s15
	v_add_co_u32 v1, s3, s14, v11
	s_delay_alu instid0(VALU_DEP_1) | instskip(SKIP_1) | instid1(VALU_DEP_3)
	v_add_co_ci_u32_e64 v2, null, s15, 0, s3
	v_and_b32_e32 v5, 0xf8, v5
	v_add_co_u32 v1, vcc_lo, 0x2000, v1
	s_delay_alu instid0(VALU_DEP_3) | instskip(SKIP_1) | instid1(VALU_DEP_4)
	v_add_co_ci_u32_e32 v2, vcc_lo, 0, v2, vcc_lo
	v_and_b32_e32 v6, 0x1f8, v6
	v_add_nc_u32_e32 v5, v5, v11
	s_clause 0x1
	global_load_b64 v[3:4], v11, s[14:15]
	global_load_b64 v[1:2], v[1:2], off
	v_add_nc_u32_e32 v6, v6, v11
	s_waitcnt vmcnt(1)
	ds_store_b64 v5, v[3:4]
	s_waitcnt vmcnt(0)
	ds_store_b64 v6, v[1:2] offset:8192
	s_waitcnt lgkmcnt(0)
	s_barrier
.LBB33_8:
	v_lshlrev_b32_e32 v1, 1, v0
	v_lshrrev_b32_e32 v2, 4, v0
	buffer_gl0_inv
	s_cmp_eq_u64 s[0:1], 0
	v_add_lshl_u32 v1, v2, v1, 3
	ds_load_2addr_b64 v[1:4], v1 offset1:1
	s_waitcnt lgkmcnt(0)
	s_barrier
	buffer_gl0_inv
	s_cbranch_scc1 .LBB33_13
; %bb.9:
	s_mov_b32 s3, 0
	s_delay_alu instid0(SALU_CYCLE_1) | instskip(NEXT) | instid1(SALU_CYCLE_1)
	s_lshl_b64 s[14:15], s[2:3], 3
	s_add_u32 s3, s16, s14
	s_addc_u32 s15, s17, s15
	s_add_u32 s14, s3, -8
	s_addc_u32 s15, s15, -1
	s_cmp_eq_u64 s[0:1], s[4:5]
	s_load_b64 s[14:15], s[14:15], 0x0
	s_cbranch_scc1 .LBB33_14
; %bb.10:
	s_waitcnt lgkmcnt(0)
	v_dual_mov_b32 v5, s14 :: v_dual_mov_b32 v6, s15
	s_mov_b32 s1, exec_lo
	ds_store_b64 v11, v[3:4]
	s_waitcnt lgkmcnt(0)
	s_barrier
	buffer_gl0_inv
	v_cmpx_ne_u32_e32 0, v0
	s_cbranch_execz .LBB33_12
; %bb.11:
	v_add_nc_u32_e32 v5, -8, v11
	ds_load_b64 v[5:6], v5
.LBB33_12:
	s_or_b32 exec_lo, exec_lo, s1
	v_add_f64 v[9:10], v[1:2], v[3:4]
	s_waitcnt lgkmcnt(0)
	v_add_f64 v[5:6], v[1:2], v[5:6]
	s_branch .LBB33_18
.LBB33_13:
                                        ; implicit-def: $vgpr9_vgpr10
                                        ; implicit-def: $vgpr5_vgpr6_vgpr7_vgpr8
	s_branch .LBB33_19
.LBB33_14:
                                        ; implicit-def: $vgpr9_vgpr10
                                        ; implicit-def: $vgpr5_vgpr6_vgpr7_vgpr8
	s_cbranch_execz .LBB33_18
; %bb.15:
	s_waitcnt lgkmcnt(0)
	v_dual_mov_b32 v5, s14 :: v_dual_mov_b32 v6, s15
	s_mov_b32 s1, exec_lo
	ds_store_b64 v11, v[3:4]
	s_waitcnt lgkmcnt(0)
	s_barrier
	buffer_gl0_inv
	v_cmpx_ne_u32_e32 0, v0
	s_cbranch_execz .LBB33_17
; %bb.16:
	v_add_nc_u32_e32 v5, -8, v11
	ds_load_b64 v[5:6], v5
.LBB33_17:
	s_or_b32 exec_lo, exec_lo, s1
	v_add_f64 v[7:8], v[1:2], v[3:4]
	s_waitcnt lgkmcnt(0)
	v_add_f64 v[5:6], v[1:2], v[5:6]
	v_lshlrev_b32_e32 v9, 1, v0
	s_lshl_b32 s0, s0, 11
	s_delay_alu instid0(SALU_CYCLE_1) | instskip(NEXT) | instid1(VALU_DEP_1)
	s_sub_i32 s0, s10, s0
	v_or_b32_e32 v10, 1, v9
	s_delay_alu instid0(VALU_DEP_1) | instskip(SKIP_2) | instid1(VALU_DEP_2)
	v_cmp_gt_u32_e32 vcc_lo, s0, v10
	v_cmp_gt_u32_e64 s0, s0, v9
	v_dual_cndmask_b32 v10, v4, v8 :: v_dual_cndmask_b32 v9, v3, v7
	v_cndmask_b32_e64 v6, v2, v6, s0
	v_cndmask_b32_e64 v5, v1, v5, s0
.LBB33_18:
	s_cbranch_execnz .LBB33_27
.LBB33_19:
	v_add_f64 v[9:10], v[1:2], v[3:4]
	v_cmp_ne_u32_e32 vcc_lo, 0, v0
	s_cmp_eq_u64 s[12:13], 1
	s_cbranch_scc1 .LBB33_23
; %bb.20:
	v_dual_mov_b32 v6, v2 :: v_dual_mov_b32 v5, v1
	s_mov_b32 s0, 0
	ds_store_b64 v11, v[3:4]
	s_waitcnt lgkmcnt(0)
	s_barrier
	buffer_gl0_inv
	s_and_saveexec_b32 s1, vcc_lo
	s_cbranch_execz .LBB33_22
; %bb.21:
	v_add_nc_u32_e32 v5, -8, v11
	ds_load_b64 v[5:6], v5
	s_waitcnt lgkmcnt(0)
	v_add_f64 v[5:6], v[1:2], v[5:6]
.LBB33_22:
	s_or_b32 exec_lo, exec_lo, s1
	s_delay_alu instid0(SALU_CYCLE_1)
	s_and_not1_b32 vcc_lo, exec_lo, s0
	s_cbranch_vccz .LBB33_24
	s_branch .LBB33_27
.LBB33_23:
                                        ; implicit-def: $vgpr5_vgpr6_vgpr7_vgpr8
.LBB33_24:
	v_lshlrev_b32_e32 v5, 1, v0
	v_cmp_ne_u32_e64 s0, 0, v0
	ds_store_b64 v11, v[3:4]
	s_waitcnt lgkmcnt(0)
	s_barrier
	v_or_b32_e32 v6, 1, v5
	buffer_gl0_inv
	v_cmp_gt_u32_e32 vcc_lo, s10, v6
	v_cndmask_b32_e32 v10, v4, v10, vcc_lo
	v_cmp_gt_u32_e64 s1, s10, v5
	v_cndmask_b32_e32 v9, v3, v9, vcc_lo
	s_delay_alu instid0(VALU_DEP_2) | instskip(NEXT) | instid1(SALU_CYCLE_1)
	s_and_b32 s1, s0, s1
	s_and_saveexec_b32 s0, s1
	s_cbranch_execz .LBB33_26
; %bb.25:
	v_add_nc_u32_e32 v3, -8, v11
	ds_load_b64 v[3:4], v3
	s_waitcnt lgkmcnt(0)
	v_add_f64 v[1:2], v[1:2], v[3:4]
.LBB33_26:
	s_or_b32 exec_lo, exec_lo, s0
	s_delay_alu instid0(VALU_DEP_1)
	v_dual_mov_b32 v6, v2 :: v_dual_mov_b32 v5, v1
.LBB33_27:
	v_lshrrev_b32_e32 v7, 1, v0
	s_add_u32 s0, s8, s6
	s_addc_u32 s1, s9, s7
	s_and_b32 vcc_lo, exec_lo, s11
	s_waitcnt lgkmcnt(0)
	s_barrier
	buffer_gl0_inv
	s_cbranch_vccz .LBB33_31
; %bb.28:
	v_and_b32_e32 v1, 0x1f8, v7
	v_lshrrev_b32_e32 v2, 5, v12
	s_mov_b32 s3, 0
	s_lshl_b32 s4, s4, 11
	s_lshl_b64 s[6:7], s[2:3], 3
	v_lshl_add_u32 v1, v0, 4, v1
	v_add_lshl_u32 v2, v2, v0, 3
	s_sub_i32 s4, s10, s4
	s_add_u32 s5, s0, s6
	s_addc_u32 s6, s1, s7
	ds_store_2addr_b64 v1, v[5:6], v[9:10] offset1:1
	s_waitcnt lgkmcnt(0)
	s_barrier
	buffer_gl0_inv
	ds_load_b64 v[1:2], v2 offset:8192
	v_add_co_u32 v3, s5, s5, v11
	s_delay_alu instid0(VALU_DEP_1)
	v_add_co_ci_u32_e64 v4, null, s6, 0, s5
	s_mov_b32 s5, exec_lo
	v_cmpx_gt_u32_e64 s4, v0
	s_cbranch_execz .LBB33_30
; %bb.29:
	v_lshrrev_b32_e32 v8, 5, v0
	s_delay_alu instid0(VALU_DEP_1)
	v_add_lshl_u32 v8, v8, v0, 3
	ds_load_b64 v[13:14], v8
	s_waitcnt lgkmcnt(0)
	global_store_b64 v[3:4], v[13:14], off
.LBB33_30:
	s_or_b32 exec_lo, exec_lo, s5
	v_cmp_gt_u32_e64 s4, s4, v12
	s_and_b32 vcc_lo, exec_lo, s3
	s_cbranch_vccnz .LBB33_32
	s_branch .LBB33_33
.LBB33_31:
	s_mov_b32 s4, 0
                                        ; implicit-def: $vgpr1_vgpr2
                                        ; implicit-def: $vgpr3_vgpr4
	s_cbranch_execz .LBB33_33
.LBB33_32:
	s_waitcnt lgkmcnt(0)
	v_and_b32_e32 v1, 0x1f8, v7
	v_lshrrev_b32_e32 v2, 5, v0
	v_lshrrev_b32_e32 v3, 5, v12
	s_mov_b32 s3, 0
	s_delay_alu instid0(SALU_CYCLE_1)
	s_lshl_b64 s[2:3], s[2:3], 3
	v_lshl_add_u32 v1, v0, 4, v1
	v_add_lshl_u32 v2, v2, v0, 3
	v_add_lshl_u32 v0, v3, v0, 3
	s_add_u32 s0, s0, s2
	s_addc_u32 s1, s1, s3
	ds_store_2addr_b64 v1, v[5:6], v[9:10] offset1:1
	s_waitcnt lgkmcnt(0)
	s_waitcnt_vscnt null, 0x0
	s_barrier
	buffer_gl0_inv
	ds_load_b64 v[5:6], v2
	ds_load_b64 v[1:2], v0 offset:8192
	v_add_co_u32 v3, s2, s0, v11
	s_delay_alu instid0(VALU_DEP_1)
	v_add_co_ci_u32_e64 v4, null, s1, 0, s2
	s_or_b32 s4, s4, exec_lo
	s_waitcnt lgkmcnt(1)
	global_store_b64 v11, v[5:6], s[0:1]
.LBB33_33:
	s_delay_alu instid0(VALU_DEP_1)
	s_and_saveexec_b32 s0, s4
	s_cbranch_execnz .LBB33_35
; %bb.34:
	s_nop 0
	s_sendmsg sendmsg(MSG_DEALLOC_VGPRS)
	s_endpgm
.LBB33_35:
	v_add_co_u32 v3, vcc_lo, 0x2000, v3
	v_add_co_ci_u32_e32 v4, vcc_lo, 0, v4, vcc_lo
	s_waitcnt lgkmcnt(0)
	global_store_b64 v[3:4], v[1:2], off
	s_nop 0
	s_sendmsg sendmsg(MSG_DEALLOC_VGPRS)
	s_endpgm
	.section	.rodata,"a",@progbits
	.p2align	6, 0x0
	.amdhsa_kernel _ZN7rocprim17ROCPRIM_400000_NS6detail17trampoline_kernelINS0_14default_configENS1_35adjacent_difference_config_selectorILb0EdEEZNS1_24adjacent_difference_implIS3_Lb0ELb0EPdS7_N6thrust23THRUST_200600_302600_NS4plusIdEEEE10hipError_tPvRmT2_T3_mT4_P12ihipStream_tbEUlT_E_NS1_11comp_targetILNS1_3genE9ELNS1_11target_archE1100ELNS1_3gpuE3ELNS1_3repE0EEENS1_30default_config_static_selectorELNS0_4arch9wavefront6targetE0EEEvT1_
		.amdhsa_group_segment_fixed_size 16896
		.amdhsa_private_segment_fixed_size 0
		.amdhsa_kernarg_size 56
		.amdhsa_user_sgpr_count 15
		.amdhsa_user_sgpr_dispatch_ptr 0
		.amdhsa_user_sgpr_queue_ptr 0
		.amdhsa_user_sgpr_kernarg_segment_ptr 1
		.amdhsa_user_sgpr_dispatch_id 0
		.amdhsa_user_sgpr_private_segment_size 0
		.amdhsa_wavefront_size32 1
		.amdhsa_uses_dynamic_stack 0
		.amdhsa_enable_private_segment 0
		.amdhsa_system_sgpr_workgroup_id_x 1
		.amdhsa_system_sgpr_workgroup_id_y 0
		.amdhsa_system_sgpr_workgroup_id_z 0
		.amdhsa_system_sgpr_workgroup_info 0
		.amdhsa_system_vgpr_workitem_id 0
		.amdhsa_next_free_vgpr 15
		.amdhsa_next_free_sgpr 19
		.amdhsa_reserve_vcc 1
		.amdhsa_float_round_mode_32 0
		.amdhsa_float_round_mode_16_64 0
		.amdhsa_float_denorm_mode_32 3
		.amdhsa_float_denorm_mode_16_64 3
		.amdhsa_dx10_clamp 1
		.amdhsa_ieee_mode 1
		.amdhsa_fp16_overflow 0
		.amdhsa_workgroup_processor_mode 1
		.amdhsa_memory_ordered 1
		.amdhsa_forward_progress 0
		.amdhsa_shared_vgpr_count 0
		.amdhsa_exception_fp_ieee_invalid_op 0
		.amdhsa_exception_fp_denorm_src 0
		.amdhsa_exception_fp_ieee_div_zero 0
		.amdhsa_exception_fp_ieee_overflow 0
		.amdhsa_exception_fp_ieee_underflow 0
		.amdhsa_exception_fp_ieee_inexact 0
		.amdhsa_exception_int_div_zero 0
	.end_amdhsa_kernel
	.section	.text._ZN7rocprim17ROCPRIM_400000_NS6detail17trampoline_kernelINS0_14default_configENS1_35adjacent_difference_config_selectorILb0EdEEZNS1_24adjacent_difference_implIS3_Lb0ELb0EPdS7_N6thrust23THRUST_200600_302600_NS4plusIdEEEE10hipError_tPvRmT2_T3_mT4_P12ihipStream_tbEUlT_E_NS1_11comp_targetILNS1_3genE9ELNS1_11target_archE1100ELNS1_3gpuE3ELNS1_3repE0EEENS1_30default_config_static_selectorELNS0_4arch9wavefront6targetE0EEEvT1_,"axG",@progbits,_ZN7rocprim17ROCPRIM_400000_NS6detail17trampoline_kernelINS0_14default_configENS1_35adjacent_difference_config_selectorILb0EdEEZNS1_24adjacent_difference_implIS3_Lb0ELb0EPdS7_N6thrust23THRUST_200600_302600_NS4plusIdEEEE10hipError_tPvRmT2_T3_mT4_P12ihipStream_tbEUlT_E_NS1_11comp_targetILNS1_3genE9ELNS1_11target_archE1100ELNS1_3gpuE3ELNS1_3repE0EEENS1_30default_config_static_selectorELNS0_4arch9wavefront6targetE0EEEvT1_,comdat
.Lfunc_end33:
	.size	_ZN7rocprim17ROCPRIM_400000_NS6detail17trampoline_kernelINS0_14default_configENS1_35adjacent_difference_config_selectorILb0EdEEZNS1_24adjacent_difference_implIS3_Lb0ELb0EPdS7_N6thrust23THRUST_200600_302600_NS4plusIdEEEE10hipError_tPvRmT2_T3_mT4_P12ihipStream_tbEUlT_E_NS1_11comp_targetILNS1_3genE9ELNS1_11target_archE1100ELNS1_3gpuE3ELNS1_3repE0EEENS1_30default_config_static_selectorELNS0_4arch9wavefront6targetE0EEEvT1_, .Lfunc_end33-_ZN7rocprim17ROCPRIM_400000_NS6detail17trampoline_kernelINS0_14default_configENS1_35adjacent_difference_config_selectorILb0EdEEZNS1_24adjacent_difference_implIS3_Lb0ELb0EPdS7_N6thrust23THRUST_200600_302600_NS4plusIdEEEE10hipError_tPvRmT2_T3_mT4_P12ihipStream_tbEUlT_E_NS1_11comp_targetILNS1_3genE9ELNS1_11target_archE1100ELNS1_3gpuE3ELNS1_3repE0EEENS1_30default_config_static_selectorELNS0_4arch9wavefront6targetE0EEEvT1_
                                        ; -- End function
	.section	.AMDGPU.csdata,"",@progbits
; Kernel info:
; codeLenInByte = 1476
; NumSgprs: 21
; NumVgprs: 15
; ScratchSize: 0
; MemoryBound: 0
; FloatMode: 240
; IeeeMode: 1
; LDSByteSize: 16896 bytes/workgroup (compile time only)
; SGPRBlocks: 2
; VGPRBlocks: 1
; NumSGPRsForWavesPerEU: 21
; NumVGPRsForWavesPerEU: 15
; Occupancy: 16
; WaveLimiterHint : 1
; COMPUTE_PGM_RSRC2:SCRATCH_EN: 0
; COMPUTE_PGM_RSRC2:USER_SGPR: 15
; COMPUTE_PGM_RSRC2:TRAP_HANDLER: 0
; COMPUTE_PGM_RSRC2:TGID_X_EN: 1
; COMPUTE_PGM_RSRC2:TGID_Y_EN: 0
; COMPUTE_PGM_RSRC2:TGID_Z_EN: 0
; COMPUTE_PGM_RSRC2:TIDIG_COMP_CNT: 0
	.section	.text._ZN7rocprim17ROCPRIM_400000_NS6detail17trampoline_kernelINS0_14default_configENS1_35adjacent_difference_config_selectorILb0EdEEZNS1_24adjacent_difference_implIS3_Lb0ELb0EPdS7_N6thrust23THRUST_200600_302600_NS4plusIdEEEE10hipError_tPvRmT2_T3_mT4_P12ihipStream_tbEUlT_E_NS1_11comp_targetILNS1_3genE8ELNS1_11target_archE1030ELNS1_3gpuE2ELNS1_3repE0EEENS1_30default_config_static_selectorELNS0_4arch9wavefront6targetE0EEEvT1_,"axG",@progbits,_ZN7rocprim17ROCPRIM_400000_NS6detail17trampoline_kernelINS0_14default_configENS1_35adjacent_difference_config_selectorILb0EdEEZNS1_24adjacent_difference_implIS3_Lb0ELb0EPdS7_N6thrust23THRUST_200600_302600_NS4plusIdEEEE10hipError_tPvRmT2_T3_mT4_P12ihipStream_tbEUlT_E_NS1_11comp_targetILNS1_3genE8ELNS1_11target_archE1030ELNS1_3gpuE2ELNS1_3repE0EEENS1_30default_config_static_selectorELNS0_4arch9wavefront6targetE0EEEvT1_,comdat
	.protected	_ZN7rocprim17ROCPRIM_400000_NS6detail17trampoline_kernelINS0_14default_configENS1_35adjacent_difference_config_selectorILb0EdEEZNS1_24adjacent_difference_implIS3_Lb0ELb0EPdS7_N6thrust23THRUST_200600_302600_NS4plusIdEEEE10hipError_tPvRmT2_T3_mT4_P12ihipStream_tbEUlT_E_NS1_11comp_targetILNS1_3genE8ELNS1_11target_archE1030ELNS1_3gpuE2ELNS1_3repE0EEENS1_30default_config_static_selectorELNS0_4arch9wavefront6targetE0EEEvT1_ ; -- Begin function _ZN7rocprim17ROCPRIM_400000_NS6detail17trampoline_kernelINS0_14default_configENS1_35adjacent_difference_config_selectorILb0EdEEZNS1_24adjacent_difference_implIS3_Lb0ELb0EPdS7_N6thrust23THRUST_200600_302600_NS4plusIdEEEE10hipError_tPvRmT2_T3_mT4_P12ihipStream_tbEUlT_E_NS1_11comp_targetILNS1_3genE8ELNS1_11target_archE1030ELNS1_3gpuE2ELNS1_3repE0EEENS1_30default_config_static_selectorELNS0_4arch9wavefront6targetE0EEEvT1_
	.globl	_ZN7rocprim17ROCPRIM_400000_NS6detail17trampoline_kernelINS0_14default_configENS1_35adjacent_difference_config_selectorILb0EdEEZNS1_24adjacent_difference_implIS3_Lb0ELb0EPdS7_N6thrust23THRUST_200600_302600_NS4plusIdEEEE10hipError_tPvRmT2_T3_mT4_P12ihipStream_tbEUlT_E_NS1_11comp_targetILNS1_3genE8ELNS1_11target_archE1030ELNS1_3gpuE2ELNS1_3repE0EEENS1_30default_config_static_selectorELNS0_4arch9wavefront6targetE0EEEvT1_
	.p2align	8
	.type	_ZN7rocprim17ROCPRIM_400000_NS6detail17trampoline_kernelINS0_14default_configENS1_35adjacent_difference_config_selectorILb0EdEEZNS1_24adjacent_difference_implIS3_Lb0ELb0EPdS7_N6thrust23THRUST_200600_302600_NS4plusIdEEEE10hipError_tPvRmT2_T3_mT4_P12ihipStream_tbEUlT_E_NS1_11comp_targetILNS1_3genE8ELNS1_11target_archE1030ELNS1_3gpuE2ELNS1_3repE0EEENS1_30default_config_static_selectorELNS0_4arch9wavefront6targetE0EEEvT1_,@function
_ZN7rocprim17ROCPRIM_400000_NS6detail17trampoline_kernelINS0_14default_configENS1_35adjacent_difference_config_selectorILb0EdEEZNS1_24adjacent_difference_implIS3_Lb0ELb0EPdS7_N6thrust23THRUST_200600_302600_NS4plusIdEEEE10hipError_tPvRmT2_T3_mT4_P12ihipStream_tbEUlT_E_NS1_11comp_targetILNS1_3genE8ELNS1_11target_archE1030ELNS1_3gpuE2ELNS1_3repE0EEENS1_30default_config_static_selectorELNS0_4arch9wavefront6targetE0EEEvT1_: ; @_ZN7rocprim17ROCPRIM_400000_NS6detail17trampoline_kernelINS0_14default_configENS1_35adjacent_difference_config_selectorILb0EdEEZNS1_24adjacent_difference_implIS3_Lb0ELb0EPdS7_N6thrust23THRUST_200600_302600_NS4plusIdEEEE10hipError_tPvRmT2_T3_mT4_P12ihipStream_tbEUlT_E_NS1_11comp_targetILNS1_3genE8ELNS1_11target_archE1030ELNS1_3gpuE2ELNS1_3repE0EEENS1_30default_config_static_selectorELNS0_4arch9wavefront6targetE0EEEvT1_
; %bb.0:
	.section	.rodata,"a",@progbits
	.p2align	6, 0x0
	.amdhsa_kernel _ZN7rocprim17ROCPRIM_400000_NS6detail17trampoline_kernelINS0_14default_configENS1_35adjacent_difference_config_selectorILb0EdEEZNS1_24adjacent_difference_implIS3_Lb0ELb0EPdS7_N6thrust23THRUST_200600_302600_NS4plusIdEEEE10hipError_tPvRmT2_T3_mT4_P12ihipStream_tbEUlT_E_NS1_11comp_targetILNS1_3genE8ELNS1_11target_archE1030ELNS1_3gpuE2ELNS1_3repE0EEENS1_30default_config_static_selectorELNS0_4arch9wavefront6targetE0EEEvT1_
		.amdhsa_group_segment_fixed_size 0
		.amdhsa_private_segment_fixed_size 0
		.amdhsa_kernarg_size 56
		.amdhsa_user_sgpr_count 15
		.amdhsa_user_sgpr_dispatch_ptr 0
		.amdhsa_user_sgpr_queue_ptr 0
		.amdhsa_user_sgpr_kernarg_segment_ptr 1
		.amdhsa_user_sgpr_dispatch_id 0
		.amdhsa_user_sgpr_private_segment_size 0
		.amdhsa_wavefront_size32 1
		.amdhsa_uses_dynamic_stack 0
		.amdhsa_enable_private_segment 0
		.amdhsa_system_sgpr_workgroup_id_x 1
		.amdhsa_system_sgpr_workgroup_id_y 0
		.amdhsa_system_sgpr_workgroup_id_z 0
		.amdhsa_system_sgpr_workgroup_info 0
		.amdhsa_system_vgpr_workitem_id 0
		.amdhsa_next_free_vgpr 1
		.amdhsa_next_free_sgpr 1
		.amdhsa_reserve_vcc 0
		.amdhsa_float_round_mode_32 0
		.amdhsa_float_round_mode_16_64 0
		.amdhsa_float_denorm_mode_32 3
		.amdhsa_float_denorm_mode_16_64 3
		.amdhsa_dx10_clamp 1
		.amdhsa_ieee_mode 1
		.amdhsa_fp16_overflow 0
		.amdhsa_workgroup_processor_mode 1
		.amdhsa_memory_ordered 1
		.amdhsa_forward_progress 0
		.amdhsa_shared_vgpr_count 0
		.amdhsa_exception_fp_ieee_invalid_op 0
		.amdhsa_exception_fp_denorm_src 0
		.amdhsa_exception_fp_ieee_div_zero 0
		.amdhsa_exception_fp_ieee_overflow 0
		.amdhsa_exception_fp_ieee_underflow 0
		.amdhsa_exception_fp_ieee_inexact 0
		.amdhsa_exception_int_div_zero 0
	.end_amdhsa_kernel
	.section	.text._ZN7rocprim17ROCPRIM_400000_NS6detail17trampoline_kernelINS0_14default_configENS1_35adjacent_difference_config_selectorILb0EdEEZNS1_24adjacent_difference_implIS3_Lb0ELb0EPdS7_N6thrust23THRUST_200600_302600_NS4plusIdEEEE10hipError_tPvRmT2_T3_mT4_P12ihipStream_tbEUlT_E_NS1_11comp_targetILNS1_3genE8ELNS1_11target_archE1030ELNS1_3gpuE2ELNS1_3repE0EEENS1_30default_config_static_selectorELNS0_4arch9wavefront6targetE0EEEvT1_,"axG",@progbits,_ZN7rocprim17ROCPRIM_400000_NS6detail17trampoline_kernelINS0_14default_configENS1_35adjacent_difference_config_selectorILb0EdEEZNS1_24adjacent_difference_implIS3_Lb0ELb0EPdS7_N6thrust23THRUST_200600_302600_NS4plusIdEEEE10hipError_tPvRmT2_T3_mT4_P12ihipStream_tbEUlT_E_NS1_11comp_targetILNS1_3genE8ELNS1_11target_archE1030ELNS1_3gpuE2ELNS1_3repE0EEENS1_30default_config_static_selectorELNS0_4arch9wavefront6targetE0EEEvT1_,comdat
.Lfunc_end34:
	.size	_ZN7rocprim17ROCPRIM_400000_NS6detail17trampoline_kernelINS0_14default_configENS1_35adjacent_difference_config_selectorILb0EdEEZNS1_24adjacent_difference_implIS3_Lb0ELb0EPdS7_N6thrust23THRUST_200600_302600_NS4plusIdEEEE10hipError_tPvRmT2_T3_mT4_P12ihipStream_tbEUlT_E_NS1_11comp_targetILNS1_3genE8ELNS1_11target_archE1030ELNS1_3gpuE2ELNS1_3repE0EEENS1_30default_config_static_selectorELNS0_4arch9wavefront6targetE0EEEvT1_, .Lfunc_end34-_ZN7rocprim17ROCPRIM_400000_NS6detail17trampoline_kernelINS0_14default_configENS1_35adjacent_difference_config_selectorILb0EdEEZNS1_24adjacent_difference_implIS3_Lb0ELb0EPdS7_N6thrust23THRUST_200600_302600_NS4plusIdEEEE10hipError_tPvRmT2_T3_mT4_P12ihipStream_tbEUlT_E_NS1_11comp_targetILNS1_3genE8ELNS1_11target_archE1030ELNS1_3gpuE2ELNS1_3repE0EEENS1_30default_config_static_selectorELNS0_4arch9wavefront6targetE0EEEvT1_
                                        ; -- End function
	.section	.AMDGPU.csdata,"",@progbits
; Kernel info:
; codeLenInByte = 0
; NumSgprs: 0
; NumVgprs: 0
; ScratchSize: 0
; MemoryBound: 0
; FloatMode: 240
; IeeeMode: 1
; LDSByteSize: 0 bytes/workgroup (compile time only)
; SGPRBlocks: 0
; VGPRBlocks: 0
; NumSGPRsForWavesPerEU: 1
; NumVGPRsForWavesPerEU: 1
; Occupancy: 16
; WaveLimiterHint : 0
; COMPUTE_PGM_RSRC2:SCRATCH_EN: 0
; COMPUTE_PGM_RSRC2:USER_SGPR: 15
; COMPUTE_PGM_RSRC2:TRAP_HANDLER: 0
; COMPUTE_PGM_RSRC2:TGID_X_EN: 1
; COMPUTE_PGM_RSRC2:TGID_Y_EN: 0
; COMPUTE_PGM_RSRC2:TGID_Z_EN: 0
; COMPUTE_PGM_RSRC2:TIDIG_COMP_CNT: 0
	.section	.text._ZN7rocprim17ROCPRIM_400000_NS6detail17trampoline_kernelINS0_14default_configENS1_25transform_config_selectorIdLb0EEEZNS1_14transform_implILb0ES3_S5_NS0_18transform_iteratorINS0_17counting_iteratorImlEEZNS1_24adjacent_difference_implIS3_Lb1ELb0EPdSB_N6thrust23THRUST_200600_302600_NS4plusIdEEEE10hipError_tPvRmT2_T3_mT4_P12ihipStream_tbEUlmE_dEESB_NS0_8identityIvEEEESG_SJ_SK_mSL_SN_bEUlT_E_NS1_11comp_targetILNS1_3genE0ELNS1_11target_archE4294967295ELNS1_3gpuE0ELNS1_3repE0EEENS1_30default_config_static_selectorELNS0_4arch9wavefront6targetE0EEEvT1_,"axG",@progbits,_ZN7rocprim17ROCPRIM_400000_NS6detail17trampoline_kernelINS0_14default_configENS1_25transform_config_selectorIdLb0EEEZNS1_14transform_implILb0ES3_S5_NS0_18transform_iteratorINS0_17counting_iteratorImlEEZNS1_24adjacent_difference_implIS3_Lb1ELb0EPdSB_N6thrust23THRUST_200600_302600_NS4plusIdEEEE10hipError_tPvRmT2_T3_mT4_P12ihipStream_tbEUlmE_dEESB_NS0_8identityIvEEEESG_SJ_SK_mSL_SN_bEUlT_E_NS1_11comp_targetILNS1_3genE0ELNS1_11target_archE4294967295ELNS1_3gpuE0ELNS1_3repE0EEENS1_30default_config_static_selectorELNS0_4arch9wavefront6targetE0EEEvT1_,comdat
	.protected	_ZN7rocprim17ROCPRIM_400000_NS6detail17trampoline_kernelINS0_14default_configENS1_25transform_config_selectorIdLb0EEEZNS1_14transform_implILb0ES3_S5_NS0_18transform_iteratorINS0_17counting_iteratorImlEEZNS1_24adjacent_difference_implIS3_Lb1ELb0EPdSB_N6thrust23THRUST_200600_302600_NS4plusIdEEEE10hipError_tPvRmT2_T3_mT4_P12ihipStream_tbEUlmE_dEESB_NS0_8identityIvEEEESG_SJ_SK_mSL_SN_bEUlT_E_NS1_11comp_targetILNS1_3genE0ELNS1_11target_archE4294967295ELNS1_3gpuE0ELNS1_3repE0EEENS1_30default_config_static_selectorELNS0_4arch9wavefront6targetE0EEEvT1_ ; -- Begin function _ZN7rocprim17ROCPRIM_400000_NS6detail17trampoline_kernelINS0_14default_configENS1_25transform_config_selectorIdLb0EEEZNS1_14transform_implILb0ES3_S5_NS0_18transform_iteratorINS0_17counting_iteratorImlEEZNS1_24adjacent_difference_implIS3_Lb1ELb0EPdSB_N6thrust23THRUST_200600_302600_NS4plusIdEEEE10hipError_tPvRmT2_T3_mT4_P12ihipStream_tbEUlmE_dEESB_NS0_8identityIvEEEESG_SJ_SK_mSL_SN_bEUlT_E_NS1_11comp_targetILNS1_3genE0ELNS1_11target_archE4294967295ELNS1_3gpuE0ELNS1_3repE0EEENS1_30default_config_static_selectorELNS0_4arch9wavefront6targetE0EEEvT1_
	.globl	_ZN7rocprim17ROCPRIM_400000_NS6detail17trampoline_kernelINS0_14default_configENS1_25transform_config_selectorIdLb0EEEZNS1_14transform_implILb0ES3_S5_NS0_18transform_iteratorINS0_17counting_iteratorImlEEZNS1_24adjacent_difference_implIS3_Lb1ELb0EPdSB_N6thrust23THRUST_200600_302600_NS4plusIdEEEE10hipError_tPvRmT2_T3_mT4_P12ihipStream_tbEUlmE_dEESB_NS0_8identityIvEEEESG_SJ_SK_mSL_SN_bEUlT_E_NS1_11comp_targetILNS1_3genE0ELNS1_11target_archE4294967295ELNS1_3gpuE0ELNS1_3repE0EEENS1_30default_config_static_selectorELNS0_4arch9wavefront6targetE0EEEvT1_
	.p2align	8
	.type	_ZN7rocprim17ROCPRIM_400000_NS6detail17trampoline_kernelINS0_14default_configENS1_25transform_config_selectorIdLb0EEEZNS1_14transform_implILb0ES3_S5_NS0_18transform_iteratorINS0_17counting_iteratorImlEEZNS1_24adjacent_difference_implIS3_Lb1ELb0EPdSB_N6thrust23THRUST_200600_302600_NS4plusIdEEEE10hipError_tPvRmT2_T3_mT4_P12ihipStream_tbEUlmE_dEESB_NS0_8identityIvEEEESG_SJ_SK_mSL_SN_bEUlT_E_NS1_11comp_targetILNS1_3genE0ELNS1_11target_archE4294967295ELNS1_3gpuE0ELNS1_3repE0EEENS1_30default_config_static_selectorELNS0_4arch9wavefront6targetE0EEEvT1_,@function
_ZN7rocprim17ROCPRIM_400000_NS6detail17trampoline_kernelINS0_14default_configENS1_25transform_config_selectorIdLb0EEEZNS1_14transform_implILb0ES3_S5_NS0_18transform_iteratorINS0_17counting_iteratorImlEEZNS1_24adjacent_difference_implIS3_Lb1ELb0EPdSB_N6thrust23THRUST_200600_302600_NS4plusIdEEEE10hipError_tPvRmT2_T3_mT4_P12ihipStream_tbEUlmE_dEESB_NS0_8identityIvEEEESG_SJ_SK_mSL_SN_bEUlT_E_NS1_11comp_targetILNS1_3genE0ELNS1_11target_archE4294967295ELNS1_3gpuE0ELNS1_3repE0EEENS1_30default_config_static_selectorELNS0_4arch9wavefront6targetE0EEEvT1_: ; @_ZN7rocprim17ROCPRIM_400000_NS6detail17trampoline_kernelINS0_14default_configENS1_25transform_config_selectorIdLb0EEEZNS1_14transform_implILb0ES3_S5_NS0_18transform_iteratorINS0_17counting_iteratorImlEEZNS1_24adjacent_difference_implIS3_Lb1ELb0EPdSB_N6thrust23THRUST_200600_302600_NS4plusIdEEEE10hipError_tPvRmT2_T3_mT4_P12ihipStream_tbEUlmE_dEESB_NS0_8identityIvEEEESG_SJ_SK_mSL_SN_bEUlT_E_NS1_11comp_targetILNS1_3genE0ELNS1_11target_archE4294967295ELNS1_3gpuE0ELNS1_3repE0EEENS1_30default_config_static_selectorELNS0_4arch9wavefront6targetE0EEEvT1_
; %bb.0:
	.section	.rodata,"a",@progbits
	.p2align	6, 0x0
	.amdhsa_kernel _ZN7rocprim17ROCPRIM_400000_NS6detail17trampoline_kernelINS0_14default_configENS1_25transform_config_selectorIdLb0EEEZNS1_14transform_implILb0ES3_S5_NS0_18transform_iteratorINS0_17counting_iteratorImlEEZNS1_24adjacent_difference_implIS3_Lb1ELb0EPdSB_N6thrust23THRUST_200600_302600_NS4plusIdEEEE10hipError_tPvRmT2_T3_mT4_P12ihipStream_tbEUlmE_dEESB_NS0_8identityIvEEEESG_SJ_SK_mSL_SN_bEUlT_E_NS1_11comp_targetILNS1_3genE0ELNS1_11target_archE4294967295ELNS1_3gpuE0ELNS1_3repE0EEENS1_30default_config_static_selectorELNS0_4arch9wavefront6targetE0EEEvT1_
		.amdhsa_group_segment_fixed_size 0
		.amdhsa_private_segment_fixed_size 0
		.amdhsa_kernarg_size 56
		.amdhsa_user_sgpr_count 15
		.amdhsa_user_sgpr_dispatch_ptr 0
		.amdhsa_user_sgpr_queue_ptr 0
		.amdhsa_user_sgpr_kernarg_segment_ptr 1
		.amdhsa_user_sgpr_dispatch_id 0
		.amdhsa_user_sgpr_private_segment_size 0
		.amdhsa_wavefront_size32 1
		.amdhsa_uses_dynamic_stack 0
		.amdhsa_enable_private_segment 0
		.amdhsa_system_sgpr_workgroup_id_x 1
		.amdhsa_system_sgpr_workgroup_id_y 0
		.amdhsa_system_sgpr_workgroup_id_z 0
		.amdhsa_system_sgpr_workgroup_info 0
		.amdhsa_system_vgpr_workitem_id 0
		.amdhsa_next_free_vgpr 1
		.amdhsa_next_free_sgpr 1
		.amdhsa_reserve_vcc 0
		.amdhsa_float_round_mode_32 0
		.amdhsa_float_round_mode_16_64 0
		.amdhsa_float_denorm_mode_32 3
		.amdhsa_float_denorm_mode_16_64 3
		.amdhsa_dx10_clamp 1
		.amdhsa_ieee_mode 1
		.amdhsa_fp16_overflow 0
		.amdhsa_workgroup_processor_mode 1
		.amdhsa_memory_ordered 1
		.amdhsa_forward_progress 0
		.amdhsa_shared_vgpr_count 0
		.amdhsa_exception_fp_ieee_invalid_op 0
		.amdhsa_exception_fp_denorm_src 0
		.amdhsa_exception_fp_ieee_div_zero 0
		.amdhsa_exception_fp_ieee_overflow 0
		.amdhsa_exception_fp_ieee_underflow 0
		.amdhsa_exception_fp_ieee_inexact 0
		.amdhsa_exception_int_div_zero 0
	.end_amdhsa_kernel
	.section	.text._ZN7rocprim17ROCPRIM_400000_NS6detail17trampoline_kernelINS0_14default_configENS1_25transform_config_selectorIdLb0EEEZNS1_14transform_implILb0ES3_S5_NS0_18transform_iteratorINS0_17counting_iteratorImlEEZNS1_24adjacent_difference_implIS3_Lb1ELb0EPdSB_N6thrust23THRUST_200600_302600_NS4plusIdEEEE10hipError_tPvRmT2_T3_mT4_P12ihipStream_tbEUlmE_dEESB_NS0_8identityIvEEEESG_SJ_SK_mSL_SN_bEUlT_E_NS1_11comp_targetILNS1_3genE0ELNS1_11target_archE4294967295ELNS1_3gpuE0ELNS1_3repE0EEENS1_30default_config_static_selectorELNS0_4arch9wavefront6targetE0EEEvT1_,"axG",@progbits,_ZN7rocprim17ROCPRIM_400000_NS6detail17trampoline_kernelINS0_14default_configENS1_25transform_config_selectorIdLb0EEEZNS1_14transform_implILb0ES3_S5_NS0_18transform_iteratorINS0_17counting_iteratorImlEEZNS1_24adjacent_difference_implIS3_Lb1ELb0EPdSB_N6thrust23THRUST_200600_302600_NS4plusIdEEEE10hipError_tPvRmT2_T3_mT4_P12ihipStream_tbEUlmE_dEESB_NS0_8identityIvEEEESG_SJ_SK_mSL_SN_bEUlT_E_NS1_11comp_targetILNS1_3genE0ELNS1_11target_archE4294967295ELNS1_3gpuE0ELNS1_3repE0EEENS1_30default_config_static_selectorELNS0_4arch9wavefront6targetE0EEEvT1_,comdat
.Lfunc_end35:
	.size	_ZN7rocprim17ROCPRIM_400000_NS6detail17trampoline_kernelINS0_14default_configENS1_25transform_config_selectorIdLb0EEEZNS1_14transform_implILb0ES3_S5_NS0_18transform_iteratorINS0_17counting_iteratorImlEEZNS1_24adjacent_difference_implIS3_Lb1ELb0EPdSB_N6thrust23THRUST_200600_302600_NS4plusIdEEEE10hipError_tPvRmT2_T3_mT4_P12ihipStream_tbEUlmE_dEESB_NS0_8identityIvEEEESG_SJ_SK_mSL_SN_bEUlT_E_NS1_11comp_targetILNS1_3genE0ELNS1_11target_archE4294967295ELNS1_3gpuE0ELNS1_3repE0EEENS1_30default_config_static_selectorELNS0_4arch9wavefront6targetE0EEEvT1_, .Lfunc_end35-_ZN7rocprim17ROCPRIM_400000_NS6detail17trampoline_kernelINS0_14default_configENS1_25transform_config_selectorIdLb0EEEZNS1_14transform_implILb0ES3_S5_NS0_18transform_iteratorINS0_17counting_iteratorImlEEZNS1_24adjacent_difference_implIS3_Lb1ELb0EPdSB_N6thrust23THRUST_200600_302600_NS4plusIdEEEE10hipError_tPvRmT2_T3_mT4_P12ihipStream_tbEUlmE_dEESB_NS0_8identityIvEEEESG_SJ_SK_mSL_SN_bEUlT_E_NS1_11comp_targetILNS1_3genE0ELNS1_11target_archE4294967295ELNS1_3gpuE0ELNS1_3repE0EEENS1_30default_config_static_selectorELNS0_4arch9wavefront6targetE0EEEvT1_
                                        ; -- End function
	.section	.AMDGPU.csdata,"",@progbits
; Kernel info:
; codeLenInByte = 0
; NumSgprs: 0
; NumVgprs: 0
; ScratchSize: 0
; MemoryBound: 0
; FloatMode: 240
; IeeeMode: 1
; LDSByteSize: 0 bytes/workgroup (compile time only)
; SGPRBlocks: 0
; VGPRBlocks: 0
; NumSGPRsForWavesPerEU: 1
; NumVGPRsForWavesPerEU: 1
; Occupancy: 16
; WaveLimiterHint : 0
; COMPUTE_PGM_RSRC2:SCRATCH_EN: 0
; COMPUTE_PGM_RSRC2:USER_SGPR: 15
; COMPUTE_PGM_RSRC2:TRAP_HANDLER: 0
; COMPUTE_PGM_RSRC2:TGID_X_EN: 1
; COMPUTE_PGM_RSRC2:TGID_Y_EN: 0
; COMPUTE_PGM_RSRC2:TGID_Z_EN: 0
; COMPUTE_PGM_RSRC2:TIDIG_COMP_CNT: 0
	.section	.text._ZN7rocprim17ROCPRIM_400000_NS6detail17trampoline_kernelINS0_14default_configENS1_25transform_config_selectorIdLb0EEEZNS1_14transform_implILb0ES3_S5_NS0_18transform_iteratorINS0_17counting_iteratorImlEEZNS1_24adjacent_difference_implIS3_Lb1ELb0EPdSB_N6thrust23THRUST_200600_302600_NS4plusIdEEEE10hipError_tPvRmT2_T3_mT4_P12ihipStream_tbEUlmE_dEESB_NS0_8identityIvEEEESG_SJ_SK_mSL_SN_bEUlT_E_NS1_11comp_targetILNS1_3genE5ELNS1_11target_archE942ELNS1_3gpuE9ELNS1_3repE0EEENS1_30default_config_static_selectorELNS0_4arch9wavefront6targetE0EEEvT1_,"axG",@progbits,_ZN7rocprim17ROCPRIM_400000_NS6detail17trampoline_kernelINS0_14default_configENS1_25transform_config_selectorIdLb0EEEZNS1_14transform_implILb0ES3_S5_NS0_18transform_iteratorINS0_17counting_iteratorImlEEZNS1_24adjacent_difference_implIS3_Lb1ELb0EPdSB_N6thrust23THRUST_200600_302600_NS4plusIdEEEE10hipError_tPvRmT2_T3_mT4_P12ihipStream_tbEUlmE_dEESB_NS0_8identityIvEEEESG_SJ_SK_mSL_SN_bEUlT_E_NS1_11comp_targetILNS1_3genE5ELNS1_11target_archE942ELNS1_3gpuE9ELNS1_3repE0EEENS1_30default_config_static_selectorELNS0_4arch9wavefront6targetE0EEEvT1_,comdat
	.protected	_ZN7rocprim17ROCPRIM_400000_NS6detail17trampoline_kernelINS0_14default_configENS1_25transform_config_selectorIdLb0EEEZNS1_14transform_implILb0ES3_S5_NS0_18transform_iteratorINS0_17counting_iteratorImlEEZNS1_24adjacent_difference_implIS3_Lb1ELb0EPdSB_N6thrust23THRUST_200600_302600_NS4plusIdEEEE10hipError_tPvRmT2_T3_mT4_P12ihipStream_tbEUlmE_dEESB_NS0_8identityIvEEEESG_SJ_SK_mSL_SN_bEUlT_E_NS1_11comp_targetILNS1_3genE5ELNS1_11target_archE942ELNS1_3gpuE9ELNS1_3repE0EEENS1_30default_config_static_selectorELNS0_4arch9wavefront6targetE0EEEvT1_ ; -- Begin function _ZN7rocprim17ROCPRIM_400000_NS6detail17trampoline_kernelINS0_14default_configENS1_25transform_config_selectorIdLb0EEEZNS1_14transform_implILb0ES3_S5_NS0_18transform_iteratorINS0_17counting_iteratorImlEEZNS1_24adjacent_difference_implIS3_Lb1ELb0EPdSB_N6thrust23THRUST_200600_302600_NS4plusIdEEEE10hipError_tPvRmT2_T3_mT4_P12ihipStream_tbEUlmE_dEESB_NS0_8identityIvEEEESG_SJ_SK_mSL_SN_bEUlT_E_NS1_11comp_targetILNS1_3genE5ELNS1_11target_archE942ELNS1_3gpuE9ELNS1_3repE0EEENS1_30default_config_static_selectorELNS0_4arch9wavefront6targetE0EEEvT1_
	.globl	_ZN7rocprim17ROCPRIM_400000_NS6detail17trampoline_kernelINS0_14default_configENS1_25transform_config_selectorIdLb0EEEZNS1_14transform_implILb0ES3_S5_NS0_18transform_iteratorINS0_17counting_iteratorImlEEZNS1_24adjacent_difference_implIS3_Lb1ELb0EPdSB_N6thrust23THRUST_200600_302600_NS4plusIdEEEE10hipError_tPvRmT2_T3_mT4_P12ihipStream_tbEUlmE_dEESB_NS0_8identityIvEEEESG_SJ_SK_mSL_SN_bEUlT_E_NS1_11comp_targetILNS1_3genE5ELNS1_11target_archE942ELNS1_3gpuE9ELNS1_3repE0EEENS1_30default_config_static_selectorELNS0_4arch9wavefront6targetE0EEEvT1_
	.p2align	8
	.type	_ZN7rocprim17ROCPRIM_400000_NS6detail17trampoline_kernelINS0_14default_configENS1_25transform_config_selectorIdLb0EEEZNS1_14transform_implILb0ES3_S5_NS0_18transform_iteratorINS0_17counting_iteratorImlEEZNS1_24adjacent_difference_implIS3_Lb1ELb0EPdSB_N6thrust23THRUST_200600_302600_NS4plusIdEEEE10hipError_tPvRmT2_T3_mT4_P12ihipStream_tbEUlmE_dEESB_NS0_8identityIvEEEESG_SJ_SK_mSL_SN_bEUlT_E_NS1_11comp_targetILNS1_3genE5ELNS1_11target_archE942ELNS1_3gpuE9ELNS1_3repE0EEENS1_30default_config_static_selectorELNS0_4arch9wavefront6targetE0EEEvT1_,@function
_ZN7rocprim17ROCPRIM_400000_NS6detail17trampoline_kernelINS0_14default_configENS1_25transform_config_selectorIdLb0EEEZNS1_14transform_implILb0ES3_S5_NS0_18transform_iteratorINS0_17counting_iteratorImlEEZNS1_24adjacent_difference_implIS3_Lb1ELb0EPdSB_N6thrust23THRUST_200600_302600_NS4plusIdEEEE10hipError_tPvRmT2_T3_mT4_P12ihipStream_tbEUlmE_dEESB_NS0_8identityIvEEEESG_SJ_SK_mSL_SN_bEUlT_E_NS1_11comp_targetILNS1_3genE5ELNS1_11target_archE942ELNS1_3gpuE9ELNS1_3repE0EEENS1_30default_config_static_selectorELNS0_4arch9wavefront6targetE0EEEvT1_: ; @_ZN7rocprim17ROCPRIM_400000_NS6detail17trampoline_kernelINS0_14default_configENS1_25transform_config_selectorIdLb0EEEZNS1_14transform_implILb0ES3_S5_NS0_18transform_iteratorINS0_17counting_iteratorImlEEZNS1_24adjacent_difference_implIS3_Lb1ELb0EPdSB_N6thrust23THRUST_200600_302600_NS4plusIdEEEE10hipError_tPvRmT2_T3_mT4_P12ihipStream_tbEUlmE_dEESB_NS0_8identityIvEEEESG_SJ_SK_mSL_SN_bEUlT_E_NS1_11comp_targetILNS1_3genE5ELNS1_11target_archE942ELNS1_3gpuE9ELNS1_3repE0EEENS1_30default_config_static_selectorELNS0_4arch9wavefront6targetE0EEEvT1_
; %bb.0:
	.section	.rodata,"a",@progbits
	.p2align	6, 0x0
	.amdhsa_kernel _ZN7rocprim17ROCPRIM_400000_NS6detail17trampoline_kernelINS0_14default_configENS1_25transform_config_selectorIdLb0EEEZNS1_14transform_implILb0ES3_S5_NS0_18transform_iteratorINS0_17counting_iteratorImlEEZNS1_24adjacent_difference_implIS3_Lb1ELb0EPdSB_N6thrust23THRUST_200600_302600_NS4plusIdEEEE10hipError_tPvRmT2_T3_mT4_P12ihipStream_tbEUlmE_dEESB_NS0_8identityIvEEEESG_SJ_SK_mSL_SN_bEUlT_E_NS1_11comp_targetILNS1_3genE5ELNS1_11target_archE942ELNS1_3gpuE9ELNS1_3repE0EEENS1_30default_config_static_selectorELNS0_4arch9wavefront6targetE0EEEvT1_
		.amdhsa_group_segment_fixed_size 0
		.amdhsa_private_segment_fixed_size 0
		.amdhsa_kernarg_size 56
		.amdhsa_user_sgpr_count 15
		.amdhsa_user_sgpr_dispatch_ptr 0
		.amdhsa_user_sgpr_queue_ptr 0
		.amdhsa_user_sgpr_kernarg_segment_ptr 1
		.amdhsa_user_sgpr_dispatch_id 0
		.amdhsa_user_sgpr_private_segment_size 0
		.amdhsa_wavefront_size32 1
		.amdhsa_uses_dynamic_stack 0
		.amdhsa_enable_private_segment 0
		.amdhsa_system_sgpr_workgroup_id_x 1
		.amdhsa_system_sgpr_workgroup_id_y 0
		.amdhsa_system_sgpr_workgroup_id_z 0
		.amdhsa_system_sgpr_workgroup_info 0
		.amdhsa_system_vgpr_workitem_id 0
		.amdhsa_next_free_vgpr 1
		.amdhsa_next_free_sgpr 1
		.amdhsa_reserve_vcc 0
		.amdhsa_float_round_mode_32 0
		.amdhsa_float_round_mode_16_64 0
		.amdhsa_float_denorm_mode_32 3
		.amdhsa_float_denorm_mode_16_64 3
		.amdhsa_dx10_clamp 1
		.amdhsa_ieee_mode 1
		.amdhsa_fp16_overflow 0
		.amdhsa_workgroup_processor_mode 1
		.amdhsa_memory_ordered 1
		.amdhsa_forward_progress 0
		.amdhsa_shared_vgpr_count 0
		.amdhsa_exception_fp_ieee_invalid_op 0
		.amdhsa_exception_fp_denorm_src 0
		.amdhsa_exception_fp_ieee_div_zero 0
		.amdhsa_exception_fp_ieee_overflow 0
		.amdhsa_exception_fp_ieee_underflow 0
		.amdhsa_exception_fp_ieee_inexact 0
		.amdhsa_exception_int_div_zero 0
	.end_amdhsa_kernel
	.section	.text._ZN7rocprim17ROCPRIM_400000_NS6detail17trampoline_kernelINS0_14default_configENS1_25transform_config_selectorIdLb0EEEZNS1_14transform_implILb0ES3_S5_NS0_18transform_iteratorINS0_17counting_iteratorImlEEZNS1_24adjacent_difference_implIS3_Lb1ELb0EPdSB_N6thrust23THRUST_200600_302600_NS4plusIdEEEE10hipError_tPvRmT2_T3_mT4_P12ihipStream_tbEUlmE_dEESB_NS0_8identityIvEEEESG_SJ_SK_mSL_SN_bEUlT_E_NS1_11comp_targetILNS1_3genE5ELNS1_11target_archE942ELNS1_3gpuE9ELNS1_3repE0EEENS1_30default_config_static_selectorELNS0_4arch9wavefront6targetE0EEEvT1_,"axG",@progbits,_ZN7rocprim17ROCPRIM_400000_NS6detail17trampoline_kernelINS0_14default_configENS1_25transform_config_selectorIdLb0EEEZNS1_14transform_implILb0ES3_S5_NS0_18transform_iteratorINS0_17counting_iteratorImlEEZNS1_24adjacent_difference_implIS3_Lb1ELb0EPdSB_N6thrust23THRUST_200600_302600_NS4plusIdEEEE10hipError_tPvRmT2_T3_mT4_P12ihipStream_tbEUlmE_dEESB_NS0_8identityIvEEEESG_SJ_SK_mSL_SN_bEUlT_E_NS1_11comp_targetILNS1_3genE5ELNS1_11target_archE942ELNS1_3gpuE9ELNS1_3repE0EEENS1_30default_config_static_selectorELNS0_4arch9wavefront6targetE0EEEvT1_,comdat
.Lfunc_end36:
	.size	_ZN7rocprim17ROCPRIM_400000_NS6detail17trampoline_kernelINS0_14default_configENS1_25transform_config_selectorIdLb0EEEZNS1_14transform_implILb0ES3_S5_NS0_18transform_iteratorINS0_17counting_iteratorImlEEZNS1_24adjacent_difference_implIS3_Lb1ELb0EPdSB_N6thrust23THRUST_200600_302600_NS4plusIdEEEE10hipError_tPvRmT2_T3_mT4_P12ihipStream_tbEUlmE_dEESB_NS0_8identityIvEEEESG_SJ_SK_mSL_SN_bEUlT_E_NS1_11comp_targetILNS1_3genE5ELNS1_11target_archE942ELNS1_3gpuE9ELNS1_3repE0EEENS1_30default_config_static_selectorELNS0_4arch9wavefront6targetE0EEEvT1_, .Lfunc_end36-_ZN7rocprim17ROCPRIM_400000_NS6detail17trampoline_kernelINS0_14default_configENS1_25transform_config_selectorIdLb0EEEZNS1_14transform_implILb0ES3_S5_NS0_18transform_iteratorINS0_17counting_iteratorImlEEZNS1_24adjacent_difference_implIS3_Lb1ELb0EPdSB_N6thrust23THRUST_200600_302600_NS4plusIdEEEE10hipError_tPvRmT2_T3_mT4_P12ihipStream_tbEUlmE_dEESB_NS0_8identityIvEEEESG_SJ_SK_mSL_SN_bEUlT_E_NS1_11comp_targetILNS1_3genE5ELNS1_11target_archE942ELNS1_3gpuE9ELNS1_3repE0EEENS1_30default_config_static_selectorELNS0_4arch9wavefront6targetE0EEEvT1_
                                        ; -- End function
	.section	.AMDGPU.csdata,"",@progbits
; Kernel info:
; codeLenInByte = 0
; NumSgprs: 0
; NumVgprs: 0
; ScratchSize: 0
; MemoryBound: 0
; FloatMode: 240
; IeeeMode: 1
; LDSByteSize: 0 bytes/workgroup (compile time only)
; SGPRBlocks: 0
; VGPRBlocks: 0
; NumSGPRsForWavesPerEU: 1
; NumVGPRsForWavesPerEU: 1
; Occupancy: 16
; WaveLimiterHint : 0
; COMPUTE_PGM_RSRC2:SCRATCH_EN: 0
; COMPUTE_PGM_RSRC2:USER_SGPR: 15
; COMPUTE_PGM_RSRC2:TRAP_HANDLER: 0
; COMPUTE_PGM_RSRC2:TGID_X_EN: 1
; COMPUTE_PGM_RSRC2:TGID_Y_EN: 0
; COMPUTE_PGM_RSRC2:TGID_Z_EN: 0
; COMPUTE_PGM_RSRC2:TIDIG_COMP_CNT: 0
	.section	.text._ZN7rocprim17ROCPRIM_400000_NS6detail17trampoline_kernelINS0_14default_configENS1_25transform_config_selectorIdLb0EEEZNS1_14transform_implILb0ES3_S5_NS0_18transform_iteratorINS0_17counting_iteratorImlEEZNS1_24adjacent_difference_implIS3_Lb1ELb0EPdSB_N6thrust23THRUST_200600_302600_NS4plusIdEEEE10hipError_tPvRmT2_T3_mT4_P12ihipStream_tbEUlmE_dEESB_NS0_8identityIvEEEESG_SJ_SK_mSL_SN_bEUlT_E_NS1_11comp_targetILNS1_3genE4ELNS1_11target_archE910ELNS1_3gpuE8ELNS1_3repE0EEENS1_30default_config_static_selectorELNS0_4arch9wavefront6targetE0EEEvT1_,"axG",@progbits,_ZN7rocprim17ROCPRIM_400000_NS6detail17trampoline_kernelINS0_14default_configENS1_25transform_config_selectorIdLb0EEEZNS1_14transform_implILb0ES3_S5_NS0_18transform_iteratorINS0_17counting_iteratorImlEEZNS1_24adjacent_difference_implIS3_Lb1ELb0EPdSB_N6thrust23THRUST_200600_302600_NS4plusIdEEEE10hipError_tPvRmT2_T3_mT4_P12ihipStream_tbEUlmE_dEESB_NS0_8identityIvEEEESG_SJ_SK_mSL_SN_bEUlT_E_NS1_11comp_targetILNS1_3genE4ELNS1_11target_archE910ELNS1_3gpuE8ELNS1_3repE0EEENS1_30default_config_static_selectorELNS0_4arch9wavefront6targetE0EEEvT1_,comdat
	.protected	_ZN7rocprim17ROCPRIM_400000_NS6detail17trampoline_kernelINS0_14default_configENS1_25transform_config_selectorIdLb0EEEZNS1_14transform_implILb0ES3_S5_NS0_18transform_iteratorINS0_17counting_iteratorImlEEZNS1_24adjacent_difference_implIS3_Lb1ELb0EPdSB_N6thrust23THRUST_200600_302600_NS4plusIdEEEE10hipError_tPvRmT2_T3_mT4_P12ihipStream_tbEUlmE_dEESB_NS0_8identityIvEEEESG_SJ_SK_mSL_SN_bEUlT_E_NS1_11comp_targetILNS1_3genE4ELNS1_11target_archE910ELNS1_3gpuE8ELNS1_3repE0EEENS1_30default_config_static_selectorELNS0_4arch9wavefront6targetE0EEEvT1_ ; -- Begin function _ZN7rocprim17ROCPRIM_400000_NS6detail17trampoline_kernelINS0_14default_configENS1_25transform_config_selectorIdLb0EEEZNS1_14transform_implILb0ES3_S5_NS0_18transform_iteratorINS0_17counting_iteratorImlEEZNS1_24adjacent_difference_implIS3_Lb1ELb0EPdSB_N6thrust23THRUST_200600_302600_NS4plusIdEEEE10hipError_tPvRmT2_T3_mT4_P12ihipStream_tbEUlmE_dEESB_NS0_8identityIvEEEESG_SJ_SK_mSL_SN_bEUlT_E_NS1_11comp_targetILNS1_3genE4ELNS1_11target_archE910ELNS1_3gpuE8ELNS1_3repE0EEENS1_30default_config_static_selectorELNS0_4arch9wavefront6targetE0EEEvT1_
	.globl	_ZN7rocprim17ROCPRIM_400000_NS6detail17trampoline_kernelINS0_14default_configENS1_25transform_config_selectorIdLb0EEEZNS1_14transform_implILb0ES3_S5_NS0_18transform_iteratorINS0_17counting_iteratorImlEEZNS1_24adjacent_difference_implIS3_Lb1ELb0EPdSB_N6thrust23THRUST_200600_302600_NS4plusIdEEEE10hipError_tPvRmT2_T3_mT4_P12ihipStream_tbEUlmE_dEESB_NS0_8identityIvEEEESG_SJ_SK_mSL_SN_bEUlT_E_NS1_11comp_targetILNS1_3genE4ELNS1_11target_archE910ELNS1_3gpuE8ELNS1_3repE0EEENS1_30default_config_static_selectorELNS0_4arch9wavefront6targetE0EEEvT1_
	.p2align	8
	.type	_ZN7rocprim17ROCPRIM_400000_NS6detail17trampoline_kernelINS0_14default_configENS1_25transform_config_selectorIdLb0EEEZNS1_14transform_implILb0ES3_S5_NS0_18transform_iteratorINS0_17counting_iteratorImlEEZNS1_24adjacent_difference_implIS3_Lb1ELb0EPdSB_N6thrust23THRUST_200600_302600_NS4plusIdEEEE10hipError_tPvRmT2_T3_mT4_P12ihipStream_tbEUlmE_dEESB_NS0_8identityIvEEEESG_SJ_SK_mSL_SN_bEUlT_E_NS1_11comp_targetILNS1_3genE4ELNS1_11target_archE910ELNS1_3gpuE8ELNS1_3repE0EEENS1_30default_config_static_selectorELNS0_4arch9wavefront6targetE0EEEvT1_,@function
_ZN7rocprim17ROCPRIM_400000_NS6detail17trampoline_kernelINS0_14default_configENS1_25transform_config_selectorIdLb0EEEZNS1_14transform_implILb0ES3_S5_NS0_18transform_iteratorINS0_17counting_iteratorImlEEZNS1_24adjacent_difference_implIS3_Lb1ELb0EPdSB_N6thrust23THRUST_200600_302600_NS4plusIdEEEE10hipError_tPvRmT2_T3_mT4_P12ihipStream_tbEUlmE_dEESB_NS0_8identityIvEEEESG_SJ_SK_mSL_SN_bEUlT_E_NS1_11comp_targetILNS1_3genE4ELNS1_11target_archE910ELNS1_3gpuE8ELNS1_3repE0EEENS1_30default_config_static_selectorELNS0_4arch9wavefront6targetE0EEEvT1_: ; @_ZN7rocprim17ROCPRIM_400000_NS6detail17trampoline_kernelINS0_14default_configENS1_25transform_config_selectorIdLb0EEEZNS1_14transform_implILb0ES3_S5_NS0_18transform_iteratorINS0_17counting_iteratorImlEEZNS1_24adjacent_difference_implIS3_Lb1ELb0EPdSB_N6thrust23THRUST_200600_302600_NS4plusIdEEEE10hipError_tPvRmT2_T3_mT4_P12ihipStream_tbEUlmE_dEESB_NS0_8identityIvEEEESG_SJ_SK_mSL_SN_bEUlT_E_NS1_11comp_targetILNS1_3genE4ELNS1_11target_archE910ELNS1_3gpuE8ELNS1_3repE0EEENS1_30default_config_static_selectorELNS0_4arch9wavefront6targetE0EEEvT1_
; %bb.0:
	.section	.rodata,"a",@progbits
	.p2align	6, 0x0
	.amdhsa_kernel _ZN7rocprim17ROCPRIM_400000_NS6detail17trampoline_kernelINS0_14default_configENS1_25transform_config_selectorIdLb0EEEZNS1_14transform_implILb0ES3_S5_NS0_18transform_iteratorINS0_17counting_iteratorImlEEZNS1_24adjacent_difference_implIS3_Lb1ELb0EPdSB_N6thrust23THRUST_200600_302600_NS4plusIdEEEE10hipError_tPvRmT2_T3_mT4_P12ihipStream_tbEUlmE_dEESB_NS0_8identityIvEEEESG_SJ_SK_mSL_SN_bEUlT_E_NS1_11comp_targetILNS1_3genE4ELNS1_11target_archE910ELNS1_3gpuE8ELNS1_3repE0EEENS1_30default_config_static_selectorELNS0_4arch9wavefront6targetE0EEEvT1_
		.amdhsa_group_segment_fixed_size 0
		.amdhsa_private_segment_fixed_size 0
		.amdhsa_kernarg_size 56
		.amdhsa_user_sgpr_count 15
		.amdhsa_user_sgpr_dispatch_ptr 0
		.amdhsa_user_sgpr_queue_ptr 0
		.amdhsa_user_sgpr_kernarg_segment_ptr 1
		.amdhsa_user_sgpr_dispatch_id 0
		.amdhsa_user_sgpr_private_segment_size 0
		.amdhsa_wavefront_size32 1
		.amdhsa_uses_dynamic_stack 0
		.amdhsa_enable_private_segment 0
		.amdhsa_system_sgpr_workgroup_id_x 1
		.amdhsa_system_sgpr_workgroup_id_y 0
		.amdhsa_system_sgpr_workgroup_id_z 0
		.amdhsa_system_sgpr_workgroup_info 0
		.amdhsa_system_vgpr_workitem_id 0
		.amdhsa_next_free_vgpr 1
		.amdhsa_next_free_sgpr 1
		.amdhsa_reserve_vcc 0
		.amdhsa_float_round_mode_32 0
		.amdhsa_float_round_mode_16_64 0
		.amdhsa_float_denorm_mode_32 3
		.amdhsa_float_denorm_mode_16_64 3
		.amdhsa_dx10_clamp 1
		.amdhsa_ieee_mode 1
		.amdhsa_fp16_overflow 0
		.amdhsa_workgroup_processor_mode 1
		.amdhsa_memory_ordered 1
		.amdhsa_forward_progress 0
		.amdhsa_shared_vgpr_count 0
		.amdhsa_exception_fp_ieee_invalid_op 0
		.amdhsa_exception_fp_denorm_src 0
		.amdhsa_exception_fp_ieee_div_zero 0
		.amdhsa_exception_fp_ieee_overflow 0
		.amdhsa_exception_fp_ieee_underflow 0
		.amdhsa_exception_fp_ieee_inexact 0
		.amdhsa_exception_int_div_zero 0
	.end_amdhsa_kernel
	.section	.text._ZN7rocprim17ROCPRIM_400000_NS6detail17trampoline_kernelINS0_14default_configENS1_25transform_config_selectorIdLb0EEEZNS1_14transform_implILb0ES3_S5_NS0_18transform_iteratorINS0_17counting_iteratorImlEEZNS1_24adjacent_difference_implIS3_Lb1ELb0EPdSB_N6thrust23THRUST_200600_302600_NS4plusIdEEEE10hipError_tPvRmT2_T3_mT4_P12ihipStream_tbEUlmE_dEESB_NS0_8identityIvEEEESG_SJ_SK_mSL_SN_bEUlT_E_NS1_11comp_targetILNS1_3genE4ELNS1_11target_archE910ELNS1_3gpuE8ELNS1_3repE0EEENS1_30default_config_static_selectorELNS0_4arch9wavefront6targetE0EEEvT1_,"axG",@progbits,_ZN7rocprim17ROCPRIM_400000_NS6detail17trampoline_kernelINS0_14default_configENS1_25transform_config_selectorIdLb0EEEZNS1_14transform_implILb0ES3_S5_NS0_18transform_iteratorINS0_17counting_iteratorImlEEZNS1_24adjacent_difference_implIS3_Lb1ELb0EPdSB_N6thrust23THRUST_200600_302600_NS4plusIdEEEE10hipError_tPvRmT2_T3_mT4_P12ihipStream_tbEUlmE_dEESB_NS0_8identityIvEEEESG_SJ_SK_mSL_SN_bEUlT_E_NS1_11comp_targetILNS1_3genE4ELNS1_11target_archE910ELNS1_3gpuE8ELNS1_3repE0EEENS1_30default_config_static_selectorELNS0_4arch9wavefront6targetE0EEEvT1_,comdat
.Lfunc_end37:
	.size	_ZN7rocprim17ROCPRIM_400000_NS6detail17trampoline_kernelINS0_14default_configENS1_25transform_config_selectorIdLb0EEEZNS1_14transform_implILb0ES3_S5_NS0_18transform_iteratorINS0_17counting_iteratorImlEEZNS1_24adjacent_difference_implIS3_Lb1ELb0EPdSB_N6thrust23THRUST_200600_302600_NS4plusIdEEEE10hipError_tPvRmT2_T3_mT4_P12ihipStream_tbEUlmE_dEESB_NS0_8identityIvEEEESG_SJ_SK_mSL_SN_bEUlT_E_NS1_11comp_targetILNS1_3genE4ELNS1_11target_archE910ELNS1_3gpuE8ELNS1_3repE0EEENS1_30default_config_static_selectorELNS0_4arch9wavefront6targetE0EEEvT1_, .Lfunc_end37-_ZN7rocprim17ROCPRIM_400000_NS6detail17trampoline_kernelINS0_14default_configENS1_25transform_config_selectorIdLb0EEEZNS1_14transform_implILb0ES3_S5_NS0_18transform_iteratorINS0_17counting_iteratorImlEEZNS1_24adjacent_difference_implIS3_Lb1ELb0EPdSB_N6thrust23THRUST_200600_302600_NS4plusIdEEEE10hipError_tPvRmT2_T3_mT4_P12ihipStream_tbEUlmE_dEESB_NS0_8identityIvEEEESG_SJ_SK_mSL_SN_bEUlT_E_NS1_11comp_targetILNS1_3genE4ELNS1_11target_archE910ELNS1_3gpuE8ELNS1_3repE0EEENS1_30default_config_static_selectorELNS0_4arch9wavefront6targetE0EEEvT1_
                                        ; -- End function
	.section	.AMDGPU.csdata,"",@progbits
; Kernel info:
; codeLenInByte = 0
; NumSgprs: 0
; NumVgprs: 0
; ScratchSize: 0
; MemoryBound: 0
; FloatMode: 240
; IeeeMode: 1
; LDSByteSize: 0 bytes/workgroup (compile time only)
; SGPRBlocks: 0
; VGPRBlocks: 0
; NumSGPRsForWavesPerEU: 1
; NumVGPRsForWavesPerEU: 1
; Occupancy: 16
; WaveLimiterHint : 0
; COMPUTE_PGM_RSRC2:SCRATCH_EN: 0
; COMPUTE_PGM_RSRC2:USER_SGPR: 15
; COMPUTE_PGM_RSRC2:TRAP_HANDLER: 0
; COMPUTE_PGM_RSRC2:TGID_X_EN: 1
; COMPUTE_PGM_RSRC2:TGID_Y_EN: 0
; COMPUTE_PGM_RSRC2:TGID_Z_EN: 0
; COMPUTE_PGM_RSRC2:TIDIG_COMP_CNT: 0
	.section	.text._ZN7rocprim17ROCPRIM_400000_NS6detail17trampoline_kernelINS0_14default_configENS1_25transform_config_selectorIdLb0EEEZNS1_14transform_implILb0ES3_S5_NS0_18transform_iteratorINS0_17counting_iteratorImlEEZNS1_24adjacent_difference_implIS3_Lb1ELb0EPdSB_N6thrust23THRUST_200600_302600_NS4plusIdEEEE10hipError_tPvRmT2_T3_mT4_P12ihipStream_tbEUlmE_dEESB_NS0_8identityIvEEEESG_SJ_SK_mSL_SN_bEUlT_E_NS1_11comp_targetILNS1_3genE3ELNS1_11target_archE908ELNS1_3gpuE7ELNS1_3repE0EEENS1_30default_config_static_selectorELNS0_4arch9wavefront6targetE0EEEvT1_,"axG",@progbits,_ZN7rocprim17ROCPRIM_400000_NS6detail17trampoline_kernelINS0_14default_configENS1_25transform_config_selectorIdLb0EEEZNS1_14transform_implILb0ES3_S5_NS0_18transform_iteratorINS0_17counting_iteratorImlEEZNS1_24adjacent_difference_implIS3_Lb1ELb0EPdSB_N6thrust23THRUST_200600_302600_NS4plusIdEEEE10hipError_tPvRmT2_T3_mT4_P12ihipStream_tbEUlmE_dEESB_NS0_8identityIvEEEESG_SJ_SK_mSL_SN_bEUlT_E_NS1_11comp_targetILNS1_3genE3ELNS1_11target_archE908ELNS1_3gpuE7ELNS1_3repE0EEENS1_30default_config_static_selectorELNS0_4arch9wavefront6targetE0EEEvT1_,comdat
	.protected	_ZN7rocprim17ROCPRIM_400000_NS6detail17trampoline_kernelINS0_14default_configENS1_25transform_config_selectorIdLb0EEEZNS1_14transform_implILb0ES3_S5_NS0_18transform_iteratorINS0_17counting_iteratorImlEEZNS1_24adjacent_difference_implIS3_Lb1ELb0EPdSB_N6thrust23THRUST_200600_302600_NS4plusIdEEEE10hipError_tPvRmT2_T3_mT4_P12ihipStream_tbEUlmE_dEESB_NS0_8identityIvEEEESG_SJ_SK_mSL_SN_bEUlT_E_NS1_11comp_targetILNS1_3genE3ELNS1_11target_archE908ELNS1_3gpuE7ELNS1_3repE0EEENS1_30default_config_static_selectorELNS0_4arch9wavefront6targetE0EEEvT1_ ; -- Begin function _ZN7rocprim17ROCPRIM_400000_NS6detail17trampoline_kernelINS0_14default_configENS1_25transform_config_selectorIdLb0EEEZNS1_14transform_implILb0ES3_S5_NS0_18transform_iteratorINS0_17counting_iteratorImlEEZNS1_24adjacent_difference_implIS3_Lb1ELb0EPdSB_N6thrust23THRUST_200600_302600_NS4plusIdEEEE10hipError_tPvRmT2_T3_mT4_P12ihipStream_tbEUlmE_dEESB_NS0_8identityIvEEEESG_SJ_SK_mSL_SN_bEUlT_E_NS1_11comp_targetILNS1_3genE3ELNS1_11target_archE908ELNS1_3gpuE7ELNS1_3repE0EEENS1_30default_config_static_selectorELNS0_4arch9wavefront6targetE0EEEvT1_
	.globl	_ZN7rocprim17ROCPRIM_400000_NS6detail17trampoline_kernelINS0_14default_configENS1_25transform_config_selectorIdLb0EEEZNS1_14transform_implILb0ES3_S5_NS0_18transform_iteratorINS0_17counting_iteratorImlEEZNS1_24adjacent_difference_implIS3_Lb1ELb0EPdSB_N6thrust23THRUST_200600_302600_NS4plusIdEEEE10hipError_tPvRmT2_T3_mT4_P12ihipStream_tbEUlmE_dEESB_NS0_8identityIvEEEESG_SJ_SK_mSL_SN_bEUlT_E_NS1_11comp_targetILNS1_3genE3ELNS1_11target_archE908ELNS1_3gpuE7ELNS1_3repE0EEENS1_30default_config_static_selectorELNS0_4arch9wavefront6targetE0EEEvT1_
	.p2align	8
	.type	_ZN7rocprim17ROCPRIM_400000_NS6detail17trampoline_kernelINS0_14default_configENS1_25transform_config_selectorIdLb0EEEZNS1_14transform_implILb0ES3_S5_NS0_18transform_iteratorINS0_17counting_iteratorImlEEZNS1_24adjacent_difference_implIS3_Lb1ELb0EPdSB_N6thrust23THRUST_200600_302600_NS4plusIdEEEE10hipError_tPvRmT2_T3_mT4_P12ihipStream_tbEUlmE_dEESB_NS0_8identityIvEEEESG_SJ_SK_mSL_SN_bEUlT_E_NS1_11comp_targetILNS1_3genE3ELNS1_11target_archE908ELNS1_3gpuE7ELNS1_3repE0EEENS1_30default_config_static_selectorELNS0_4arch9wavefront6targetE0EEEvT1_,@function
_ZN7rocprim17ROCPRIM_400000_NS6detail17trampoline_kernelINS0_14default_configENS1_25transform_config_selectorIdLb0EEEZNS1_14transform_implILb0ES3_S5_NS0_18transform_iteratorINS0_17counting_iteratorImlEEZNS1_24adjacent_difference_implIS3_Lb1ELb0EPdSB_N6thrust23THRUST_200600_302600_NS4plusIdEEEE10hipError_tPvRmT2_T3_mT4_P12ihipStream_tbEUlmE_dEESB_NS0_8identityIvEEEESG_SJ_SK_mSL_SN_bEUlT_E_NS1_11comp_targetILNS1_3genE3ELNS1_11target_archE908ELNS1_3gpuE7ELNS1_3repE0EEENS1_30default_config_static_selectorELNS0_4arch9wavefront6targetE0EEEvT1_: ; @_ZN7rocprim17ROCPRIM_400000_NS6detail17trampoline_kernelINS0_14default_configENS1_25transform_config_selectorIdLb0EEEZNS1_14transform_implILb0ES3_S5_NS0_18transform_iteratorINS0_17counting_iteratorImlEEZNS1_24adjacent_difference_implIS3_Lb1ELb0EPdSB_N6thrust23THRUST_200600_302600_NS4plusIdEEEE10hipError_tPvRmT2_T3_mT4_P12ihipStream_tbEUlmE_dEESB_NS0_8identityIvEEEESG_SJ_SK_mSL_SN_bEUlT_E_NS1_11comp_targetILNS1_3genE3ELNS1_11target_archE908ELNS1_3gpuE7ELNS1_3repE0EEENS1_30default_config_static_selectorELNS0_4arch9wavefront6targetE0EEEvT1_
; %bb.0:
	.section	.rodata,"a",@progbits
	.p2align	6, 0x0
	.amdhsa_kernel _ZN7rocprim17ROCPRIM_400000_NS6detail17trampoline_kernelINS0_14default_configENS1_25transform_config_selectorIdLb0EEEZNS1_14transform_implILb0ES3_S5_NS0_18transform_iteratorINS0_17counting_iteratorImlEEZNS1_24adjacent_difference_implIS3_Lb1ELb0EPdSB_N6thrust23THRUST_200600_302600_NS4plusIdEEEE10hipError_tPvRmT2_T3_mT4_P12ihipStream_tbEUlmE_dEESB_NS0_8identityIvEEEESG_SJ_SK_mSL_SN_bEUlT_E_NS1_11comp_targetILNS1_3genE3ELNS1_11target_archE908ELNS1_3gpuE7ELNS1_3repE0EEENS1_30default_config_static_selectorELNS0_4arch9wavefront6targetE0EEEvT1_
		.amdhsa_group_segment_fixed_size 0
		.amdhsa_private_segment_fixed_size 0
		.amdhsa_kernarg_size 56
		.amdhsa_user_sgpr_count 15
		.amdhsa_user_sgpr_dispatch_ptr 0
		.amdhsa_user_sgpr_queue_ptr 0
		.amdhsa_user_sgpr_kernarg_segment_ptr 1
		.amdhsa_user_sgpr_dispatch_id 0
		.amdhsa_user_sgpr_private_segment_size 0
		.amdhsa_wavefront_size32 1
		.amdhsa_uses_dynamic_stack 0
		.amdhsa_enable_private_segment 0
		.amdhsa_system_sgpr_workgroup_id_x 1
		.amdhsa_system_sgpr_workgroup_id_y 0
		.amdhsa_system_sgpr_workgroup_id_z 0
		.amdhsa_system_sgpr_workgroup_info 0
		.amdhsa_system_vgpr_workitem_id 0
		.amdhsa_next_free_vgpr 1
		.amdhsa_next_free_sgpr 1
		.amdhsa_reserve_vcc 0
		.amdhsa_float_round_mode_32 0
		.amdhsa_float_round_mode_16_64 0
		.amdhsa_float_denorm_mode_32 3
		.amdhsa_float_denorm_mode_16_64 3
		.amdhsa_dx10_clamp 1
		.amdhsa_ieee_mode 1
		.amdhsa_fp16_overflow 0
		.amdhsa_workgroup_processor_mode 1
		.amdhsa_memory_ordered 1
		.amdhsa_forward_progress 0
		.amdhsa_shared_vgpr_count 0
		.amdhsa_exception_fp_ieee_invalid_op 0
		.amdhsa_exception_fp_denorm_src 0
		.amdhsa_exception_fp_ieee_div_zero 0
		.amdhsa_exception_fp_ieee_overflow 0
		.amdhsa_exception_fp_ieee_underflow 0
		.amdhsa_exception_fp_ieee_inexact 0
		.amdhsa_exception_int_div_zero 0
	.end_amdhsa_kernel
	.section	.text._ZN7rocprim17ROCPRIM_400000_NS6detail17trampoline_kernelINS0_14default_configENS1_25transform_config_selectorIdLb0EEEZNS1_14transform_implILb0ES3_S5_NS0_18transform_iteratorINS0_17counting_iteratorImlEEZNS1_24adjacent_difference_implIS3_Lb1ELb0EPdSB_N6thrust23THRUST_200600_302600_NS4plusIdEEEE10hipError_tPvRmT2_T3_mT4_P12ihipStream_tbEUlmE_dEESB_NS0_8identityIvEEEESG_SJ_SK_mSL_SN_bEUlT_E_NS1_11comp_targetILNS1_3genE3ELNS1_11target_archE908ELNS1_3gpuE7ELNS1_3repE0EEENS1_30default_config_static_selectorELNS0_4arch9wavefront6targetE0EEEvT1_,"axG",@progbits,_ZN7rocprim17ROCPRIM_400000_NS6detail17trampoline_kernelINS0_14default_configENS1_25transform_config_selectorIdLb0EEEZNS1_14transform_implILb0ES3_S5_NS0_18transform_iteratorINS0_17counting_iteratorImlEEZNS1_24adjacent_difference_implIS3_Lb1ELb0EPdSB_N6thrust23THRUST_200600_302600_NS4plusIdEEEE10hipError_tPvRmT2_T3_mT4_P12ihipStream_tbEUlmE_dEESB_NS0_8identityIvEEEESG_SJ_SK_mSL_SN_bEUlT_E_NS1_11comp_targetILNS1_3genE3ELNS1_11target_archE908ELNS1_3gpuE7ELNS1_3repE0EEENS1_30default_config_static_selectorELNS0_4arch9wavefront6targetE0EEEvT1_,comdat
.Lfunc_end38:
	.size	_ZN7rocprim17ROCPRIM_400000_NS6detail17trampoline_kernelINS0_14default_configENS1_25transform_config_selectorIdLb0EEEZNS1_14transform_implILb0ES3_S5_NS0_18transform_iteratorINS0_17counting_iteratorImlEEZNS1_24adjacent_difference_implIS3_Lb1ELb0EPdSB_N6thrust23THRUST_200600_302600_NS4plusIdEEEE10hipError_tPvRmT2_T3_mT4_P12ihipStream_tbEUlmE_dEESB_NS0_8identityIvEEEESG_SJ_SK_mSL_SN_bEUlT_E_NS1_11comp_targetILNS1_3genE3ELNS1_11target_archE908ELNS1_3gpuE7ELNS1_3repE0EEENS1_30default_config_static_selectorELNS0_4arch9wavefront6targetE0EEEvT1_, .Lfunc_end38-_ZN7rocprim17ROCPRIM_400000_NS6detail17trampoline_kernelINS0_14default_configENS1_25transform_config_selectorIdLb0EEEZNS1_14transform_implILb0ES3_S5_NS0_18transform_iteratorINS0_17counting_iteratorImlEEZNS1_24adjacent_difference_implIS3_Lb1ELb0EPdSB_N6thrust23THRUST_200600_302600_NS4plusIdEEEE10hipError_tPvRmT2_T3_mT4_P12ihipStream_tbEUlmE_dEESB_NS0_8identityIvEEEESG_SJ_SK_mSL_SN_bEUlT_E_NS1_11comp_targetILNS1_3genE3ELNS1_11target_archE908ELNS1_3gpuE7ELNS1_3repE0EEENS1_30default_config_static_selectorELNS0_4arch9wavefront6targetE0EEEvT1_
                                        ; -- End function
	.section	.AMDGPU.csdata,"",@progbits
; Kernel info:
; codeLenInByte = 0
; NumSgprs: 0
; NumVgprs: 0
; ScratchSize: 0
; MemoryBound: 0
; FloatMode: 240
; IeeeMode: 1
; LDSByteSize: 0 bytes/workgroup (compile time only)
; SGPRBlocks: 0
; VGPRBlocks: 0
; NumSGPRsForWavesPerEU: 1
; NumVGPRsForWavesPerEU: 1
; Occupancy: 16
; WaveLimiterHint : 0
; COMPUTE_PGM_RSRC2:SCRATCH_EN: 0
; COMPUTE_PGM_RSRC2:USER_SGPR: 15
; COMPUTE_PGM_RSRC2:TRAP_HANDLER: 0
; COMPUTE_PGM_RSRC2:TGID_X_EN: 1
; COMPUTE_PGM_RSRC2:TGID_Y_EN: 0
; COMPUTE_PGM_RSRC2:TGID_Z_EN: 0
; COMPUTE_PGM_RSRC2:TIDIG_COMP_CNT: 0
	.section	.text._ZN7rocprim17ROCPRIM_400000_NS6detail17trampoline_kernelINS0_14default_configENS1_25transform_config_selectorIdLb0EEEZNS1_14transform_implILb0ES3_S5_NS0_18transform_iteratorINS0_17counting_iteratorImlEEZNS1_24adjacent_difference_implIS3_Lb1ELb0EPdSB_N6thrust23THRUST_200600_302600_NS4plusIdEEEE10hipError_tPvRmT2_T3_mT4_P12ihipStream_tbEUlmE_dEESB_NS0_8identityIvEEEESG_SJ_SK_mSL_SN_bEUlT_E_NS1_11comp_targetILNS1_3genE2ELNS1_11target_archE906ELNS1_3gpuE6ELNS1_3repE0EEENS1_30default_config_static_selectorELNS0_4arch9wavefront6targetE0EEEvT1_,"axG",@progbits,_ZN7rocprim17ROCPRIM_400000_NS6detail17trampoline_kernelINS0_14default_configENS1_25transform_config_selectorIdLb0EEEZNS1_14transform_implILb0ES3_S5_NS0_18transform_iteratorINS0_17counting_iteratorImlEEZNS1_24adjacent_difference_implIS3_Lb1ELb0EPdSB_N6thrust23THRUST_200600_302600_NS4plusIdEEEE10hipError_tPvRmT2_T3_mT4_P12ihipStream_tbEUlmE_dEESB_NS0_8identityIvEEEESG_SJ_SK_mSL_SN_bEUlT_E_NS1_11comp_targetILNS1_3genE2ELNS1_11target_archE906ELNS1_3gpuE6ELNS1_3repE0EEENS1_30default_config_static_selectorELNS0_4arch9wavefront6targetE0EEEvT1_,comdat
	.protected	_ZN7rocprim17ROCPRIM_400000_NS6detail17trampoline_kernelINS0_14default_configENS1_25transform_config_selectorIdLb0EEEZNS1_14transform_implILb0ES3_S5_NS0_18transform_iteratorINS0_17counting_iteratorImlEEZNS1_24adjacent_difference_implIS3_Lb1ELb0EPdSB_N6thrust23THRUST_200600_302600_NS4plusIdEEEE10hipError_tPvRmT2_T3_mT4_P12ihipStream_tbEUlmE_dEESB_NS0_8identityIvEEEESG_SJ_SK_mSL_SN_bEUlT_E_NS1_11comp_targetILNS1_3genE2ELNS1_11target_archE906ELNS1_3gpuE6ELNS1_3repE0EEENS1_30default_config_static_selectorELNS0_4arch9wavefront6targetE0EEEvT1_ ; -- Begin function _ZN7rocprim17ROCPRIM_400000_NS6detail17trampoline_kernelINS0_14default_configENS1_25transform_config_selectorIdLb0EEEZNS1_14transform_implILb0ES3_S5_NS0_18transform_iteratorINS0_17counting_iteratorImlEEZNS1_24adjacent_difference_implIS3_Lb1ELb0EPdSB_N6thrust23THRUST_200600_302600_NS4plusIdEEEE10hipError_tPvRmT2_T3_mT4_P12ihipStream_tbEUlmE_dEESB_NS0_8identityIvEEEESG_SJ_SK_mSL_SN_bEUlT_E_NS1_11comp_targetILNS1_3genE2ELNS1_11target_archE906ELNS1_3gpuE6ELNS1_3repE0EEENS1_30default_config_static_selectorELNS0_4arch9wavefront6targetE0EEEvT1_
	.globl	_ZN7rocprim17ROCPRIM_400000_NS6detail17trampoline_kernelINS0_14default_configENS1_25transform_config_selectorIdLb0EEEZNS1_14transform_implILb0ES3_S5_NS0_18transform_iteratorINS0_17counting_iteratorImlEEZNS1_24adjacent_difference_implIS3_Lb1ELb0EPdSB_N6thrust23THRUST_200600_302600_NS4plusIdEEEE10hipError_tPvRmT2_T3_mT4_P12ihipStream_tbEUlmE_dEESB_NS0_8identityIvEEEESG_SJ_SK_mSL_SN_bEUlT_E_NS1_11comp_targetILNS1_3genE2ELNS1_11target_archE906ELNS1_3gpuE6ELNS1_3repE0EEENS1_30default_config_static_selectorELNS0_4arch9wavefront6targetE0EEEvT1_
	.p2align	8
	.type	_ZN7rocprim17ROCPRIM_400000_NS6detail17trampoline_kernelINS0_14default_configENS1_25transform_config_selectorIdLb0EEEZNS1_14transform_implILb0ES3_S5_NS0_18transform_iteratorINS0_17counting_iteratorImlEEZNS1_24adjacent_difference_implIS3_Lb1ELb0EPdSB_N6thrust23THRUST_200600_302600_NS4plusIdEEEE10hipError_tPvRmT2_T3_mT4_P12ihipStream_tbEUlmE_dEESB_NS0_8identityIvEEEESG_SJ_SK_mSL_SN_bEUlT_E_NS1_11comp_targetILNS1_3genE2ELNS1_11target_archE906ELNS1_3gpuE6ELNS1_3repE0EEENS1_30default_config_static_selectorELNS0_4arch9wavefront6targetE0EEEvT1_,@function
_ZN7rocprim17ROCPRIM_400000_NS6detail17trampoline_kernelINS0_14default_configENS1_25transform_config_selectorIdLb0EEEZNS1_14transform_implILb0ES3_S5_NS0_18transform_iteratorINS0_17counting_iteratorImlEEZNS1_24adjacent_difference_implIS3_Lb1ELb0EPdSB_N6thrust23THRUST_200600_302600_NS4plusIdEEEE10hipError_tPvRmT2_T3_mT4_P12ihipStream_tbEUlmE_dEESB_NS0_8identityIvEEEESG_SJ_SK_mSL_SN_bEUlT_E_NS1_11comp_targetILNS1_3genE2ELNS1_11target_archE906ELNS1_3gpuE6ELNS1_3repE0EEENS1_30default_config_static_selectorELNS0_4arch9wavefront6targetE0EEEvT1_: ; @_ZN7rocprim17ROCPRIM_400000_NS6detail17trampoline_kernelINS0_14default_configENS1_25transform_config_selectorIdLb0EEEZNS1_14transform_implILb0ES3_S5_NS0_18transform_iteratorINS0_17counting_iteratorImlEEZNS1_24adjacent_difference_implIS3_Lb1ELb0EPdSB_N6thrust23THRUST_200600_302600_NS4plusIdEEEE10hipError_tPvRmT2_T3_mT4_P12ihipStream_tbEUlmE_dEESB_NS0_8identityIvEEEESG_SJ_SK_mSL_SN_bEUlT_E_NS1_11comp_targetILNS1_3genE2ELNS1_11target_archE906ELNS1_3gpuE6ELNS1_3repE0EEENS1_30default_config_static_selectorELNS0_4arch9wavefront6targetE0EEEvT1_
; %bb.0:
	.section	.rodata,"a",@progbits
	.p2align	6, 0x0
	.amdhsa_kernel _ZN7rocprim17ROCPRIM_400000_NS6detail17trampoline_kernelINS0_14default_configENS1_25transform_config_selectorIdLb0EEEZNS1_14transform_implILb0ES3_S5_NS0_18transform_iteratorINS0_17counting_iteratorImlEEZNS1_24adjacent_difference_implIS3_Lb1ELb0EPdSB_N6thrust23THRUST_200600_302600_NS4plusIdEEEE10hipError_tPvRmT2_T3_mT4_P12ihipStream_tbEUlmE_dEESB_NS0_8identityIvEEEESG_SJ_SK_mSL_SN_bEUlT_E_NS1_11comp_targetILNS1_3genE2ELNS1_11target_archE906ELNS1_3gpuE6ELNS1_3repE0EEENS1_30default_config_static_selectorELNS0_4arch9wavefront6targetE0EEEvT1_
		.amdhsa_group_segment_fixed_size 0
		.amdhsa_private_segment_fixed_size 0
		.amdhsa_kernarg_size 56
		.amdhsa_user_sgpr_count 15
		.amdhsa_user_sgpr_dispatch_ptr 0
		.amdhsa_user_sgpr_queue_ptr 0
		.amdhsa_user_sgpr_kernarg_segment_ptr 1
		.amdhsa_user_sgpr_dispatch_id 0
		.amdhsa_user_sgpr_private_segment_size 0
		.amdhsa_wavefront_size32 1
		.amdhsa_uses_dynamic_stack 0
		.amdhsa_enable_private_segment 0
		.amdhsa_system_sgpr_workgroup_id_x 1
		.amdhsa_system_sgpr_workgroup_id_y 0
		.amdhsa_system_sgpr_workgroup_id_z 0
		.amdhsa_system_sgpr_workgroup_info 0
		.amdhsa_system_vgpr_workitem_id 0
		.amdhsa_next_free_vgpr 1
		.amdhsa_next_free_sgpr 1
		.amdhsa_reserve_vcc 0
		.amdhsa_float_round_mode_32 0
		.amdhsa_float_round_mode_16_64 0
		.amdhsa_float_denorm_mode_32 3
		.amdhsa_float_denorm_mode_16_64 3
		.amdhsa_dx10_clamp 1
		.amdhsa_ieee_mode 1
		.amdhsa_fp16_overflow 0
		.amdhsa_workgroup_processor_mode 1
		.amdhsa_memory_ordered 1
		.amdhsa_forward_progress 0
		.amdhsa_shared_vgpr_count 0
		.amdhsa_exception_fp_ieee_invalid_op 0
		.amdhsa_exception_fp_denorm_src 0
		.amdhsa_exception_fp_ieee_div_zero 0
		.amdhsa_exception_fp_ieee_overflow 0
		.amdhsa_exception_fp_ieee_underflow 0
		.amdhsa_exception_fp_ieee_inexact 0
		.amdhsa_exception_int_div_zero 0
	.end_amdhsa_kernel
	.section	.text._ZN7rocprim17ROCPRIM_400000_NS6detail17trampoline_kernelINS0_14default_configENS1_25transform_config_selectorIdLb0EEEZNS1_14transform_implILb0ES3_S5_NS0_18transform_iteratorINS0_17counting_iteratorImlEEZNS1_24adjacent_difference_implIS3_Lb1ELb0EPdSB_N6thrust23THRUST_200600_302600_NS4plusIdEEEE10hipError_tPvRmT2_T3_mT4_P12ihipStream_tbEUlmE_dEESB_NS0_8identityIvEEEESG_SJ_SK_mSL_SN_bEUlT_E_NS1_11comp_targetILNS1_3genE2ELNS1_11target_archE906ELNS1_3gpuE6ELNS1_3repE0EEENS1_30default_config_static_selectorELNS0_4arch9wavefront6targetE0EEEvT1_,"axG",@progbits,_ZN7rocprim17ROCPRIM_400000_NS6detail17trampoline_kernelINS0_14default_configENS1_25transform_config_selectorIdLb0EEEZNS1_14transform_implILb0ES3_S5_NS0_18transform_iteratorINS0_17counting_iteratorImlEEZNS1_24adjacent_difference_implIS3_Lb1ELb0EPdSB_N6thrust23THRUST_200600_302600_NS4plusIdEEEE10hipError_tPvRmT2_T3_mT4_P12ihipStream_tbEUlmE_dEESB_NS0_8identityIvEEEESG_SJ_SK_mSL_SN_bEUlT_E_NS1_11comp_targetILNS1_3genE2ELNS1_11target_archE906ELNS1_3gpuE6ELNS1_3repE0EEENS1_30default_config_static_selectorELNS0_4arch9wavefront6targetE0EEEvT1_,comdat
.Lfunc_end39:
	.size	_ZN7rocprim17ROCPRIM_400000_NS6detail17trampoline_kernelINS0_14default_configENS1_25transform_config_selectorIdLb0EEEZNS1_14transform_implILb0ES3_S5_NS0_18transform_iteratorINS0_17counting_iteratorImlEEZNS1_24adjacent_difference_implIS3_Lb1ELb0EPdSB_N6thrust23THRUST_200600_302600_NS4plusIdEEEE10hipError_tPvRmT2_T3_mT4_P12ihipStream_tbEUlmE_dEESB_NS0_8identityIvEEEESG_SJ_SK_mSL_SN_bEUlT_E_NS1_11comp_targetILNS1_3genE2ELNS1_11target_archE906ELNS1_3gpuE6ELNS1_3repE0EEENS1_30default_config_static_selectorELNS0_4arch9wavefront6targetE0EEEvT1_, .Lfunc_end39-_ZN7rocprim17ROCPRIM_400000_NS6detail17trampoline_kernelINS0_14default_configENS1_25transform_config_selectorIdLb0EEEZNS1_14transform_implILb0ES3_S5_NS0_18transform_iteratorINS0_17counting_iteratorImlEEZNS1_24adjacent_difference_implIS3_Lb1ELb0EPdSB_N6thrust23THRUST_200600_302600_NS4plusIdEEEE10hipError_tPvRmT2_T3_mT4_P12ihipStream_tbEUlmE_dEESB_NS0_8identityIvEEEESG_SJ_SK_mSL_SN_bEUlT_E_NS1_11comp_targetILNS1_3genE2ELNS1_11target_archE906ELNS1_3gpuE6ELNS1_3repE0EEENS1_30default_config_static_selectorELNS0_4arch9wavefront6targetE0EEEvT1_
                                        ; -- End function
	.section	.AMDGPU.csdata,"",@progbits
; Kernel info:
; codeLenInByte = 0
; NumSgprs: 0
; NumVgprs: 0
; ScratchSize: 0
; MemoryBound: 0
; FloatMode: 240
; IeeeMode: 1
; LDSByteSize: 0 bytes/workgroup (compile time only)
; SGPRBlocks: 0
; VGPRBlocks: 0
; NumSGPRsForWavesPerEU: 1
; NumVGPRsForWavesPerEU: 1
; Occupancy: 16
; WaveLimiterHint : 0
; COMPUTE_PGM_RSRC2:SCRATCH_EN: 0
; COMPUTE_PGM_RSRC2:USER_SGPR: 15
; COMPUTE_PGM_RSRC2:TRAP_HANDLER: 0
; COMPUTE_PGM_RSRC2:TGID_X_EN: 1
; COMPUTE_PGM_RSRC2:TGID_Y_EN: 0
; COMPUTE_PGM_RSRC2:TGID_Z_EN: 0
; COMPUTE_PGM_RSRC2:TIDIG_COMP_CNT: 0
	.section	.text._ZN7rocprim17ROCPRIM_400000_NS6detail17trampoline_kernelINS0_14default_configENS1_25transform_config_selectorIdLb0EEEZNS1_14transform_implILb0ES3_S5_NS0_18transform_iteratorINS0_17counting_iteratorImlEEZNS1_24adjacent_difference_implIS3_Lb1ELb0EPdSB_N6thrust23THRUST_200600_302600_NS4plusIdEEEE10hipError_tPvRmT2_T3_mT4_P12ihipStream_tbEUlmE_dEESB_NS0_8identityIvEEEESG_SJ_SK_mSL_SN_bEUlT_E_NS1_11comp_targetILNS1_3genE10ELNS1_11target_archE1201ELNS1_3gpuE5ELNS1_3repE0EEENS1_30default_config_static_selectorELNS0_4arch9wavefront6targetE0EEEvT1_,"axG",@progbits,_ZN7rocprim17ROCPRIM_400000_NS6detail17trampoline_kernelINS0_14default_configENS1_25transform_config_selectorIdLb0EEEZNS1_14transform_implILb0ES3_S5_NS0_18transform_iteratorINS0_17counting_iteratorImlEEZNS1_24adjacent_difference_implIS3_Lb1ELb0EPdSB_N6thrust23THRUST_200600_302600_NS4plusIdEEEE10hipError_tPvRmT2_T3_mT4_P12ihipStream_tbEUlmE_dEESB_NS0_8identityIvEEEESG_SJ_SK_mSL_SN_bEUlT_E_NS1_11comp_targetILNS1_3genE10ELNS1_11target_archE1201ELNS1_3gpuE5ELNS1_3repE0EEENS1_30default_config_static_selectorELNS0_4arch9wavefront6targetE0EEEvT1_,comdat
	.protected	_ZN7rocprim17ROCPRIM_400000_NS6detail17trampoline_kernelINS0_14default_configENS1_25transform_config_selectorIdLb0EEEZNS1_14transform_implILb0ES3_S5_NS0_18transform_iteratorINS0_17counting_iteratorImlEEZNS1_24adjacent_difference_implIS3_Lb1ELb0EPdSB_N6thrust23THRUST_200600_302600_NS4plusIdEEEE10hipError_tPvRmT2_T3_mT4_P12ihipStream_tbEUlmE_dEESB_NS0_8identityIvEEEESG_SJ_SK_mSL_SN_bEUlT_E_NS1_11comp_targetILNS1_3genE10ELNS1_11target_archE1201ELNS1_3gpuE5ELNS1_3repE0EEENS1_30default_config_static_selectorELNS0_4arch9wavefront6targetE0EEEvT1_ ; -- Begin function _ZN7rocprim17ROCPRIM_400000_NS6detail17trampoline_kernelINS0_14default_configENS1_25transform_config_selectorIdLb0EEEZNS1_14transform_implILb0ES3_S5_NS0_18transform_iteratorINS0_17counting_iteratorImlEEZNS1_24adjacent_difference_implIS3_Lb1ELb0EPdSB_N6thrust23THRUST_200600_302600_NS4plusIdEEEE10hipError_tPvRmT2_T3_mT4_P12ihipStream_tbEUlmE_dEESB_NS0_8identityIvEEEESG_SJ_SK_mSL_SN_bEUlT_E_NS1_11comp_targetILNS1_3genE10ELNS1_11target_archE1201ELNS1_3gpuE5ELNS1_3repE0EEENS1_30default_config_static_selectorELNS0_4arch9wavefront6targetE0EEEvT1_
	.globl	_ZN7rocprim17ROCPRIM_400000_NS6detail17trampoline_kernelINS0_14default_configENS1_25transform_config_selectorIdLb0EEEZNS1_14transform_implILb0ES3_S5_NS0_18transform_iteratorINS0_17counting_iteratorImlEEZNS1_24adjacent_difference_implIS3_Lb1ELb0EPdSB_N6thrust23THRUST_200600_302600_NS4plusIdEEEE10hipError_tPvRmT2_T3_mT4_P12ihipStream_tbEUlmE_dEESB_NS0_8identityIvEEEESG_SJ_SK_mSL_SN_bEUlT_E_NS1_11comp_targetILNS1_3genE10ELNS1_11target_archE1201ELNS1_3gpuE5ELNS1_3repE0EEENS1_30default_config_static_selectorELNS0_4arch9wavefront6targetE0EEEvT1_
	.p2align	8
	.type	_ZN7rocprim17ROCPRIM_400000_NS6detail17trampoline_kernelINS0_14default_configENS1_25transform_config_selectorIdLb0EEEZNS1_14transform_implILb0ES3_S5_NS0_18transform_iteratorINS0_17counting_iteratorImlEEZNS1_24adjacent_difference_implIS3_Lb1ELb0EPdSB_N6thrust23THRUST_200600_302600_NS4plusIdEEEE10hipError_tPvRmT2_T3_mT4_P12ihipStream_tbEUlmE_dEESB_NS0_8identityIvEEEESG_SJ_SK_mSL_SN_bEUlT_E_NS1_11comp_targetILNS1_3genE10ELNS1_11target_archE1201ELNS1_3gpuE5ELNS1_3repE0EEENS1_30default_config_static_selectorELNS0_4arch9wavefront6targetE0EEEvT1_,@function
_ZN7rocprim17ROCPRIM_400000_NS6detail17trampoline_kernelINS0_14default_configENS1_25transform_config_selectorIdLb0EEEZNS1_14transform_implILb0ES3_S5_NS0_18transform_iteratorINS0_17counting_iteratorImlEEZNS1_24adjacent_difference_implIS3_Lb1ELb0EPdSB_N6thrust23THRUST_200600_302600_NS4plusIdEEEE10hipError_tPvRmT2_T3_mT4_P12ihipStream_tbEUlmE_dEESB_NS0_8identityIvEEEESG_SJ_SK_mSL_SN_bEUlT_E_NS1_11comp_targetILNS1_3genE10ELNS1_11target_archE1201ELNS1_3gpuE5ELNS1_3repE0EEENS1_30default_config_static_selectorELNS0_4arch9wavefront6targetE0EEEvT1_: ; @_ZN7rocprim17ROCPRIM_400000_NS6detail17trampoline_kernelINS0_14default_configENS1_25transform_config_selectorIdLb0EEEZNS1_14transform_implILb0ES3_S5_NS0_18transform_iteratorINS0_17counting_iteratorImlEEZNS1_24adjacent_difference_implIS3_Lb1ELb0EPdSB_N6thrust23THRUST_200600_302600_NS4plusIdEEEE10hipError_tPvRmT2_T3_mT4_P12ihipStream_tbEUlmE_dEESB_NS0_8identityIvEEEESG_SJ_SK_mSL_SN_bEUlT_E_NS1_11comp_targetILNS1_3genE10ELNS1_11target_archE1201ELNS1_3gpuE5ELNS1_3repE0EEENS1_30default_config_static_selectorELNS0_4arch9wavefront6targetE0EEEvT1_
; %bb.0:
	.section	.rodata,"a",@progbits
	.p2align	6, 0x0
	.amdhsa_kernel _ZN7rocprim17ROCPRIM_400000_NS6detail17trampoline_kernelINS0_14default_configENS1_25transform_config_selectorIdLb0EEEZNS1_14transform_implILb0ES3_S5_NS0_18transform_iteratorINS0_17counting_iteratorImlEEZNS1_24adjacent_difference_implIS3_Lb1ELb0EPdSB_N6thrust23THRUST_200600_302600_NS4plusIdEEEE10hipError_tPvRmT2_T3_mT4_P12ihipStream_tbEUlmE_dEESB_NS0_8identityIvEEEESG_SJ_SK_mSL_SN_bEUlT_E_NS1_11comp_targetILNS1_3genE10ELNS1_11target_archE1201ELNS1_3gpuE5ELNS1_3repE0EEENS1_30default_config_static_selectorELNS0_4arch9wavefront6targetE0EEEvT1_
		.amdhsa_group_segment_fixed_size 0
		.amdhsa_private_segment_fixed_size 0
		.amdhsa_kernarg_size 56
		.amdhsa_user_sgpr_count 15
		.amdhsa_user_sgpr_dispatch_ptr 0
		.amdhsa_user_sgpr_queue_ptr 0
		.amdhsa_user_sgpr_kernarg_segment_ptr 1
		.amdhsa_user_sgpr_dispatch_id 0
		.amdhsa_user_sgpr_private_segment_size 0
		.amdhsa_wavefront_size32 1
		.amdhsa_uses_dynamic_stack 0
		.amdhsa_enable_private_segment 0
		.amdhsa_system_sgpr_workgroup_id_x 1
		.amdhsa_system_sgpr_workgroup_id_y 0
		.amdhsa_system_sgpr_workgroup_id_z 0
		.amdhsa_system_sgpr_workgroup_info 0
		.amdhsa_system_vgpr_workitem_id 0
		.amdhsa_next_free_vgpr 1
		.amdhsa_next_free_sgpr 1
		.amdhsa_reserve_vcc 0
		.amdhsa_float_round_mode_32 0
		.amdhsa_float_round_mode_16_64 0
		.amdhsa_float_denorm_mode_32 3
		.amdhsa_float_denorm_mode_16_64 3
		.amdhsa_dx10_clamp 1
		.amdhsa_ieee_mode 1
		.amdhsa_fp16_overflow 0
		.amdhsa_workgroup_processor_mode 1
		.amdhsa_memory_ordered 1
		.amdhsa_forward_progress 0
		.amdhsa_shared_vgpr_count 0
		.amdhsa_exception_fp_ieee_invalid_op 0
		.amdhsa_exception_fp_denorm_src 0
		.amdhsa_exception_fp_ieee_div_zero 0
		.amdhsa_exception_fp_ieee_overflow 0
		.amdhsa_exception_fp_ieee_underflow 0
		.amdhsa_exception_fp_ieee_inexact 0
		.amdhsa_exception_int_div_zero 0
	.end_amdhsa_kernel
	.section	.text._ZN7rocprim17ROCPRIM_400000_NS6detail17trampoline_kernelINS0_14default_configENS1_25transform_config_selectorIdLb0EEEZNS1_14transform_implILb0ES3_S5_NS0_18transform_iteratorINS0_17counting_iteratorImlEEZNS1_24adjacent_difference_implIS3_Lb1ELb0EPdSB_N6thrust23THRUST_200600_302600_NS4plusIdEEEE10hipError_tPvRmT2_T3_mT4_P12ihipStream_tbEUlmE_dEESB_NS0_8identityIvEEEESG_SJ_SK_mSL_SN_bEUlT_E_NS1_11comp_targetILNS1_3genE10ELNS1_11target_archE1201ELNS1_3gpuE5ELNS1_3repE0EEENS1_30default_config_static_selectorELNS0_4arch9wavefront6targetE0EEEvT1_,"axG",@progbits,_ZN7rocprim17ROCPRIM_400000_NS6detail17trampoline_kernelINS0_14default_configENS1_25transform_config_selectorIdLb0EEEZNS1_14transform_implILb0ES3_S5_NS0_18transform_iteratorINS0_17counting_iteratorImlEEZNS1_24adjacent_difference_implIS3_Lb1ELb0EPdSB_N6thrust23THRUST_200600_302600_NS4plusIdEEEE10hipError_tPvRmT2_T3_mT4_P12ihipStream_tbEUlmE_dEESB_NS0_8identityIvEEEESG_SJ_SK_mSL_SN_bEUlT_E_NS1_11comp_targetILNS1_3genE10ELNS1_11target_archE1201ELNS1_3gpuE5ELNS1_3repE0EEENS1_30default_config_static_selectorELNS0_4arch9wavefront6targetE0EEEvT1_,comdat
.Lfunc_end40:
	.size	_ZN7rocprim17ROCPRIM_400000_NS6detail17trampoline_kernelINS0_14default_configENS1_25transform_config_selectorIdLb0EEEZNS1_14transform_implILb0ES3_S5_NS0_18transform_iteratorINS0_17counting_iteratorImlEEZNS1_24adjacent_difference_implIS3_Lb1ELb0EPdSB_N6thrust23THRUST_200600_302600_NS4plusIdEEEE10hipError_tPvRmT2_T3_mT4_P12ihipStream_tbEUlmE_dEESB_NS0_8identityIvEEEESG_SJ_SK_mSL_SN_bEUlT_E_NS1_11comp_targetILNS1_3genE10ELNS1_11target_archE1201ELNS1_3gpuE5ELNS1_3repE0EEENS1_30default_config_static_selectorELNS0_4arch9wavefront6targetE0EEEvT1_, .Lfunc_end40-_ZN7rocprim17ROCPRIM_400000_NS6detail17trampoline_kernelINS0_14default_configENS1_25transform_config_selectorIdLb0EEEZNS1_14transform_implILb0ES3_S5_NS0_18transform_iteratorINS0_17counting_iteratorImlEEZNS1_24adjacent_difference_implIS3_Lb1ELb0EPdSB_N6thrust23THRUST_200600_302600_NS4plusIdEEEE10hipError_tPvRmT2_T3_mT4_P12ihipStream_tbEUlmE_dEESB_NS0_8identityIvEEEESG_SJ_SK_mSL_SN_bEUlT_E_NS1_11comp_targetILNS1_3genE10ELNS1_11target_archE1201ELNS1_3gpuE5ELNS1_3repE0EEENS1_30default_config_static_selectorELNS0_4arch9wavefront6targetE0EEEvT1_
                                        ; -- End function
	.section	.AMDGPU.csdata,"",@progbits
; Kernel info:
; codeLenInByte = 0
; NumSgprs: 0
; NumVgprs: 0
; ScratchSize: 0
; MemoryBound: 0
; FloatMode: 240
; IeeeMode: 1
; LDSByteSize: 0 bytes/workgroup (compile time only)
; SGPRBlocks: 0
; VGPRBlocks: 0
; NumSGPRsForWavesPerEU: 1
; NumVGPRsForWavesPerEU: 1
; Occupancy: 16
; WaveLimiterHint : 0
; COMPUTE_PGM_RSRC2:SCRATCH_EN: 0
; COMPUTE_PGM_RSRC2:USER_SGPR: 15
; COMPUTE_PGM_RSRC2:TRAP_HANDLER: 0
; COMPUTE_PGM_RSRC2:TGID_X_EN: 1
; COMPUTE_PGM_RSRC2:TGID_Y_EN: 0
; COMPUTE_PGM_RSRC2:TGID_Z_EN: 0
; COMPUTE_PGM_RSRC2:TIDIG_COMP_CNT: 0
	.section	.text._ZN7rocprim17ROCPRIM_400000_NS6detail17trampoline_kernelINS0_14default_configENS1_25transform_config_selectorIdLb0EEEZNS1_14transform_implILb0ES3_S5_NS0_18transform_iteratorINS0_17counting_iteratorImlEEZNS1_24adjacent_difference_implIS3_Lb1ELb0EPdSB_N6thrust23THRUST_200600_302600_NS4plusIdEEEE10hipError_tPvRmT2_T3_mT4_P12ihipStream_tbEUlmE_dEESB_NS0_8identityIvEEEESG_SJ_SK_mSL_SN_bEUlT_E_NS1_11comp_targetILNS1_3genE10ELNS1_11target_archE1200ELNS1_3gpuE4ELNS1_3repE0EEENS1_30default_config_static_selectorELNS0_4arch9wavefront6targetE0EEEvT1_,"axG",@progbits,_ZN7rocprim17ROCPRIM_400000_NS6detail17trampoline_kernelINS0_14default_configENS1_25transform_config_selectorIdLb0EEEZNS1_14transform_implILb0ES3_S5_NS0_18transform_iteratorINS0_17counting_iteratorImlEEZNS1_24adjacent_difference_implIS3_Lb1ELb0EPdSB_N6thrust23THRUST_200600_302600_NS4plusIdEEEE10hipError_tPvRmT2_T3_mT4_P12ihipStream_tbEUlmE_dEESB_NS0_8identityIvEEEESG_SJ_SK_mSL_SN_bEUlT_E_NS1_11comp_targetILNS1_3genE10ELNS1_11target_archE1200ELNS1_3gpuE4ELNS1_3repE0EEENS1_30default_config_static_selectorELNS0_4arch9wavefront6targetE0EEEvT1_,comdat
	.protected	_ZN7rocprim17ROCPRIM_400000_NS6detail17trampoline_kernelINS0_14default_configENS1_25transform_config_selectorIdLb0EEEZNS1_14transform_implILb0ES3_S5_NS0_18transform_iteratorINS0_17counting_iteratorImlEEZNS1_24adjacent_difference_implIS3_Lb1ELb0EPdSB_N6thrust23THRUST_200600_302600_NS4plusIdEEEE10hipError_tPvRmT2_T3_mT4_P12ihipStream_tbEUlmE_dEESB_NS0_8identityIvEEEESG_SJ_SK_mSL_SN_bEUlT_E_NS1_11comp_targetILNS1_3genE10ELNS1_11target_archE1200ELNS1_3gpuE4ELNS1_3repE0EEENS1_30default_config_static_selectorELNS0_4arch9wavefront6targetE0EEEvT1_ ; -- Begin function _ZN7rocprim17ROCPRIM_400000_NS6detail17trampoline_kernelINS0_14default_configENS1_25transform_config_selectorIdLb0EEEZNS1_14transform_implILb0ES3_S5_NS0_18transform_iteratorINS0_17counting_iteratorImlEEZNS1_24adjacent_difference_implIS3_Lb1ELb0EPdSB_N6thrust23THRUST_200600_302600_NS4plusIdEEEE10hipError_tPvRmT2_T3_mT4_P12ihipStream_tbEUlmE_dEESB_NS0_8identityIvEEEESG_SJ_SK_mSL_SN_bEUlT_E_NS1_11comp_targetILNS1_3genE10ELNS1_11target_archE1200ELNS1_3gpuE4ELNS1_3repE0EEENS1_30default_config_static_selectorELNS0_4arch9wavefront6targetE0EEEvT1_
	.globl	_ZN7rocprim17ROCPRIM_400000_NS6detail17trampoline_kernelINS0_14default_configENS1_25transform_config_selectorIdLb0EEEZNS1_14transform_implILb0ES3_S5_NS0_18transform_iteratorINS0_17counting_iteratorImlEEZNS1_24adjacent_difference_implIS3_Lb1ELb0EPdSB_N6thrust23THRUST_200600_302600_NS4plusIdEEEE10hipError_tPvRmT2_T3_mT4_P12ihipStream_tbEUlmE_dEESB_NS0_8identityIvEEEESG_SJ_SK_mSL_SN_bEUlT_E_NS1_11comp_targetILNS1_3genE10ELNS1_11target_archE1200ELNS1_3gpuE4ELNS1_3repE0EEENS1_30default_config_static_selectorELNS0_4arch9wavefront6targetE0EEEvT1_
	.p2align	8
	.type	_ZN7rocprim17ROCPRIM_400000_NS6detail17trampoline_kernelINS0_14default_configENS1_25transform_config_selectorIdLb0EEEZNS1_14transform_implILb0ES3_S5_NS0_18transform_iteratorINS0_17counting_iteratorImlEEZNS1_24adjacent_difference_implIS3_Lb1ELb0EPdSB_N6thrust23THRUST_200600_302600_NS4plusIdEEEE10hipError_tPvRmT2_T3_mT4_P12ihipStream_tbEUlmE_dEESB_NS0_8identityIvEEEESG_SJ_SK_mSL_SN_bEUlT_E_NS1_11comp_targetILNS1_3genE10ELNS1_11target_archE1200ELNS1_3gpuE4ELNS1_3repE0EEENS1_30default_config_static_selectorELNS0_4arch9wavefront6targetE0EEEvT1_,@function
_ZN7rocprim17ROCPRIM_400000_NS6detail17trampoline_kernelINS0_14default_configENS1_25transform_config_selectorIdLb0EEEZNS1_14transform_implILb0ES3_S5_NS0_18transform_iteratorINS0_17counting_iteratorImlEEZNS1_24adjacent_difference_implIS3_Lb1ELb0EPdSB_N6thrust23THRUST_200600_302600_NS4plusIdEEEE10hipError_tPvRmT2_T3_mT4_P12ihipStream_tbEUlmE_dEESB_NS0_8identityIvEEEESG_SJ_SK_mSL_SN_bEUlT_E_NS1_11comp_targetILNS1_3genE10ELNS1_11target_archE1200ELNS1_3gpuE4ELNS1_3repE0EEENS1_30default_config_static_selectorELNS0_4arch9wavefront6targetE0EEEvT1_: ; @_ZN7rocprim17ROCPRIM_400000_NS6detail17trampoline_kernelINS0_14default_configENS1_25transform_config_selectorIdLb0EEEZNS1_14transform_implILb0ES3_S5_NS0_18transform_iteratorINS0_17counting_iteratorImlEEZNS1_24adjacent_difference_implIS3_Lb1ELb0EPdSB_N6thrust23THRUST_200600_302600_NS4plusIdEEEE10hipError_tPvRmT2_T3_mT4_P12ihipStream_tbEUlmE_dEESB_NS0_8identityIvEEEESG_SJ_SK_mSL_SN_bEUlT_E_NS1_11comp_targetILNS1_3genE10ELNS1_11target_archE1200ELNS1_3gpuE4ELNS1_3repE0EEENS1_30default_config_static_selectorELNS0_4arch9wavefront6targetE0EEEvT1_
; %bb.0:
	.section	.rodata,"a",@progbits
	.p2align	6, 0x0
	.amdhsa_kernel _ZN7rocprim17ROCPRIM_400000_NS6detail17trampoline_kernelINS0_14default_configENS1_25transform_config_selectorIdLb0EEEZNS1_14transform_implILb0ES3_S5_NS0_18transform_iteratorINS0_17counting_iteratorImlEEZNS1_24adjacent_difference_implIS3_Lb1ELb0EPdSB_N6thrust23THRUST_200600_302600_NS4plusIdEEEE10hipError_tPvRmT2_T3_mT4_P12ihipStream_tbEUlmE_dEESB_NS0_8identityIvEEEESG_SJ_SK_mSL_SN_bEUlT_E_NS1_11comp_targetILNS1_3genE10ELNS1_11target_archE1200ELNS1_3gpuE4ELNS1_3repE0EEENS1_30default_config_static_selectorELNS0_4arch9wavefront6targetE0EEEvT1_
		.amdhsa_group_segment_fixed_size 0
		.amdhsa_private_segment_fixed_size 0
		.amdhsa_kernarg_size 56
		.amdhsa_user_sgpr_count 15
		.amdhsa_user_sgpr_dispatch_ptr 0
		.amdhsa_user_sgpr_queue_ptr 0
		.amdhsa_user_sgpr_kernarg_segment_ptr 1
		.amdhsa_user_sgpr_dispatch_id 0
		.amdhsa_user_sgpr_private_segment_size 0
		.amdhsa_wavefront_size32 1
		.amdhsa_uses_dynamic_stack 0
		.amdhsa_enable_private_segment 0
		.amdhsa_system_sgpr_workgroup_id_x 1
		.amdhsa_system_sgpr_workgroup_id_y 0
		.amdhsa_system_sgpr_workgroup_id_z 0
		.amdhsa_system_sgpr_workgroup_info 0
		.amdhsa_system_vgpr_workitem_id 0
		.amdhsa_next_free_vgpr 1
		.amdhsa_next_free_sgpr 1
		.amdhsa_reserve_vcc 0
		.amdhsa_float_round_mode_32 0
		.amdhsa_float_round_mode_16_64 0
		.amdhsa_float_denorm_mode_32 3
		.amdhsa_float_denorm_mode_16_64 3
		.amdhsa_dx10_clamp 1
		.amdhsa_ieee_mode 1
		.amdhsa_fp16_overflow 0
		.amdhsa_workgroup_processor_mode 1
		.amdhsa_memory_ordered 1
		.amdhsa_forward_progress 0
		.amdhsa_shared_vgpr_count 0
		.amdhsa_exception_fp_ieee_invalid_op 0
		.amdhsa_exception_fp_denorm_src 0
		.amdhsa_exception_fp_ieee_div_zero 0
		.amdhsa_exception_fp_ieee_overflow 0
		.amdhsa_exception_fp_ieee_underflow 0
		.amdhsa_exception_fp_ieee_inexact 0
		.amdhsa_exception_int_div_zero 0
	.end_amdhsa_kernel
	.section	.text._ZN7rocprim17ROCPRIM_400000_NS6detail17trampoline_kernelINS0_14default_configENS1_25transform_config_selectorIdLb0EEEZNS1_14transform_implILb0ES3_S5_NS0_18transform_iteratorINS0_17counting_iteratorImlEEZNS1_24adjacent_difference_implIS3_Lb1ELb0EPdSB_N6thrust23THRUST_200600_302600_NS4plusIdEEEE10hipError_tPvRmT2_T3_mT4_P12ihipStream_tbEUlmE_dEESB_NS0_8identityIvEEEESG_SJ_SK_mSL_SN_bEUlT_E_NS1_11comp_targetILNS1_3genE10ELNS1_11target_archE1200ELNS1_3gpuE4ELNS1_3repE0EEENS1_30default_config_static_selectorELNS0_4arch9wavefront6targetE0EEEvT1_,"axG",@progbits,_ZN7rocprim17ROCPRIM_400000_NS6detail17trampoline_kernelINS0_14default_configENS1_25transform_config_selectorIdLb0EEEZNS1_14transform_implILb0ES3_S5_NS0_18transform_iteratorINS0_17counting_iteratorImlEEZNS1_24adjacent_difference_implIS3_Lb1ELb0EPdSB_N6thrust23THRUST_200600_302600_NS4plusIdEEEE10hipError_tPvRmT2_T3_mT4_P12ihipStream_tbEUlmE_dEESB_NS0_8identityIvEEEESG_SJ_SK_mSL_SN_bEUlT_E_NS1_11comp_targetILNS1_3genE10ELNS1_11target_archE1200ELNS1_3gpuE4ELNS1_3repE0EEENS1_30default_config_static_selectorELNS0_4arch9wavefront6targetE0EEEvT1_,comdat
.Lfunc_end41:
	.size	_ZN7rocprim17ROCPRIM_400000_NS6detail17trampoline_kernelINS0_14default_configENS1_25transform_config_selectorIdLb0EEEZNS1_14transform_implILb0ES3_S5_NS0_18transform_iteratorINS0_17counting_iteratorImlEEZNS1_24adjacent_difference_implIS3_Lb1ELb0EPdSB_N6thrust23THRUST_200600_302600_NS4plusIdEEEE10hipError_tPvRmT2_T3_mT4_P12ihipStream_tbEUlmE_dEESB_NS0_8identityIvEEEESG_SJ_SK_mSL_SN_bEUlT_E_NS1_11comp_targetILNS1_3genE10ELNS1_11target_archE1200ELNS1_3gpuE4ELNS1_3repE0EEENS1_30default_config_static_selectorELNS0_4arch9wavefront6targetE0EEEvT1_, .Lfunc_end41-_ZN7rocprim17ROCPRIM_400000_NS6detail17trampoline_kernelINS0_14default_configENS1_25transform_config_selectorIdLb0EEEZNS1_14transform_implILb0ES3_S5_NS0_18transform_iteratorINS0_17counting_iteratorImlEEZNS1_24adjacent_difference_implIS3_Lb1ELb0EPdSB_N6thrust23THRUST_200600_302600_NS4plusIdEEEE10hipError_tPvRmT2_T3_mT4_P12ihipStream_tbEUlmE_dEESB_NS0_8identityIvEEEESG_SJ_SK_mSL_SN_bEUlT_E_NS1_11comp_targetILNS1_3genE10ELNS1_11target_archE1200ELNS1_3gpuE4ELNS1_3repE0EEENS1_30default_config_static_selectorELNS0_4arch9wavefront6targetE0EEEvT1_
                                        ; -- End function
	.section	.AMDGPU.csdata,"",@progbits
; Kernel info:
; codeLenInByte = 0
; NumSgprs: 0
; NumVgprs: 0
; ScratchSize: 0
; MemoryBound: 0
; FloatMode: 240
; IeeeMode: 1
; LDSByteSize: 0 bytes/workgroup (compile time only)
; SGPRBlocks: 0
; VGPRBlocks: 0
; NumSGPRsForWavesPerEU: 1
; NumVGPRsForWavesPerEU: 1
; Occupancy: 16
; WaveLimiterHint : 0
; COMPUTE_PGM_RSRC2:SCRATCH_EN: 0
; COMPUTE_PGM_RSRC2:USER_SGPR: 15
; COMPUTE_PGM_RSRC2:TRAP_HANDLER: 0
; COMPUTE_PGM_RSRC2:TGID_X_EN: 1
; COMPUTE_PGM_RSRC2:TGID_Y_EN: 0
; COMPUTE_PGM_RSRC2:TGID_Z_EN: 0
; COMPUTE_PGM_RSRC2:TIDIG_COMP_CNT: 0
	.section	.text._ZN7rocprim17ROCPRIM_400000_NS6detail17trampoline_kernelINS0_14default_configENS1_25transform_config_selectorIdLb0EEEZNS1_14transform_implILb0ES3_S5_NS0_18transform_iteratorINS0_17counting_iteratorImlEEZNS1_24adjacent_difference_implIS3_Lb1ELb0EPdSB_N6thrust23THRUST_200600_302600_NS4plusIdEEEE10hipError_tPvRmT2_T3_mT4_P12ihipStream_tbEUlmE_dEESB_NS0_8identityIvEEEESG_SJ_SK_mSL_SN_bEUlT_E_NS1_11comp_targetILNS1_3genE9ELNS1_11target_archE1100ELNS1_3gpuE3ELNS1_3repE0EEENS1_30default_config_static_selectorELNS0_4arch9wavefront6targetE0EEEvT1_,"axG",@progbits,_ZN7rocprim17ROCPRIM_400000_NS6detail17trampoline_kernelINS0_14default_configENS1_25transform_config_selectorIdLb0EEEZNS1_14transform_implILb0ES3_S5_NS0_18transform_iteratorINS0_17counting_iteratorImlEEZNS1_24adjacent_difference_implIS3_Lb1ELb0EPdSB_N6thrust23THRUST_200600_302600_NS4plusIdEEEE10hipError_tPvRmT2_T3_mT4_P12ihipStream_tbEUlmE_dEESB_NS0_8identityIvEEEESG_SJ_SK_mSL_SN_bEUlT_E_NS1_11comp_targetILNS1_3genE9ELNS1_11target_archE1100ELNS1_3gpuE3ELNS1_3repE0EEENS1_30default_config_static_selectorELNS0_4arch9wavefront6targetE0EEEvT1_,comdat
	.protected	_ZN7rocprim17ROCPRIM_400000_NS6detail17trampoline_kernelINS0_14default_configENS1_25transform_config_selectorIdLb0EEEZNS1_14transform_implILb0ES3_S5_NS0_18transform_iteratorINS0_17counting_iteratorImlEEZNS1_24adjacent_difference_implIS3_Lb1ELb0EPdSB_N6thrust23THRUST_200600_302600_NS4plusIdEEEE10hipError_tPvRmT2_T3_mT4_P12ihipStream_tbEUlmE_dEESB_NS0_8identityIvEEEESG_SJ_SK_mSL_SN_bEUlT_E_NS1_11comp_targetILNS1_3genE9ELNS1_11target_archE1100ELNS1_3gpuE3ELNS1_3repE0EEENS1_30default_config_static_selectorELNS0_4arch9wavefront6targetE0EEEvT1_ ; -- Begin function _ZN7rocprim17ROCPRIM_400000_NS6detail17trampoline_kernelINS0_14default_configENS1_25transform_config_selectorIdLb0EEEZNS1_14transform_implILb0ES3_S5_NS0_18transform_iteratorINS0_17counting_iteratorImlEEZNS1_24adjacent_difference_implIS3_Lb1ELb0EPdSB_N6thrust23THRUST_200600_302600_NS4plusIdEEEE10hipError_tPvRmT2_T3_mT4_P12ihipStream_tbEUlmE_dEESB_NS0_8identityIvEEEESG_SJ_SK_mSL_SN_bEUlT_E_NS1_11comp_targetILNS1_3genE9ELNS1_11target_archE1100ELNS1_3gpuE3ELNS1_3repE0EEENS1_30default_config_static_selectorELNS0_4arch9wavefront6targetE0EEEvT1_
	.globl	_ZN7rocprim17ROCPRIM_400000_NS6detail17trampoline_kernelINS0_14default_configENS1_25transform_config_selectorIdLb0EEEZNS1_14transform_implILb0ES3_S5_NS0_18transform_iteratorINS0_17counting_iteratorImlEEZNS1_24adjacent_difference_implIS3_Lb1ELb0EPdSB_N6thrust23THRUST_200600_302600_NS4plusIdEEEE10hipError_tPvRmT2_T3_mT4_P12ihipStream_tbEUlmE_dEESB_NS0_8identityIvEEEESG_SJ_SK_mSL_SN_bEUlT_E_NS1_11comp_targetILNS1_3genE9ELNS1_11target_archE1100ELNS1_3gpuE3ELNS1_3repE0EEENS1_30default_config_static_selectorELNS0_4arch9wavefront6targetE0EEEvT1_
	.p2align	8
	.type	_ZN7rocprim17ROCPRIM_400000_NS6detail17trampoline_kernelINS0_14default_configENS1_25transform_config_selectorIdLb0EEEZNS1_14transform_implILb0ES3_S5_NS0_18transform_iteratorINS0_17counting_iteratorImlEEZNS1_24adjacent_difference_implIS3_Lb1ELb0EPdSB_N6thrust23THRUST_200600_302600_NS4plusIdEEEE10hipError_tPvRmT2_T3_mT4_P12ihipStream_tbEUlmE_dEESB_NS0_8identityIvEEEESG_SJ_SK_mSL_SN_bEUlT_E_NS1_11comp_targetILNS1_3genE9ELNS1_11target_archE1100ELNS1_3gpuE3ELNS1_3repE0EEENS1_30default_config_static_selectorELNS0_4arch9wavefront6targetE0EEEvT1_,@function
_ZN7rocprim17ROCPRIM_400000_NS6detail17trampoline_kernelINS0_14default_configENS1_25transform_config_selectorIdLb0EEEZNS1_14transform_implILb0ES3_S5_NS0_18transform_iteratorINS0_17counting_iteratorImlEEZNS1_24adjacent_difference_implIS3_Lb1ELb0EPdSB_N6thrust23THRUST_200600_302600_NS4plusIdEEEE10hipError_tPvRmT2_T3_mT4_P12ihipStream_tbEUlmE_dEESB_NS0_8identityIvEEEESG_SJ_SK_mSL_SN_bEUlT_E_NS1_11comp_targetILNS1_3genE9ELNS1_11target_archE1100ELNS1_3gpuE3ELNS1_3repE0EEENS1_30default_config_static_selectorELNS0_4arch9wavefront6targetE0EEEvT1_: ; @_ZN7rocprim17ROCPRIM_400000_NS6detail17trampoline_kernelINS0_14default_configENS1_25transform_config_selectorIdLb0EEEZNS1_14transform_implILb0ES3_S5_NS0_18transform_iteratorINS0_17counting_iteratorImlEEZNS1_24adjacent_difference_implIS3_Lb1ELb0EPdSB_N6thrust23THRUST_200600_302600_NS4plusIdEEEE10hipError_tPvRmT2_T3_mT4_P12ihipStream_tbEUlmE_dEESB_NS0_8identityIvEEEESG_SJ_SK_mSL_SN_bEUlT_E_NS1_11comp_targetILNS1_3genE9ELNS1_11target_archE1100ELNS1_3gpuE3ELNS1_3repE0EEENS1_30default_config_static_selectorELNS0_4arch9wavefront6targetE0EEEvT1_
; %bb.0:
	s_clause 0x4
	s_load_b128 s[4:7], s[0:1], 0x0
	s_load_b64 s[2:3], s[0:1], 0x18
	s_load_b64 s[12:13], s[0:1], 0x28
	s_load_b32 s11, s[0:1], 0x38
	s_load_b32 s8, s[0:1], 0x10
	s_waitcnt lgkmcnt(0)
	s_add_u32 s9, s2, s4
	s_addc_u32 s10, s3, s5
	s_lshl_b64 s[2:3], s[2:3], 3
	s_delay_alu instid0(SALU_CYCLE_1)
	s_add_u32 s4, s12, s2
	s_addc_u32 s5, s13, s3
	s_add_i32 s11, s11, -1
	s_lshl_b32 s2, s15, 9
	s_mov_b32 s3, 0
	s_cmp_lg_u32 s15, s11
	s_mov_b32 s11, -1
	s_cbranch_scc0 .LBB42_2
; %bb.1:
	s_add_u32 s11, s9, s2
	s_addc_u32 s12, s10, 0
	v_add_co_u32 v3, s11, s11, v0
	s_delay_alu instid0(VALU_DEP_1) | instskip(SKIP_1) | instid1(VALU_DEP_2)
	v_add_co_ci_u32_e64 v5, null, s12, 0, s11
	s_lshl_b64 s[12:13], s[2:3], 3
	v_mad_u64_u32 v[1:2], null, v3, s8, 0
	s_add_u32 s12, s4, s12
	s_addc_u32 s13, s5, s13
	s_mov_b32 s11, s3
	s_delay_alu instid0(VALU_DEP_1) | instskip(NEXT) | instid1(VALU_DEP_1)
	v_mad_u64_u32 v[3:4], null, v5, s8, v[2:3]
	v_dual_mov_b32 v2, v3 :: v_dual_lshlrev_b32 v3, 3, v0
	s_delay_alu instid0(VALU_DEP_1) | instskip(NEXT) | instid1(VALU_DEP_1)
	v_lshlrev_b64 v[1:2], 3, v[1:2]
	v_add_co_u32 v1, vcc_lo, s6, v1
	s_delay_alu instid0(VALU_DEP_2)
	v_add_co_ci_u32_e32 v2, vcc_lo, s7, v2, vcc_lo
	global_load_b64 v[1:2], v[1:2], off
	s_waitcnt vmcnt(0)
	global_store_b64 v3, v[1:2], s[12:13]
.LBB42_2:
	s_and_not1_b32 vcc_lo, exec_lo, s11
	s_cbranch_vccnz .LBB42_7
; %bb.3:
	s_load_b32 s0, s[0:1], 0x20
                                        ; implicit-def: $vgpr1_vgpr2
	s_waitcnt lgkmcnt(0)
	s_sub_i32 s0, s0, s2
	s_delay_alu instid0(SALU_CYCLE_1)
	v_cmp_gt_u32_e32 vcc_lo, s0, v0
	s_and_saveexec_b32 s1, vcc_lo
	s_cbranch_execz .LBB42_5
; %bb.4:
	s_add_u32 s0, s9, s2
	s_addc_u32 s9, s10, 0
	v_add_co_u32 v3, s0, s0, v0
	s_delay_alu instid0(VALU_DEP_1) | instskip(NEXT) | instid1(VALU_DEP_2)
	v_add_co_ci_u32_e64 v5, null, s9, 0, s0
	v_mad_u64_u32 v[1:2], null, v3, s8, 0
	s_delay_alu instid0(VALU_DEP_1) | instskip(NEXT) | instid1(VALU_DEP_1)
	v_mad_u64_u32 v[3:4], null, v5, s8, v[2:3]
	v_mov_b32_e32 v2, v3
	s_delay_alu instid0(VALU_DEP_1) | instskip(NEXT) | instid1(VALU_DEP_1)
	v_lshlrev_b64 v[1:2], 3, v[1:2]
	v_add_co_u32 v1, s0, s6, v1
	s_delay_alu instid0(VALU_DEP_1)
	v_add_co_ci_u32_e64 v2, s0, s7, v2, s0
	global_load_b64 v[1:2], v[1:2], off
.LBB42_5:
	s_or_b32 exec_lo, exec_lo, s1
	s_and_saveexec_b32 s0, vcc_lo
	s_cbranch_execz .LBB42_7
; %bb.6:
	s_lshl_b64 s[0:1], s[2:3], 3
	v_lshlrev_b32_e32 v0, 3, v0
	s_add_u32 s0, s4, s0
	s_addc_u32 s1, s5, s1
	s_waitcnt vmcnt(0)
	global_store_b64 v0, v[1:2], s[0:1]
.LBB42_7:
	s_nop 0
	s_sendmsg sendmsg(MSG_DEALLOC_VGPRS)
	s_endpgm
	.section	.rodata,"a",@progbits
	.p2align	6, 0x0
	.amdhsa_kernel _ZN7rocprim17ROCPRIM_400000_NS6detail17trampoline_kernelINS0_14default_configENS1_25transform_config_selectorIdLb0EEEZNS1_14transform_implILb0ES3_S5_NS0_18transform_iteratorINS0_17counting_iteratorImlEEZNS1_24adjacent_difference_implIS3_Lb1ELb0EPdSB_N6thrust23THRUST_200600_302600_NS4plusIdEEEE10hipError_tPvRmT2_T3_mT4_P12ihipStream_tbEUlmE_dEESB_NS0_8identityIvEEEESG_SJ_SK_mSL_SN_bEUlT_E_NS1_11comp_targetILNS1_3genE9ELNS1_11target_archE1100ELNS1_3gpuE3ELNS1_3repE0EEENS1_30default_config_static_selectorELNS0_4arch9wavefront6targetE0EEEvT1_
		.amdhsa_group_segment_fixed_size 0
		.amdhsa_private_segment_fixed_size 0
		.amdhsa_kernarg_size 312
		.amdhsa_user_sgpr_count 15
		.amdhsa_user_sgpr_dispatch_ptr 0
		.amdhsa_user_sgpr_queue_ptr 0
		.amdhsa_user_sgpr_kernarg_segment_ptr 1
		.amdhsa_user_sgpr_dispatch_id 0
		.amdhsa_user_sgpr_private_segment_size 0
		.amdhsa_wavefront_size32 1
		.amdhsa_uses_dynamic_stack 0
		.amdhsa_enable_private_segment 0
		.amdhsa_system_sgpr_workgroup_id_x 1
		.amdhsa_system_sgpr_workgroup_id_y 0
		.amdhsa_system_sgpr_workgroup_id_z 0
		.amdhsa_system_sgpr_workgroup_info 0
		.amdhsa_system_vgpr_workitem_id 0
		.amdhsa_next_free_vgpr 6
		.amdhsa_next_free_sgpr 16
		.amdhsa_reserve_vcc 1
		.amdhsa_float_round_mode_32 0
		.amdhsa_float_round_mode_16_64 0
		.amdhsa_float_denorm_mode_32 3
		.amdhsa_float_denorm_mode_16_64 3
		.amdhsa_dx10_clamp 1
		.amdhsa_ieee_mode 1
		.amdhsa_fp16_overflow 0
		.amdhsa_workgroup_processor_mode 1
		.amdhsa_memory_ordered 1
		.amdhsa_forward_progress 0
		.amdhsa_shared_vgpr_count 0
		.amdhsa_exception_fp_ieee_invalid_op 0
		.amdhsa_exception_fp_denorm_src 0
		.amdhsa_exception_fp_ieee_div_zero 0
		.amdhsa_exception_fp_ieee_overflow 0
		.amdhsa_exception_fp_ieee_underflow 0
		.amdhsa_exception_fp_ieee_inexact 0
		.amdhsa_exception_int_div_zero 0
	.end_amdhsa_kernel
	.section	.text._ZN7rocprim17ROCPRIM_400000_NS6detail17trampoline_kernelINS0_14default_configENS1_25transform_config_selectorIdLb0EEEZNS1_14transform_implILb0ES3_S5_NS0_18transform_iteratorINS0_17counting_iteratorImlEEZNS1_24adjacent_difference_implIS3_Lb1ELb0EPdSB_N6thrust23THRUST_200600_302600_NS4plusIdEEEE10hipError_tPvRmT2_T3_mT4_P12ihipStream_tbEUlmE_dEESB_NS0_8identityIvEEEESG_SJ_SK_mSL_SN_bEUlT_E_NS1_11comp_targetILNS1_3genE9ELNS1_11target_archE1100ELNS1_3gpuE3ELNS1_3repE0EEENS1_30default_config_static_selectorELNS0_4arch9wavefront6targetE0EEEvT1_,"axG",@progbits,_ZN7rocprim17ROCPRIM_400000_NS6detail17trampoline_kernelINS0_14default_configENS1_25transform_config_selectorIdLb0EEEZNS1_14transform_implILb0ES3_S5_NS0_18transform_iteratorINS0_17counting_iteratorImlEEZNS1_24adjacent_difference_implIS3_Lb1ELb0EPdSB_N6thrust23THRUST_200600_302600_NS4plusIdEEEE10hipError_tPvRmT2_T3_mT4_P12ihipStream_tbEUlmE_dEESB_NS0_8identityIvEEEESG_SJ_SK_mSL_SN_bEUlT_E_NS1_11comp_targetILNS1_3genE9ELNS1_11target_archE1100ELNS1_3gpuE3ELNS1_3repE0EEENS1_30default_config_static_selectorELNS0_4arch9wavefront6targetE0EEEvT1_,comdat
.Lfunc_end42:
	.size	_ZN7rocprim17ROCPRIM_400000_NS6detail17trampoline_kernelINS0_14default_configENS1_25transform_config_selectorIdLb0EEEZNS1_14transform_implILb0ES3_S5_NS0_18transform_iteratorINS0_17counting_iteratorImlEEZNS1_24adjacent_difference_implIS3_Lb1ELb0EPdSB_N6thrust23THRUST_200600_302600_NS4plusIdEEEE10hipError_tPvRmT2_T3_mT4_P12ihipStream_tbEUlmE_dEESB_NS0_8identityIvEEEESG_SJ_SK_mSL_SN_bEUlT_E_NS1_11comp_targetILNS1_3genE9ELNS1_11target_archE1100ELNS1_3gpuE3ELNS1_3repE0EEENS1_30default_config_static_selectorELNS0_4arch9wavefront6targetE0EEEvT1_, .Lfunc_end42-_ZN7rocprim17ROCPRIM_400000_NS6detail17trampoline_kernelINS0_14default_configENS1_25transform_config_selectorIdLb0EEEZNS1_14transform_implILb0ES3_S5_NS0_18transform_iteratorINS0_17counting_iteratorImlEEZNS1_24adjacent_difference_implIS3_Lb1ELb0EPdSB_N6thrust23THRUST_200600_302600_NS4plusIdEEEE10hipError_tPvRmT2_T3_mT4_P12ihipStream_tbEUlmE_dEESB_NS0_8identityIvEEEESG_SJ_SK_mSL_SN_bEUlT_E_NS1_11comp_targetILNS1_3genE9ELNS1_11target_archE1100ELNS1_3gpuE3ELNS1_3repE0EEENS1_30default_config_static_selectorELNS0_4arch9wavefront6targetE0EEEvT1_
                                        ; -- End function
	.section	.AMDGPU.csdata,"",@progbits
; Kernel info:
; codeLenInByte = 400
; NumSgprs: 18
; NumVgprs: 6
; ScratchSize: 0
; MemoryBound: 0
; FloatMode: 240
; IeeeMode: 1
; LDSByteSize: 0 bytes/workgroup (compile time only)
; SGPRBlocks: 2
; VGPRBlocks: 0
; NumSGPRsForWavesPerEU: 18
; NumVGPRsForWavesPerEU: 6
; Occupancy: 16
; WaveLimiterHint : 0
; COMPUTE_PGM_RSRC2:SCRATCH_EN: 0
; COMPUTE_PGM_RSRC2:USER_SGPR: 15
; COMPUTE_PGM_RSRC2:TRAP_HANDLER: 0
; COMPUTE_PGM_RSRC2:TGID_X_EN: 1
; COMPUTE_PGM_RSRC2:TGID_Y_EN: 0
; COMPUTE_PGM_RSRC2:TGID_Z_EN: 0
; COMPUTE_PGM_RSRC2:TIDIG_COMP_CNT: 0
	.section	.text._ZN7rocprim17ROCPRIM_400000_NS6detail17trampoline_kernelINS0_14default_configENS1_25transform_config_selectorIdLb0EEEZNS1_14transform_implILb0ES3_S5_NS0_18transform_iteratorINS0_17counting_iteratorImlEEZNS1_24adjacent_difference_implIS3_Lb1ELb0EPdSB_N6thrust23THRUST_200600_302600_NS4plusIdEEEE10hipError_tPvRmT2_T3_mT4_P12ihipStream_tbEUlmE_dEESB_NS0_8identityIvEEEESG_SJ_SK_mSL_SN_bEUlT_E_NS1_11comp_targetILNS1_3genE8ELNS1_11target_archE1030ELNS1_3gpuE2ELNS1_3repE0EEENS1_30default_config_static_selectorELNS0_4arch9wavefront6targetE0EEEvT1_,"axG",@progbits,_ZN7rocprim17ROCPRIM_400000_NS6detail17trampoline_kernelINS0_14default_configENS1_25transform_config_selectorIdLb0EEEZNS1_14transform_implILb0ES3_S5_NS0_18transform_iteratorINS0_17counting_iteratorImlEEZNS1_24adjacent_difference_implIS3_Lb1ELb0EPdSB_N6thrust23THRUST_200600_302600_NS4plusIdEEEE10hipError_tPvRmT2_T3_mT4_P12ihipStream_tbEUlmE_dEESB_NS0_8identityIvEEEESG_SJ_SK_mSL_SN_bEUlT_E_NS1_11comp_targetILNS1_3genE8ELNS1_11target_archE1030ELNS1_3gpuE2ELNS1_3repE0EEENS1_30default_config_static_selectorELNS0_4arch9wavefront6targetE0EEEvT1_,comdat
	.protected	_ZN7rocprim17ROCPRIM_400000_NS6detail17trampoline_kernelINS0_14default_configENS1_25transform_config_selectorIdLb0EEEZNS1_14transform_implILb0ES3_S5_NS0_18transform_iteratorINS0_17counting_iteratorImlEEZNS1_24adjacent_difference_implIS3_Lb1ELb0EPdSB_N6thrust23THRUST_200600_302600_NS4plusIdEEEE10hipError_tPvRmT2_T3_mT4_P12ihipStream_tbEUlmE_dEESB_NS0_8identityIvEEEESG_SJ_SK_mSL_SN_bEUlT_E_NS1_11comp_targetILNS1_3genE8ELNS1_11target_archE1030ELNS1_3gpuE2ELNS1_3repE0EEENS1_30default_config_static_selectorELNS0_4arch9wavefront6targetE0EEEvT1_ ; -- Begin function _ZN7rocprim17ROCPRIM_400000_NS6detail17trampoline_kernelINS0_14default_configENS1_25transform_config_selectorIdLb0EEEZNS1_14transform_implILb0ES3_S5_NS0_18transform_iteratorINS0_17counting_iteratorImlEEZNS1_24adjacent_difference_implIS3_Lb1ELb0EPdSB_N6thrust23THRUST_200600_302600_NS4plusIdEEEE10hipError_tPvRmT2_T3_mT4_P12ihipStream_tbEUlmE_dEESB_NS0_8identityIvEEEESG_SJ_SK_mSL_SN_bEUlT_E_NS1_11comp_targetILNS1_3genE8ELNS1_11target_archE1030ELNS1_3gpuE2ELNS1_3repE0EEENS1_30default_config_static_selectorELNS0_4arch9wavefront6targetE0EEEvT1_
	.globl	_ZN7rocprim17ROCPRIM_400000_NS6detail17trampoline_kernelINS0_14default_configENS1_25transform_config_selectorIdLb0EEEZNS1_14transform_implILb0ES3_S5_NS0_18transform_iteratorINS0_17counting_iteratorImlEEZNS1_24adjacent_difference_implIS3_Lb1ELb0EPdSB_N6thrust23THRUST_200600_302600_NS4plusIdEEEE10hipError_tPvRmT2_T3_mT4_P12ihipStream_tbEUlmE_dEESB_NS0_8identityIvEEEESG_SJ_SK_mSL_SN_bEUlT_E_NS1_11comp_targetILNS1_3genE8ELNS1_11target_archE1030ELNS1_3gpuE2ELNS1_3repE0EEENS1_30default_config_static_selectorELNS0_4arch9wavefront6targetE0EEEvT1_
	.p2align	8
	.type	_ZN7rocprim17ROCPRIM_400000_NS6detail17trampoline_kernelINS0_14default_configENS1_25transform_config_selectorIdLb0EEEZNS1_14transform_implILb0ES3_S5_NS0_18transform_iteratorINS0_17counting_iteratorImlEEZNS1_24adjacent_difference_implIS3_Lb1ELb0EPdSB_N6thrust23THRUST_200600_302600_NS4plusIdEEEE10hipError_tPvRmT2_T3_mT4_P12ihipStream_tbEUlmE_dEESB_NS0_8identityIvEEEESG_SJ_SK_mSL_SN_bEUlT_E_NS1_11comp_targetILNS1_3genE8ELNS1_11target_archE1030ELNS1_3gpuE2ELNS1_3repE0EEENS1_30default_config_static_selectorELNS0_4arch9wavefront6targetE0EEEvT1_,@function
_ZN7rocprim17ROCPRIM_400000_NS6detail17trampoline_kernelINS0_14default_configENS1_25transform_config_selectorIdLb0EEEZNS1_14transform_implILb0ES3_S5_NS0_18transform_iteratorINS0_17counting_iteratorImlEEZNS1_24adjacent_difference_implIS3_Lb1ELb0EPdSB_N6thrust23THRUST_200600_302600_NS4plusIdEEEE10hipError_tPvRmT2_T3_mT4_P12ihipStream_tbEUlmE_dEESB_NS0_8identityIvEEEESG_SJ_SK_mSL_SN_bEUlT_E_NS1_11comp_targetILNS1_3genE8ELNS1_11target_archE1030ELNS1_3gpuE2ELNS1_3repE0EEENS1_30default_config_static_selectorELNS0_4arch9wavefront6targetE0EEEvT1_: ; @_ZN7rocprim17ROCPRIM_400000_NS6detail17trampoline_kernelINS0_14default_configENS1_25transform_config_selectorIdLb0EEEZNS1_14transform_implILb0ES3_S5_NS0_18transform_iteratorINS0_17counting_iteratorImlEEZNS1_24adjacent_difference_implIS3_Lb1ELb0EPdSB_N6thrust23THRUST_200600_302600_NS4plusIdEEEE10hipError_tPvRmT2_T3_mT4_P12ihipStream_tbEUlmE_dEESB_NS0_8identityIvEEEESG_SJ_SK_mSL_SN_bEUlT_E_NS1_11comp_targetILNS1_3genE8ELNS1_11target_archE1030ELNS1_3gpuE2ELNS1_3repE0EEENS1_30default_config_static_selectorELNS0_4arch9wavefront6targetE0EEEvT1_
; %bb.0:
	.section	.rodata,"a",@progbits
	.p2align	6, 0x0
	.amdhsa_kernel _ZN7rocprim17ROCPRIM_400000_NS6detail17trampoline_kernelINS0_14default_configENS1_25transform_config_selectorIdLb0EEEZNS1_14transform_implILb0ES3_S5_NS0_18transform_iteratorINS0_17counting_iteratorImlEEZNS1_24adjacent_difference_implIS3_Lb1ELb0EPdSB_N6thrust23THRUST_200600_302600_NS4plusIdEEEE10hipError_tPvRmT2_T3_mT4_P12ihipStream_tbEUlmE_dEESB_NS0_8identityIvEEEESG_SJ_SK_mSL_SN_bEUlT_E_NS1_11comp_targetILNS1_3genE8ELNS1_11target_archE1030ELNS1_3gpuE2ELNS1_3repE0EEENS1_30default_config_static_selectorELNS0_4arch9wavefront6targetE0EEEvT1_
		.amdhsa_group_segment_fixed_size 0
		.amdhsa_private_segment_fixed_size 0
		.amdhsa_kernarg_size 56
		.amdhsa_user_sgpr_count 15
		.amdhsa_user_sgpr_dispatch_ptr 0
		.amdhsa_user_sgpr_queue_ptr 0
		.amdhsa_user_sgpr_kernarg_segment_ptr 1
		.amdhsa_user_sgpr_dispatch_id 0
		.amdhsa_user_sgpr_private_segment_size 0
		.amdhsa_wavefront_size32 1
		.amdhsa_uses_dynamic_stack 0
		.amdhsa_enable_private_segment 0
		.amdhsa_system_sgpr_workgroup_id_x 1
		.amdhsa_system_sgpr_workgroup_id_y 0
		.amdhsa_system_sgpr_workgroup_id_z 0
		.amdhsa_system_sgpr_workgroup_info 0
		.amdhsa_system_vgpr_workitem_id 0
		.amdhsa_next_free_vgpr 1
		.amdhsa_next_free_sgpr 1
		.amdhsa_reserve_vcc 0
		.amdhsa_float_round_mode_32 0
		.amdhsa_float_round_mode_16_64 0
		.amdhsa_float_denorm_mode_32 3
		.amdhsa_float_denorm_mode_16_64 3
		.amdhsa_dx10_clamp 1
		.amdhsa_ieee_mode 1
		.amdhsa_fp16_overflow 0
		.amdhsa_workgroup_processor_mode 1
		.amdhsa_memory_ordered 1
		.amdhsa_forward_progress 0
		.amdhsa_shared_vgpr_count 0
		.amdhsa_exception_fp_ieee_invalid_op 0
		.amdhsa_exception_fp_denorm_src 0
		.amdhsa_exception_fp_ieee_div_zero 0
		.amdhsa_exception_fp_ieee_overflow 0
		.amdhsa_exception_fp_ieee_underflow 0
		.amdhsa_exception_fp_ieee_inexact 0
		.amdhsa_exception_int_div_zero 0
	.end_amdhsa_kernel
	.section	.text._ZN7rocprim17ROCPRIM_400000_NS6detail17trampoline_kernelINS0_14default_configENS1_25transform_config_selectorIdLb0EEEZNS1_14transform_implILb0ES3_S5_NS0_18transform_iteratorINS0_17counting_iteratorImlEEZNS1_24adjacent_difference_implIS3_Lb1ELb0EPdSB_N6thrust23THRUST_200600_302600_NS4plusIdEEEE10hipError_tPvRmT2_T3_mT4_P12ihipStream_tbEUlmE_dEESB_NS0_8identityIvEEEESG_SJ_SK_mSL_SN_bEUlT_E_NS1_11comp_targetILNS1_3genE8ELNS1_11target_archE1030ELNS1_3gpuE2ELNS1_3repE0EEENS1_30default_config_static_selectorELNS0_4arch9wavefront6targetE0EEEvT1_,"axG",@progbits,_ZN7rocprim17ROCPRIM_400000_NS6detail17trampoline_kernelINS0_14default_configENS1_25transform_config_selectorIdLb0EEEZNS1_14transform_implILb0ES3_S5_NS0_18transform_iteratorINS0_17counting_iteratorImlEEZNS1_24adjacent_difference_implIS3_Lb1ELb0EPdSB_N6thrust23THRUST_200600_302600_NS4plusIdEEEE10hipError_tPvRmT2_T3_mT4_P12ihipStream_tbEUlmE_dEESB_NS0_8identityIvEEEESG_SJ_SK_mSL_SN_bEUlT_E_NS1_11comp_targetILNS1_3genE8ELNS1_11target_archE1030ELNS1_3gpuE2ELNS1_3repE0EEENS1_30default_config_static_selectorELNS0_4arch9wavefront6targetE0EEEvT1_,comdat
.Lfunc_end43:
	.size	_ZN7rocprim17ROCPRIM_400000_NS6detail17trampoline_kernelINS0_14default_configENS1_25transform_config_selectorIdLb0EEEZNS1_14transform_implILb0ES3_S5_NS0_18transform_iteratorINS0_17counting_iteratorImlEEZNS1_24adjacent_difference_implIS3_Lb1ELb0EPdSB_N6thrust23THRUST_200600_302600_NS4plusIdEEEE10hipError_tPvRmT2_T3_mT4_P12ihipStream_tbEUlmE_dEESB_NS0_8identityIvEEEESG_SJ_SK_mSL_SN_bEUlT_E_NS1_11comp_targetILNS1_3genE8ELNS1_11target_archE1030ELNS1_3gpuE2ELNS1_3repE0EEENS1_30default_config_static_selectorELNS0_4arch9wavefront6targetE0EEEvT1_, .Lfunc_end43-_ZN7rocprim17ROCPRIM_400000_NS6detail17trampoline_kernelINS0_14default_configENS1_25transform_config_selectorIdLb0EEEZNS1_14transform_implILb0ES3_S5_NS0_18transform_iteratorINS0_17counting_iteratorImlEEZNS1_24adjacent_difference_implIS3_Lb1ELb0EPdSB_N6thrust23THRUST_200600_302600_NS4plusIdEEEE10hipError_tPvRmT2_T3_mT4_P12ihipStream_tbEUlmE_dEESB_NS0_8identityIvEEEESG_SJ_SK_mSL_SN_bEUlT_E_NS1_11comp_targetILNS1_3genE8ELNS1_11target_archE1030ELNS1_3gpuE2ELNS1_3repE0EEENS1_30default_config_static_selectorELNS0_4arch9wavefront6targetE0EEEvT1_
                                        ; -- End function
	.section	.AMDGPU.csdata,"",@progbits
; Kernel info:
; codeLenInByte = 0
; NumSgprs: 0
; NumVgprs: 0
; ScratchSize: 0
; MemoryBound: 0
; FloatMode: 240
; IeeeMode: 1
; LDSByteSize: 0 bytes/workgroup (compile time only)
; SGPRBlocks: 0
; VGPRBlocks: 0
; NumSGPRsForWavesPerEU: 1
; NumVGPRsForWavesPerEU: 1
; Occupancy: 16
; WaveLimiterHint : 0
; COMPUTE_PGM_RSRC2:SCRATCH_EN: 0
; COMPUTE_PGM_RSRC2:USER_SGPR: 15
; COMPUTE_PGM_RSRC2:TRAP_HANDLER: 0
; COMPUTE_PGM_RSRC2:TGID_X_EN: 1
; COMPUTE_PGM_RSRC2:TGID_Y_EN: 0
; COMPUTE_PGM_RSRC2:TGID_Z_EN: 0
; COMPUTE_PGM_RSRC2:TIDIG_COMP_CNT: 0
	.section	.text._ZN7rocprim17ROCPRIM_400000_NS6detail17trampoline_kernelINS0_14default_configENS1_35adjacent_difference_config_selectorILb1EdEEZNS1_24adjacent_difference_implIS3_Lb1ELb0EPdS7_N6thrust23THRUST_200600_302600_NS4plusIdEEEE10hipError_tPvRmT2_T3_mT4_P12ihipStream_tbEUlT_E_NS1_11comp_targetILNS1_3genE0ELNS1_11target_archE4294967295ELNS1_3gpuE0ELNS1_3repE0EEENS1_30default_config_static_selectorELNS0_4arch9wavefront6targetE0EEEvT1_,"axG",@progbits,_ZN7rocprim17ROCPRIM_400000_NS6detail17trampoline_kernelINS0_14default_configENS1_35adjacent_difference_config_selectorILb1EdEEZNS1_24adjacent_difference_implIS3_Lb1ELb0EPdS7_N6thrust23THRUST_200600_302600_NS4plusIdEEEE10hipError_tPvRmT2_T3_mT4_P12ihipStream_tbEUlT_E_NS1_11comp_targetILNS1_3genE0ELNS1_11target_archE4294967295ELNS1_3gpuE0ELNS1_3repE0EEENS1_30default_config_static_selectorELNS0_4arch9wavefront6targetE0EEEvT1_,comdat
	.protected	_ZN7rocprim17ROCPRIM_400000_NS6detail17trampoline_kernelINS0_14default_configENS1_35adjacent_difference_config_selectorILb1EdEEZNS1_24adjacent_difference_implIS3_Lb1ELb0EPdS7_N6thrust23THRUST_200600_302600_NS4plusIdEEEE10hipError_tPvRmT2_T3_mT4_P12ihipStream_tbEUlT_E_NS1_11comp_targetILNS1_3genE0ELNS1_11target_archE4294967295ELNS1_3gpuE0ELNS1_3repE0EEENS1_30default_config_static_selectorELNS0_4arch9wavefront6targetE0EEEvT1_ ; -- Begin function _ZN7rocprim17ROCPRIM_400000_NS6detail17trampoline_kernelINS0_14default_configENS1_35adjacent_difference_config_selectorILb1EdEEZNS1_24adjacent_difference_implIS3_Lb1ELb0EPdS7_N6thrust23THRUST_200600_302600_NS4plusIdEEEE10hipError_tPvRmT2_T3_mT4_P12ihipStream_tbEUlT_E_NS1_11comp_targetILNS1_3genE0ELNS1_11target_archE4294967295ELNS1_3gpuE0ELNS1_3repE0EEENS1_30default_config_static_selectorELNS0_4arch9wavefront6targetE0EEEvT1_
	.globl	_ZN7rocprim17ROCPRIM_400000_NS6detail17trampoline_kernelINS0_14default_configENS1_35adjacent_difference_config_selectorILb1EdEEZNS1_24adjacent_difference_implIS3_Lb1ELb0EPdS7_N6thrust23THRUST_200600_302600_NS4plusIdEEEE10hipError_tPvRmT2_T3_mT4_P12ihipStream_tbEUlT_E_NS1_11comp_targetILNS1_3genE0ELNS1_11target_archE4294967295ELNS1_3gpuE0ELNS1_3repE0EEENS1_30default_config_static_selectorELNS0_4arch9wavefront6targetE0EEEvT1_
	.p2align	8
	.type	_ZN7rocprim17ROCPRIM_400000_NS6detail17trampoline_kernelINS0_14default_configENS1_35adjacent_difference_config_selectorILb1EdEEZNS1_24adjacent_difference_implIS3_Lb1ELb0EPdS7_N6thrust23THRUST_200600_302600_NS4plusIdEEEE10hipError_tPvRmT2_T3_mT4_P12ihipStream_tbEUlT_E_NS1_11comp_targetILNS1_3genE0ELNS1_11target_archE4294967295ELNS1_3gpuE0ELNS1_3repE0EEENS1_30default_config_static_selectorELNS0_4arch9wavefront6targetE0EEEvT1_,@function
_ZN7rocprim17ROCPRIM_400000_NS6detail17trampoline_kernelINS0_14default_configENS1_35adjacent_difference_config_selectorILb1EdEEZNS1_24adjacent_difference_implIS3_Lb1ELb0EPdS7_N6thrust23THRUST_200600_302600_NS4plusIdEEEE10hipError_tPvRmT2_T3_mT4_P12ihipStream_tbEUlT_E_NS1_11comp_targetILNS1_3genE0ELNS1_11target_archE4294967295ELNS1_3gpuE0ELNS1_3repE0EEENS1_30default_config_static_selectorELNS0_4arch9wavefront6targetE0EEEvT1_: ; @_ZN7rocprim17ROCPRIM_400000_NS6detail17trampoline_kernelINS0_14default_configENS1_35adjacent_difference_config_selectorILb1EdEEZNS1_24adjacent_difference_implIS3_Lb1ELb0EPdS7_N6thrust23THRUST_200600_302600_NS4plusIdEEEE10hipError_tPvRmT2_T3_mT4_P12ihipStream_tbEUlT_E_NS1_11comp_targetILNS1_3genE0ELNS1_11target_archE4294967295ELNS1_3gpuE0ELNS1_3repE0EEENS1_30default_config_static_selectorELNS0_4arch9wavefront6targetE0EEEvT1_
; %bb.0:
	.section	.rodata,"a",@progbits
	.p2align	6, 0x0
	.amdhsa_kernel _ZN7rocprim17ROCPRIM_400000_NS6detail17trampoline_kernelINS0_14default_configENS1_35adjacent_difference_config_selectorILb1EdEEZNS1_24adjacent_difference_implIS3_Lb1ELb0EPdS7_N6thrust23THRUST_200600_302600_NS4plusIdEEEE10hipError_tPvRmT2_T3_mT4_P12ihipStream_tbEUlT_E_NS1_11comp_targetILNS1_3genE0ELNS1_11target_archE4294967295ELNS1_3gpuE0ELNS1_3repE0EEENS1_30default_config_static_selectorELNS0_4arch9wavefront6targetE0EEEvT1_
		.amdhsa_group_segment_fixed_size 0
		.amdhsa_private_segment_fixed_size 0
		.amdhsa_kernarg_size 56
		.amdhsa_user_sgpr_count 15
		.amdhsa_user_sgpr_dispatch_ptr 0
		.amdhsa_user_sgpr_queue_ptr 0
		.amdhsa_user_sgpr_kernarg_segment_ptr 1
		.amdhsa_user_sgpr_dispatch_id 0
		.amdhsa_user_sgpr_private_segment_size 0
		.amdhsa_wavefront_size32 1
		.amdhsa_uses_dynamic_stack 0
		.amdhsa_enable_private_segment 0
		.amdhsa_system_sgpr_workgroup_id_x 1
		.amdhsa_system_sgpr_workgroup_id_y 0
		.amdhsa_system_sgpr_workgroup_id_z 0
		.amdhsa_system_sgpr_workgroup_info 0
		.amdhsa_system_vgpr_workitem_id 0
		.amdhsa_next_free_vgpr 1
		.amdhsa_next_free_sgpr 1
		.amdhsa_reserve_vcc 0
		.amdhsa_float_round_mode_32 0
		.amdhsa_float_round_mode_16_64 0
		.amdhsa_float_denorm_mode_32 3
		.amdhsa_float_denorm_mode_16_64 3
		.amdhsa_dx10_clamp 1
		.amdhsa_ieee_mode 1
		.amdhsa_fp16_overflow 0
		.amdhsa_workgroup_processor_mode 1
		.amdhsa_memory_ordered 1
		.amdhsa_forward_progress 0
		.amdhsa_shared_vgpr_count 0
		.amdhsa_exception_fp_ieee_invalid_op 0
		.amdhsa_exception_fp_denorm_src 0
		.amdhsa_exception_fp_ieee_div_zero 0
		.amdhsa_exception_fp_ieee_overflow 0
		.amdhsa_exception_fp_ieee_underflow 0
		.amdhsa_exception_fp_ieee_inexact 0
		.amdhsa_exception_int_div_zero 0
	.end_amdhsa_kernel
	.section	.text._ZN7rocprim17ROCPRIM_400000_NS6detail17trampoline_kernelINS0_14default_configENS1_35adjacent_difference_config_selectorILb1EdEEZNS1_24adjacent_difference_implIS3_Lb1ELb0EPdS7_N6thrust23THRUST_200600_302600_NS4plusIdEEEE10hipError_tPvRmT2_T3_mT4_P12ihipStream_tbEUlT_E_NS1_11comp_targetILNS1_3genE0ELNS1_11target_archE4294967295ELNS1_3gpuE0ELNS1_3repE0EEENS1_30default_config_static_selectorELNS0_4arch9wavefront6targetE0EEEvT1_,"axG",@progbits,_ZN7rocprim17ROCPRIM_400000_NS6detail17trampoline_kernelINS0_14default_configENS1_35adjacent_difference_config_selectorILb1EdEEZNS1_24adjacent_difference_implIS3_Lb1ELb0EPdS7_N6thrust23THRUST_200600_302600_NS4plusIdEEEE10hipError_tPvRmT2_T3_mT4_P12ihipStream_tbEUlT_E_NS1_11comp_targetILNS1_3genE0ELNS1_11target_archE4294967295ELNS1_3gpuE0ELNS1_3repE0EEENS1_30default_config_static_selectorELNS0_4arch9wavefront6targetE0EEEvT1_,comdat
.Lfunc_end44:
	.size	_ZN7rocprim17ROCPRIM_400000_NS6detail17trampoline_kernelINS0_14default_configENS1_35adjacent_difference_config_selectorILb1EdEEZNS1_24adjacent_difference_implIS3_Lb1ELb0EPdS7_N6thrust23THRUST_200600_302600_NS4plusIdEEEE10hipError_tPvRmT2_T3_mT4_P12ihipStream_tbEUlT_E_NS1_11comp_targetILNS1_3genE0ELNS1_11target_archE4294967295ELNS1_3gpuE0ELNS1_3repE0EEENS1_30default_config_static_selectorELNS0_4arch9wavefront6targetE0EEEvT1_, .Lfunc_end44-_ZN7rocprim17ROCPRIM_400000_NS6detail17trampoline_kernelINS0_14default_configENS1_35adjacent_difference_config_selectorILb1EdEEZNS1_24adjacent_difference_implIS3_Lb1ELb0EPdS7_N6thrust23THRUST_200600_302600_NS4plusIdEEEE10hipError_tPvRmT2_T3_mT4_P12ihipStream_tbEUlT_E_NS1_11comp_targetILNS1_3genE0ELNS1_11target_archE4294967295ELNS1_3gpuE0ELNS1_3repE0EEENS1_30default_config_static_selectorELNS0_4arch9wavefront6targetE0EEEvT1_
                                        ; -- End function
	.section	.AMDGPU.csdata,"",@progbits
; Kernel info:
; codeLenInByte = 0
; NumSgprs: 0
; NumVgprs: 0
; ScratchSize: 0
; MemoryBound: 0
; FloatMode: 240
; IeeeMode: 1
; LDSByteSize: 0 bytes/workgroup (compile time only)
; SGPRBlocks: 0
; VGPRBlocks: 0
; NumSGPRsForWavesPerEU: 1
; NumVGPRsForWavesPerEU: 1
; Occupancy: 16
; WaveLimiterHint : 0
; COMPUTE_PGM_RSRC2:SCRATCH_EN: 0
; COMPUTE_PGM_RSRC2:USER_SGPR: 15
; COMPUTE_PGM_RSRC2:TRAP_HANDLER: 0
; COMPUTE_PGM_RSRC2:TGID_X_EN: 1
; COMPUTE_PGM_RSRC2:TGID_Y_EN: 0
; COMPUTE_PGM_RSRC2:TGID_Z_EN: 0
; COMPUTE_PGM_RSRC2:TIDIG_COMP_CNT: 0
	.section	.text._ZN7rocprim17ROCPRIM_400000_NS6detail17trampoline_kernelINS0_14default_configENS1_35adjacent_difference_config_selectorILb1EdEEZNS1_24adjacent_difference_implIS3_Lb1ELb0EPdS7_N6thrust23THRUST_200600_302600_NS4plusIdEEEE10hipError_tPvRmT2_T3_mT4_P12ihipStream_tbEUlT_E_NS1_11comp_targetILNS1_3genE10ELNS1_11target_archE1201ELNS1_3gpuE5ELNS1_3repE0EEENS1_30default_config_static_selectorELNS0_4arch9wavefront6targetE0EEEvT1_,"axG",@progbits,_ZN7rocprim17ROCPRIM_400000_NS6detail17trampoline_kernelINS0_14default_configENS1_35adjacent_difference_config_selectorILb1EdEEZNS1_24adjacent_difference_implIS3_Lb1ELb0EPdS7_N6thrust23THRUST_200600_302600_NS4plusIdEEEE10hipError_tPvRmT2_T3_mT4_P12ihipStream_tbEUlT_E_NS1_11comp_targetILNS1_3genE10ELNS1_11target_archE1201ELNS1_3gpuE5ELNS1_3repE0EEENS1_30default_config_static_selectorELNS0_4arch9wavefront6targetE0EEEvT1_,comdat
	.protected	_ZN7rocprim17ROCPRIM_400000_NS6detail17trampoline_kernelINS0_14default_configENS1_35adjacent_difference_config_selectorILb1EdEEZNS1_24adjacent_difference_implIS3_Lb1ELb0EPdS7_N6thrust23THRUST_200600_302600_NS4plusIdEEEE10hipError_tPvRmT2_T3_mT4_P12ihipStream_tbEUlT_E_NS1_11comp_targetILNS1_3genE10ELNS1_11target_archE1201ELNS1_3gpuE5ELNS1_3repE0EEENS1_30default_config_static_selectorELNS0_4arch9wavefront6targetE0EEEvT1_ ; -- Begin function _ZN7rocprim17ROCPRIM_400000_NS6detail17trampoline_kernelINS0_14default_configENS1_35adjacent_difference_config_selectorILb1EdEEZNS1_24adjacent_difference_implIS3_Lb1ELb0EPdS7_N6thrust23THRUST_200600_302600_NS4plusIdEEEE10hipError_tPvRmT2_T3_mT4_P12ihipStream_tbEUlT_E_NS1_11comp_targetILNS1_3genE10ELNS1_11target_archE1201ELNS1_3gpuE5ELNS1_3repE0EEENS1_30default_config_static_selectorELNS0_4arch9wavefront6targetE0EEEvT1_
	.globl	_ZN7rocprim17ROCPRIM_400000_NS6detail17trampoline_kernelINS0_14default_configENS1_35adjacent_difference_config_selectorILb1EdEEZNS1_24adjacent_difference_implIS3_Lb1ELb0EPdS7_N6thrust23THRUST_200600_302600_NS4plusIdEEEE10hipError_tPvRmT2_T3_mT4_P12ihipStream_tbEUlT_E_NS1_11comp_targetILNS1_3genE10ELNS1_11target_archE1201ELNS1_3gpuE5ELNS1_3repE0EEENS1_30default_config_static_selectorELNS0_4arch9wavefront6targetE0EEEvT1_
	.p2align	8
	.type	_ZN7rocprim17ROCPRIM_400000_NS6detail17trampoline_kernelINS0_14default_configENS1_35adjacent_difference_config_selectorILb1EdEEZNS1_24adjacent_difference_implIS3_Lb1ELb0EPdS7_N6thrust23THRUST_200600_302600_NS4plusIdEEEE10hipError_tPvRmT2_T3_mT4_P12ihipStream_tbEUlT_E_NS1_11comp_targetILNS1_3genE10ELNS1_11target_archE1201ELNS1_3gpuE5ELNS1_3repE0EEENS1_30default_config_static_selectorELNS0_4arch9wavefront6targetE0EEEvT1_,@function
_ZN7rocprim17ROCPRIM_400000_NS6detail17trampoline_kernelINS0_14default_configENS1_35adjacent_difference_config_selectorILb1EdEEZNS1_24adjacent_difference_implIS3_Lb1ELb0EPdS7_N6thrust23THRUST_200600_302600_NS4plusIdEEEE10hipError_tPvRmT2_T3_mT4_P12ihipStream_tbEUlT_E_NS1_11comp_targetILNS1_3genE10ELNS1_11target_archE1201ELNS1_3gpuE5ELNS1_3repE0EEENS1_30default_config_static_selectorELNS0_4arch9wavefront6targetE0EEEvT1_: ; @_ZN7rocprim17ROCPRIM_400000_NS6detail17trampoline_kernelINS0_14default_configENS1_35adjacent_difference_config_selectorILb1EdEEZNS1_24adjacent_difference_implIS3_Lb1ELb0EPdS7_N6thrust23THRUST_200600_302600_NS4plusIdEEEE10hipError_tPvRmT2_T3_mT4_P12ihipStream_tbEUlT_E_NS1_11comp_targetILNS1_3genE10ELNS1_11target_archE1201ELNS1_3gpuE5ELNS1_3repE0EEENS1_30default_config_static_selectorELNS0_4arch9wavefront6targetE0EEEvT1_
; %bb.0:
	.section	.rodata,"a",@progbits
	.p2align	6, 0x0
	.amdhsa_kernel _ZN7rocprim17ROCPRIM_400000_NS6detail17trampoline_kernelINS0_14default_configENS1_35adjacent_difference_config_selectorILb1EdEEZNS1_24adjacent_difference_implIS3_Lb1ELb0EPdS7_N6thrust23THRUST_200600_302600_NS4plusIdEEEE10hipError_tPvRmT2_T3_mT4_P12ihipStream_tbEUlT_E_NS1_11comp_targetILNS1_3genE10ELNS1_11target_archE1201ELNS1_3gpuE5ELNS1_3repE0EEENS1_30default_config_static_selectorELNS0_4arch9wavefront6targetE0EEEvT1_
		.amdhsa_group_segment_fixed_size 0
		.amdhsa_private_segment_fixed_size 0
		.amdhsa_kernarg_size 56
		.amdhsa_user_sgpr_count 15
		.amdhsa_user_sgpr_dispatch_ptr 0
		.amdhsa_user_sgpr_queue_ptr 0
		.amdhsa_user_sgpr_kernarg_segment_ptr 1
		.amdhsa_user_sgpr_dispatch_id 0
		.amdhsa_user_sgpr_private_segment_size 0
		.amdhsa_wavefront_size32 1
		.amdhsa_uses_dynamic_stack 0
		.amdhsa_enable_private_segment 0
		.amdhsa_system_sgpr_workgroup_id_x 1
		.amdhsa_system_sgpr_workgroup_id_y 0
		.amdhsa_system_sgpr_workgroup_id_z 0
		.amdhsa_system_sgpr_workgroup_info 0
		.amdhsa_system_vgpr_workitem_id 0
		.amdhsa_next_free_vgpr 1
		.amdhsa_next_free_sgpr 1
		.amdhsa_reserve_vcc 0
		.amdhsa_float_round_mode_32 0
		.amdhsa_float_round_mode_16_64 0
		.amdhsa_float_denorm_mode_32 3
		.amdhsa_float_denorm_mode_16_64 3
		.amdhsa_dx10_clamp 1
		.amdhsa_ieee_mode 1
		.amdhsa_fp16_overflow 0
		.amdhsa_workgroup_processor_mode 1
		.amdhsa_memory_ordered 1
		.amdhsa_forward_progress 0
		.amdhsa_shared_vgpr_count 0
		.amdhsa_exception_fp_ieee_invalid_op 0
		.amdhsa_exception_fp_denorm_src 0
		.amdhsa_exception_fp_ieee_div_zero 0
		.amdhsa_exception_fp_ieee_overflow 0
		.amdhsa_exception_fp_ieee_underflow 0
		.amdhsa_exception_fp_ieee_inexact 0
		.amdhsa_exception_int_div_zero 0
	.end_amdhsa_kernel
	.section	.text._ZN7rocprim17ROCPRIM_400000_NS6detail17trampoline_kernelINS0_14default_configENS1_35adjacent_difference_config_selectorILb1EdEEZNS1_24adjacent_difference_implIS3_Lb1ELb0EPdS7_N6thrust23THRUST_200600_302600_NS4plusIdEEEE10hipError_tPvRmT2_T3_mT4_P12ihipStream_tbEUlT_E_NS1_11comp_targetILNS1_3genE10ELNS1_11target_archE1201ELNS1_3gpuE5ELNS1_3repE0EEENS1_30default_config_static_selectorELNS0_4arch9wavefront6targetE0EEEvT1_,"axG",@progbits,_ZN7rocprim17ROCPRIM_400000_NS6detail17trampoline_kernelINS0_14default_configENS1_35adjacent_difference_config_selectorILb1EdEEZNS1_24adjacent_difference_implIS3_Lb1ELb0EPdS7_N6thrust23THRUST_200600_302600_NS4plusIdEEEE10hipError_tPvRmT2_T3_mT4_P12ihipStream_tbEUlT_E_NS1_11comp_targetILNS1_3genE10ELNS1_11target_archE1201ELNS1_3gpuE5ELNS1_3repE0EEENS1_30default_config_static_selectorELNS0_4arch9wavefront6targetE0EEEvT1_,comdat
.Lfunc_end45:
	.size	_ZN7rocprim17ROCPRIM_400000_NS6detail17trampoline_kernelINS0_14default_configENS1_35adjacent_difference_config_selectorILb1EdEEZNS1_24adjacent_difference_implIS3_Lb1ELb0EPdS7_N6thrust23THRUST_200600_302600_NS4plusIdEEEE10hipError_tPvRmT2_T3_mT4_P12ihipStream_tbEUlT_E_NS1_11comp_targetILNS1_3genE10ELNS1_11target_archE1201ELNS1_3gpuE5ELNS1_3repE0EEENS1_30default_config_static_selectorELNS0_4arch9wavefront6targetE0EEEvT1_, .Lfunc_end45-_ZN7rocprim17ROCPRIM_400000_NS6detail17trampoline_kernelINS0_14default_configENS1_35adjacent_difference_config_selectorILb1EdEEZNS1_24adjacent_difference_implIS3_Lb1ELb0EPdS7_N6thrust23THRUST_200600_302600_NS4plusIdEEEE10hipError_tPvRmT2_T3_mT4_P12ihipStream_tbEUlT_E_NS1_11comp_targetILNS1_3genE10ELNS1_11target_archE1201ELNS1_3gpuE5ELNS1_3repE0EEENS1_30default_config_static_selectorELNS0_4arch9wavefront6targetE0EEEvT1_
                                        ; -- End function
	.section	.AMDGPU.csdata,"",@progbits
; Kernel info:
; codeLenInByte = 0
; NumSgprs: 0
; NumVgprs: 0
; ScratchSize: 0
; MemoryBound: 0
; FloatMode: 240
; IeeeMode: 1
; LDSByteSize: 0 bytes/workgroup (compile time only)
; SGPRBlocks: 0
; VGPRBlocks: 0
; NumSGPRsForWavesPerEU: 1
; NumVGPRsForWavesPerEU: 1
; Occupancy: 16
; WaveLimiterHint : 0
; COMPUTE_PGM_RSRC2:SCRATCH_EN: 0
; COMPUTE_PGM_RSRC2:USER_SGPR: 15
; COMPUTE_PGM_RSRC2:TRAP_HANDLER: 0
; COMPUTE_PGM_RSRC2:TGID_X_EN: 1
; COMPUTE_PGM_RSRC2:TGID_Y_EN: 0
; COMPUTE_PGM_RSRC2:TGID_Z_EN: 0
; COMPUTE_PGM_RSRC2:TIDIG_COMP_CNT: 0
	.section	.text._ZN7rocprim17ROCPRIM_400000_NS6detail17trampoline_kernelINS0_14default_configENS1_35adjacent_difference_config_selectorILb1EdEEZNS1_24adjacent_difference_implIS3_Lb1ELb0EPdS7_N6thrust23THRUST_200600_302600_NS4plusIdEEEE10hipError_tPvRmT2_T3_mT4_P12ihipStream_tbEUlT_E_NS1_11comp_targetILNS1_3genE5ELNS1_11target_archE942ELNS1_3gpuE9ELNS1_3repE0EEENS1_30default_config_static_selectorELNS0_4arch9wavefront6targetE0EEEvT1_,"axG",@progbits,_ZN7rocprim17ROCPRIM_400000_NS6detail17trampoline_kernelINS0_14default_configENS1_35adjacent_difference_config_selectorILb1EdEEZNS1_24adjacent_difference_implIS3_Lb1ELb0EPdS7_N6thrust23THRUST_200600_302600_NS4plusIdEEEE10hipError_tPvRmT2_T3_mT4_P12ihipStream_tbEUlT_E_NS1_11comp_targetILNS1_3genE5ELNS1_11target_archE942ELNS1_3gpuE9ELNS1_3repE0EEENS1_30default_config_static_selectorELNS0_4arch9wavefront6targetE0EEEvT1_,comdat
	.protected	_ZN7rocprim17ROCPRIM_400000_NS6detail17trampoline_kernelINS0_14default_configENS1_35adjacent_difference_config_selectorILb1EdEEZNS1_24adjacent_difference_implIS3_Lb1ELb0EPdS7_N6thrust23THRUST_200600_302600_NS4plusIdEEEE10hipError_tPvRmT2_T3_mT4_P12ihipStream_tbEUlT_E_NS1_11comp_targetILNS1_3genE5ELNS1_11target_archE942ELNS1_3gpuE9ELNS1_3repE0EEENS1_30default_config_static_selectorELNS0_4arch9wavefront6targetE0EEEvT1_ ; -- Begin function _ZN7rocprim17ROCPRIM_400000_NS6detail17trampoline_kernelINS0_14default_configENS1_35adjacent_difference_config_selectorILb1EdEEZNS1_24adjacent_difference_implIS3_Lb1ELb0EPdS7_N6thrust23THRUST_200600_302600_NS4plusIdEEEE10hipError_tPvRmT2_T3_mT4_P12ihipStream_tbEUlT_E_NS1_11comp_targetILNS1_3genE5ELNS1_11target_archE942ELNS1_3gpuE9ELNS1_3repE0EEENS1_30default_config_static_selectorELNS0_4arch9wavefront6targetE0EEEvT1_
	.globl	_ZN7rocprim17ROCPRIM_400000_NS6detail17trampoline_kernelINS0_14default_configENS1_35adjacent_difference_config_selectorILb1EdEEZNS1_24adjacent_difference_implIS3_Lb1ELb0EPdS7_N6thrust23THRUST_200600_302600_NS4plusIdEEEE10hipError_tPvRmT2_T3_mT4_P12ihipStream_tbEUlT_E_NS1_11comp_targetILNS1_3genE5ELNS1_11target_archE942ELNS1_3gpuE9ELNS1_3repE0EEENS1_30default_config_static_selectorELNS0_4arch9wavefront6targetE0EEEvT1_
	.p2align	8
	.type	_ZN7rocprim17ROCPRIM_400000_NS6detail17trampoline_kernelINS0_14default_configENS1_35adjacent_difference_config_selectorILb1EdEEZNS1_24adjacent_difference_implIS3_Lb1ELb0EPdS7_N6thrust23THRUST_200600_302600_NS4plusIdEEEE10hipError_tPvRmT2_T3_mT4_P12ihipStream_tbEUlT_E_NS1_11comp_targetILNS1_3genE5ELNS1_11target_archE942ELNS1_3gpuE9ELNS1_3repE0EEENS1_30default_config_static_selectorELNS0_4arch9wavefront6targetE0EEEvT1_,@function
_ZN7rocprim17ROCPRIM_400000_NS6detail17trampoline_kernelINS0_14default_configENS1_35adjacent_difference_config_selectorILb1EdEEZNS1_24adjacent_difference_implIS3_Lb1ELb0EPdS7_N6thrust23THRUST_200600_302600_NS4plusIdEEEE10hipError_tPvRmT2_T3_mT4_P12ihipStream_tbEUlT_E_NS1_11comp_targetILNS1_3genE5ELNS1_11target_archE942ELNS1_3gpuE9ELNS1_3repE0EEENS1_30default_config_static_selectorELNS0_4arch9wavefront6targetE0EEEvT1_: ; @_ZN7rocprim17ROCPRIM_400000_NS6detail17trampoline_kernelINS0_14default_configENS1_35adjacent_difference_config_selectorILb1EdEEZNS1_24adjacent_difference_implIS3_Lb1ELb0EPdS7_N6thrust23THRUST_200600_302600_NS4plusIdEEEE10hipError_tPvRmT2_T3_mT4_P12ihipStream_tbEUlT_E_NS1_11comp_targetILNS1_3genE5ELNS1_11target_archE942ELNS1_3gpuE9ELNS1_3repE0EEENS1_30default_config_static_selectorELNS0_4arch9wavefront6targetE0EEEvT1_
; %bb.0:
	.section	.rodata,"a",@progbits
	.p2align	6, 0x0
	.amdhsa_kernel _ZN7rocprim17ROCPRIM_400000_NS6detail17trampoline_kernelINS0_14default_configENS1_35adjacent_difference_config_selectorILb1EdEEZNS1_24adjacent_difference_implIS3_Lb1ELb0EPdS7_N6thrust23THRUST_200600_302600_NS4plusIdEEEE10hipError_tPvRmT2_T3_mT4_P12ihipStream_tbEUlT_E_NS1_11comp_targetILNS1_3genE5ELNS1_11target_archE942ELNS1_3gpuE9ELNS1_3repE0EEENS1_30default_config_static_selectorELNS0_4arch9wavefront6targetE0EEEvT1_
		.amdhsa_group_segment_fixed_size 0
		.amdhsa_private_segment_fixed_size 0
		.amdhsa_kernarg_size 56
		.amdhsa_user_sgpr_count 15
		.amdhsa_user_sgpr_dispatch_ptr 0
		.amdhsa_user_sgpr_queue_ptr 0
		.amdhsa_user_sgpr_kernarg_segment_ptr 1
		.amdhsa_user_sgpr_dispatch_id 0
		.amdhsa_user_sgpr_private_segment_size 0
		.amdhsa_wavefront_size32 1
		.amdhsa_uses_dynamic_stack 0
		.amdhsa_enable_private_segment 0
		.amdhsa_system_sgpr_workgroup_id_x 1
		.amdhsa_system_sgpr_workgroup_id_y 0
		.amdhsa_system_sgpr_workgroup_id_z 0
		.amdhsa_system_sgpr_workgroup_info 0
		.amdhsa_system_vgpr_workitem_id 0
		.amdhsa_next_free_vgpr 1
		.amdhsa_next_free_sgpr 1
		.amdhsa_reserve_vcc 0
		.amdhsa_float_round_mode_32 0
		.amdhsa_float_round_mode_16_64 0
		.amdhsa_float_denorm_mode_32 3
		.amdhsa_float_denorm_mode_16_64 3
		.amdhsa_dx10_clamp 1
		.amdhsa_ieee_mode 1
		.amdhsa_fp16_overflow 0
		.amdhsa_workgroup_processor_mode 1
		.amdhsa_memory_ordered 1
		.amdhsa_forward_progress 0
		.amdhsa_shared_vgpr_count 0
		.amdhsa_exception_fp_ieee_invalid_op 0
		.amdhsa_exception_fp_denorm_src 0
		.amdhsa_exception_fp_ieee_div_zero 0
		.amdhsa_exception_fp_ieee_overflow 0
		.amdhsa_exception_fp_ieee_underflow 0
		.amdhsa_exception_fp_ieee_inexact 0
		.amdhsa_exception_int_div_zero 0
	.end_amdhsa_kernel
	.section	.text._ZN7rocprim17ROCPRIM_400000_NS6detail17trampoline_kernelINS0_14default_configENS1_35adjacent_difference_config_selectorILb1EdEEZNS1_24adjacent_difference_implIS3_Lb1ELb0EPdS7_N6thrust23THRUST_200600_302600_NS4plusIdEEEE10hipError_tPvRmT2_T3_mT4_P12ihipStream_tbEUlT_E_NS1_11comp_targetILNS1_3genE5ELNS1_11target_archE942ELNS1_3gpuE9ELNS1_3repE0EEENS1_30default_config_static_selectorELNS0_4arch9wavefront6targetE0EEEvT1_,"axG",@progbits,_ZN7rocprim17ROCPRIM_400000_NS6detail17trampoline_kernelINS0_14default_configENS1_35adjacent_difference_config_selectorILb1EdEEZNS1_24adjacent_difference_implIS3_Lb1ELb0EPdS7_N6thrust23THRUST_200600_302600_NS4plusIdEEEE10hipError_tPvRmT2_T3_mT4_P12ihipStream_tbEUlT_E_NS1_11comp_targetILNS1_3genE5ELNS1_11target_archE942ELNS1_3gpuE9ELNS1_3repE0EEENS1_30default_config_static_selectorELNS0_4arch9wavefront6targetE0EEEvT1_,comdat
.Lfunc_end46:
	.size	_ZN7rocprim17ROCPRIM_400000_NS6detail17trampoline_kernelINS0_14default_configENS1_35adjacent_difference_config_selectorILb1EdEEZNS1_24adjacent_difference_implIS3_Lb1ELb0EPdS7_N6thrust23THRUST_200600_302600_NS4plusIdEEEE10hipError_tPvRmT2_T3_mT4_P12ihipStream_tbEUlT_E_NS1_11comp_targetILNS1_3genE5ELNS1_11target_archE942ELNS1_3gpuE9ELNS1_3repE0EEENS1_30default_config_static_selectorELNS0_4arch9wavefront6targetE0EEEvT1_, .Lfunc_end46-_ZN7rocprim17ROCPRIM_400000_NS6detail17trampoline_kernelINS0_14default_configENS1_35adjacent_difference_config_selectorILb1EdEEZNS1_24adjacent_difference_implIS3_Lb1ELb0EPdS7_N6thrust23THRUST_200600_302600_NS4plusIdEEEE10hipError_tPvRmT2_T3_mT4_P12ihipStream_tbEUlT_E_NS1_11comp_targetILNS1_3genE5ELNS1_11target_archE942ELNS1_3gpuE9ELNS1_3repE0EEENS1_30default_config_static_selectorELNS0_4arch9wavefront6targetE0EEEvT1_
                                        ; -- End function
	.section	.AMDGPU.csdata,"",@progbits
; Kernel info:
; codeLenInByte = 0
; NumSgprs: 0
; NumVgprs: 0
; ScratchSize: 0
; MemoryBound: 0
; FloatMode: 240
; IeeeMode: 1
; LDSByteSize: 0 bytes/workgroup (compile time only)
; SGPRBlocks: 0
; VGPRBlocks: 0
; NumSGPRsForWavesPerEU: 1
; NumVGPRsForWavesPerEU: 1
; Occupancy: 16
; WaveLimiterHint : 0
; COMPUTE_PGM_RSRC2:SCRATCH_EN: 0
; COMPUTE_PGM_RSRC2:USER_SGPR: 15
; COMPUTE_PGM_RSRC2:TRAP_HANDLER: 0
; COMPUTE_PGM_RSRC2:TGID_X_EN: 1
; COMPUTE_PGM_RSRC2:TGID_Y_EN: 0
; COMPUTE_PGM_RSRC2:TGID_Z_EN: 0
; COMPUTE_PGM_RSRC2:TIDIG_COMP_CNT: 0
	.section	.text._ZN7rocprim17ROCPRIM_400000_NS6detail17trampoline_kernelINS0_14default_configENS1_35adjacent_difference_config_selectorILb1EdEEZNS1_24adjacent_difference_implIS3_Lb1ELb0EPdS7_N6thrust23THRUST_200600_302600_NS4plusIdEEEE10hipError_tPvRmT2_T3_mT4_P12ihipStream_tbEUlT_E_NS1_11comp_targetILNS1_3genE4ELNS1_11target_archE910ELNS1_3gpuE8ELNS1_3repE0EEENS1_30default_config_static_selectorELNS0_4arch9wavefront6targetE0EEEvT1_,"axG",@progbits,_ZN7rocprim17ROCPRIM_400000_NS6detail17trampoline_kernelINS0_14default_configENS1_35adjacent_difference_config_selectorILb1EdEEZNS1_24adjacent_difference_implIS3_Lb1ELb0EPdS7_N6thrust23THRUST_200600_302600_NS4plusIdEEEE10hipError_tPvRmT2_T3_mT4_P12ihipStream_tbEUlT_E_NS1_11comp_targetILNS1_3genE4ELNS1_11target_archE910ELNS1_3gpuE8ELNS1_3repE0EEENS1_30default_config_static_selectorELNS0_4arch9wavefront6targetE0EEEvT1_,comdat
	.protected	_ZN7rocprim17ROCPRIM_400000_NS6detail17trampoline_kernelINS0_14default_configENS1_35adjacent_difference_config_selectorILb1EdEEZNS1_24adjacent_difference_implIS3_Lb1ELb0EPdS7_N6thrust23THRUST_200600_302600_NS4plusIdEEEE10hipError_tPvRmT2_T3_mT4_P12ihipStream_tbEUlT_E_NS1_11comp_targetILNS1_3genE4ELNS1_11target_archE910ELNS1_3gpuE8ELNS1_3repE0EEENS1_30default_config_static_selectorELNS0_4arch9wavefront6targetE0EEEvT1_ ; -- Begin function _ZN7rocprim17ROCPRIM_400000_NS6detail17trampoline_kernelINS0_14default_configENS1_35adjacent_difference_config_selectorILb1EdEEZNS1_24adjacent_difference_implIS3_Lb1ELb0EPdS7_N6thrust23THRUST_200600_302600_NS4plusIdEEEE10hipError_tPvRmT2_T3_mT4_P12ihipStream_tbEUlT_E_NS1_11comp_targetILNS1_3genE4ELNS1_11target_archE910ELNS1_3gpuE8ELNS1_3repE0EEENS1_30default_config_static_selectorELNS0_4arch9wavefront6targetE0EEEvT1_
	.globl	_ZN7rocprim17ROCPRIM_400000_NS6detail17trampoline_kernelINS0_14default_configENS1_35adjacent_difference_config_selectorILb1EdEEZNS1_24adjacent_difference_implIS3_Lb1ELb0EPdS7_N6thrust23THRUST_200600_302600_NS4plusIdEEEE10hipError_tPvRmT2_T3_mT4_P12ihipStream_tbEUlT_E_NS1_11comp_targetILNS1_3genE4ELNS1_11target_archE910ELNS1_3gpuE8ELNS1_3repE0EEENS1_30default_config_static_selectorELNS0_4arch9wavefront6targetE0EEEvT1_
	.p2align	8
	.type	_ZN7rocprim17ROCPRIM_400000_NS6detail17trampoline_kernelINS0_14default_configENS1_35adjacent_difference_config_selectorILb1EdEEZNS1_24adjacent_difference_implIS3_Lb1ELb0EPdS7_N6thrust23THRUST_200600_302600_NS4plusIdEEEE10hipError_tPvRmT2_T3_mT4_P12ihipStream_tbEUlT_E_NS1_11comp_targetILNS1_3genE4ELNS1_11target_archE910ELNS1_3gpuE8ELNS1_3repE0EEENS1_30default_config_static_selectorELNS0_4arch9wavefront6targetE0EEEvT1_,@function
_ZN7rocprim17ROCPRIM_400000_NS6detail17trampoline_kernelINS0_14default_configENS1_35adjacent_difference_config_selectorILb1EdEEZNS1_24adjacent_difference_implIS3_Lb1ELb0EPdS7_N6thrust23THRUST_200600_302600_NS4plusIdEEEE10hipError_tPvRmT2_T3_mT4_P12ihipStream_tbEUlT_E_NS1_11comp_targetILNS1_3genE4ELNS1_11target_archE910ELNS1_3gpuE8ELNS1_3repE0EEENS1_30default_config_static_selectorELNS0_4arch9wavefront6targetE0EEEvT1_: ; @_ZN7rocprim17ROCPRIM_400000_NS6detail17trampoline_kernelINS0_14default_configENS1_35adjacent_difference_config_selectorILb1EdEEZNS1_24adjacent_difference_implIS3_Lb1ELb0EPdS7_N6thrust23THRUST_200600_302600_NS4plusIdEEEE10hipError_tPvRmT2_T3_mT4_P12ihipStream_tbEUlT_E_NS1_11comp_targetILNS1_3genE4ELNS1_11target_archE910ELNS1_3gpuE8ELNS1_3repE0EEENS1_30default_config_static_selectorELNS0_4arch9wavefront6targetE0EEEvT1_
; %bb.0:
	.section	.rodata,"a",@progbits
	.p2align	6, 0x0
	.amdhsa_kernel _ZN7rocprim17ROCPRIM_400000_NS6detail17trampoline_kernelINS0_14default_configENS1_35adjacent_difference_config_selectorILb1EdEEZNS1_24adjacent_difference_implIS3_Lb1ELb0EPdS7_N6thrust23THRUST_200600_302600_NS4plusIdEEEE10hipError_tPvRmT2_T3_mT4_P12ihipStream_tbEUlT_E_NS1_11comp_targetILNS1_3genE4ELNS1_11target_archE910ELNS1_3gpuE8ELNS1_3repE0EEENS1_30default_config_static_selectorELNS0_4arch9wavefront6targetE0EEEvT1_
		.amdhsa_group_segment_fixed_size 0
		.amdhsa_private_segment_fixed_size 0
		.amdhsa_kernarg_size 56
		.amdhsa_user_sgpr_count 15
		.amdhsa_user_sgpr_dispatch_ptr 0
		.amdhsa_user_sgpr_queue_ptr 0
		.amdhsa_user_sgpr_kernarg_segment_ptr 1
		.amdhsa_user_sgpr_dispatch_id 0
		.amdhsa_user_sgpr_private_segment_size 0
		.amdhsa_wavefront_size32 1
		.amdhsa_uses_dynamic_stack 0
		.amdhsa_enable_private_segment 0
		.amdhsa_system_sgpr_workgroup_id_x 1
		.amdhsa_system_sgpr_workgroup_id_y 0
		.amdhsa_system_sgpr_workgroup_id_z 0
		.amdhsa_system_sgpr_workgroup_info 0
		.amdhsa_system_vgpr_workitem_id 0
		.amdhsa_next_free_vgpr 1
		.amdhsa_next_free_sgpr 1
		.amdhsa_reserve_vcc 0
		.amdhsa_float_round_mode_32 0
		.amdhsa_float_round_mode_16_64 0
		.amdhsa_float_denorm_mode_32 3
		.amdhsa_float_denorm_mode_16_64 3
		.amdhsa_dx10_clamp 1
		.amdhsa_ieee_mode 1
		.amdhsa_fp16_overflow 0
		.amdhsa_workgroup_processor_mode 1
		.amdhsa_memory_ordered 1
		.amdhsa_forward_progress 0
		.amdhsa_shared_vgpr_count 0
		.amdhsa_exception_fp_ieee_invalid_op 0
		.amdhsa_exception_fp_denorm_src 0
		.amdhsa_exception_fp_ieee_div_zero 0
		.amdhsa_exception_fp_ieee_overflow 0
		.amdhsa_exception_fp_ieee_underflow 0
		.amdhsa_exception_fp_ieee_inexact 0
		.amdhsa_exception_int_div_zero 0
	.end_amdhsa_kernel
	.section	.text._ZN7rocprim17ROCPRIM_400000_NS6detail17trampoline_kernelINS0_14default_configENS1_35adjacent_difference_config_selectorILb1EdEEZNS1_24adjacent_difference_implIS3_Lb1ELb0EPdS7_N6thrust23THRUST_200600_302600_NS4plusIdEEEE10hipError_tPvRmT2_T3_mT4_P12ihipStream_tbEUlT_E_NS1_11comp_targetILNS1_3genE4ELNS1_11target_archE910ELNS1_3gpuE8ELNS1_3repE0EEENS1_30default_config_static_selectorELNS0_4arch9wavefront6targetE0EEEvT1_,"axG",@progbits,_ZN7rocprim17ROCPRIM_400000_NS6detail17trampoline_kernelINS0_14default_configENS1_35adjacent_difference_config_selectorILb1EdEEZNS1_24adjacent_difference_implIS3_Lb1ELb0EPdS7_N6thrust23THRUST_200600_302600_NS4plusIdEEEE10hipError_tPvRmT2_T3_mT4_P12ihipStream_tbEUlT_E_NS1_11comp_targetILNS1_3genE4ELNS1_11target_archE910ELNS1_3gpuE8ELNS1_3repE0EEENS1_30default_config_static_selectorELNS0_4arch9wavefront6targetE0EEEvT1_,comdat
.Lfunc_end47:
	.size	_ZN7rocprim17ROCPRIM_400000_NS6detail17trampoline_kernelINS0_14default_configENS1_35adjacent_difference_config_selectorILb1EdEEZNS1_24adjacent_difference_implIS3_Lb1ELb0EPdS7_N6thrust23THRUST_200600_302600_NS4plusIdEEEE10hipError_tPvRmT2_T3_mT4_P12ihipStream_tbEUlT_E_NS1_11comp_targetILNS1_3genE4ELNS1_11target_archE910ELNS1_3gpuE8ELNS1_3repE0EEENS1_30default_config_static_selectorELNS0_4arch9wavefront6targetE0EEEvT1_, .Lfunc_end47-_ZN7rocprim17ROCPRIM_400000_NS6detail17trampoline_kernelINS0_14default_configENS1_35adjacent_difference_config_selectorILb1EdEEZNS1_24adjacent_difference_implIS3_Lb1ELb0EPdS7_N6thrust23THRUST_200600_302600_NS4plusIdEEEE10hipError_tPvRmT2_T3_mT4_P12ihipStream_tbEUlT_E_NS1_11comp_targetILNS1_3genE4ELNS1_11target_archE910ELNS1_3gpuE8ELNS1_3repE0EEENS1_30default_config_static_selectorELNS0_4arch9wavefront6targetE0EEEvT1_
                                        ; -- End function
	.section	.AMDGPU.csdata,"",@progbits
; Kernel info:
; codeLenInByte = 0
; NumSgprs: 0
; NumVgprs: 0
; ScratchSize: 0
; MemoryBound: 0
; FloatMode: 240
; IeeeMode: 1
; LDSByteSize: 0 bytes/workgroup (compile time only)
; SGPRBlocks: 0
; VGPRBlocks: 0
; NumSGPRsForWavesPerEU: 1
; NumVGPRsForWavesPerEU: 1
; Occupancy: 16
; WaveLimiterHint : 0
; COMPUTE_PGM_RSRC2:SCRATCH_EN: 0
; COMPUTE_PGM_RSRC2:USER_SGPR: 15
; COMPUTE_PGM_RSRC2:TRAP_HANDLER: 0
; COMPUTE_PGM_RSRC2:TGID_X_EN: 1
; COMPUTE_PGM_RSRC2:TGID_Y_EN: 0
; COMPUTE_PGM_RSRC2:TGID_Z_EN: 0
; COMPUTE_PGM_RSRC2:TIDIG_COMP_CNT: 0
	.section	.text._ZN7rocprim17ROCPRIM_400000_NS6detail17trampoline_kernelINS0_14default_configENS1_35adjacent_difference_config_selectorILb1EdEEZNS1_24adjacent_difference_implIS3_Lb1ELb0EPdS7_N6thrust23THRUST_200600_302600_NS4plusIdEEEE10hipError_tPvRmT2_T3_mT4_P12ihipStream_tbEUlT_E_NS1_11comp_targetILNS1_3genE3ELNS1_11target_archE908ELNS1_3gpuE7ELNS1_3repE0EEENS1_30default_config_static_selectorELNS0_4arch9wavefront6targetE0EEEvT1_,"axG",@progbits,_ZN7rocprim17ROCPRIM_400000_NS6detail17trampoline_kernelINS0_14default_configENS1_35adjacent_difference_config_selectorILb1EdEEZNS1_24adjacent_difference_implIS3_Lb1ELb0EPdS7_N6thrust23THRUST_200600_302600_NS4plusIdEEEE10hipError_tPvRmT2_T3_mT4_P12ihipStream_tbEUlT_E_NS1_11comp_targetILNS1_3genE3ELNS1_11target_archE908ELNS1_3gpuE7ELNS1_3repE0EEENS1_30default_config_static_selectorELNS0_4arch9wavefront6targetE0EEEvT1_,comdat
	.protected	_ZN7rocprim17ROCPRIM_400000_NS6detail17trampoline_kernelINS0_14default_configENS1_35adjacent_difference_config_selectorILb1EdEEZNS1_24adjacent_difference_implIS3_Lb1ELb0EPdS7_N6thrust23THRUST_200600_302600_NS4plusIdEEEE10hipError_tPvRmT2_T3_mT4_P12ihipStream_tbEUlT_E_NS1_11comp_targetILNS1_3genE3ELNS1_11target_archE908ELNS1_3gpuE7ELNS1_3repE0EEENS1_30default_config_static_selectorELNS0_4arch9wavefront6targetE0EEEvT1_ ; -- Begin function _ZN7rocprim17ROCPRIM_400000_NS6detail17trampoline_kernelINS0_14default_configENS1_35adjacent_difference_config_selectorILb1EdEEZNS1_24adjacent_difference_implIS3_Lb1ELb0EPdS7_N6thrust23THRUST_200600_302600_NS4plusIdEEEE10hipError_tPvRmT2_T3_mT4_P12ihipStream_tbEUlT_E_NS1_11comp_targetILNS1_3genE3ELNS1_11target_archE908ELNS1_3gpuE7ELNS1_3repE0EEENS1_30default_config_static_selectorELNS0_4arch9wavefront6targetE0EEEvT1_
	.globl	_ZN7rocprim17ROCPRIM_400000_NS6detail17trampoline_kernelINS0_14default_configENS1_35adjacent_difference_config_selectorILb1EdEEZNS1_24adjacent_difference_implIS3_Lb1ELb0EPdS7_N6thrust23THRUST_200600_302600_NS4plusIdEEEE10hipError_tPvRmT2_T3_mT4_P12ihipStream_tbEUlT_E_NS1_11comp_targetILNS1_3genE3ELNS1_11target_archE908ELNS1_3gpuE7ELNS1_3repE0EEENS1_30default_config_static_selectorELNS0_4arch9wavefront6targetE0EEEvT1_
	.p2align	8
	.type	_ZN7rocprim17ROCPRIM_400000_NS6detail17trampoline_kernelINS0_14default_configENS1_35adjacent_difference_config_selectorILb1EdEEZNS1_24adjacent_difference_implIS3_Lb1ELb0EPdS7_N6thrust23THRUST_200600_302600_NS4plusIdEEEE10hipError_tPvRmT2_T3_mT4_P12ihipStream_tbEUlT_E_NS1_11comp_targetILNS1_3genE3ELNS1_11target_archE908ELNS1_3gpuE7ELNS1_3repE0EEENS1_30default_config_static_selectorELNS0_4arch9wavefront6targetE0EEEvT1_,@function
_ZN7rocprim17ROCPRIM_400000_NS6detail17trampoline_kernelINS0_14default_configENS1_35adjacent_difference_config_selectorILb1EdEEZNS1_24adjacent_difference_implIS3_Lb1ELb0EPdS7_N6thrust23THRUST_200600_302600_NS4plusIdEEEE10hipError_tPvRmT2_T3_mT4_P12ihipStream_tbEUlT_E_NS1_11comp_targetILNS1_3genE3ELNS1_11target_archE908ELNS1_3gpuE7ELNS1_3repE0EEENS1_30default_config_static_selectorELNS0_4arch9wavefront6targetE0EEEvT1_: ; @_ZN7rocprim17ROCPRIM_400000_NS6detail17trampoline_kernelINS0_14default_configENS1_35adjacent_difference_config_selectorILb1EdEEZNS1_24adjacent_difference_implIS3_Lb1ELb0EPdS7_N6thrust23THRUST_200600_302600_NS4plusIdEEEE10hipError_tPvRmT2_T3_mT4_P12ihipStream_tbEUlT_E_NS1_11comp_targetILNS1_3genE3ELNS1_11target_archE908ELNS1_3gpuE7ELNS1_3repE0EEENS1_30default_config_static_selectorELNS0_4arch9wavefront6targetE0EEEvT1_
; %bb.0:
	.section	.rodata,"a",@progbits
	.p2align	6, 0x0
	.amdhsa_kernel _ZN7rocprim17ROCPRIM_400000_NS6detail17trampoline_kernelINS0_14default_configENS1_35adjacent_difference_config_selectorILb1EdEEZNS1_24adjacent_difference_implIS3_Lb1ELb0EPdS7_N6thrust23THRUST_200600_302600_NS4plusIdEEEE10hipError_tPvRmT2_T3_mT4_P12ihipStream_tbEUlT_E_NS1_11comp_targetILNS1_3genE3ELNS1_11target_archE908ELNS1_3gpuE7ELNS1_3repE0EEENS1_30default_config_static_selectorELNS0_4arch9wavefront6targetE0EEEvT1_
		.amdhsa_group_segment_fixed_size 0
		.amdhsa_private_segment_fixed_size 0
		.amdhsa_kernarg_size 56
		.amdhsa_user_sgpr_count 15
		.amdhsa_user_sgpr_dispatch_ptr 0
		.amdhsa_user_sgpr_queue_ptr 0
		.amdhsa_user_sgpr_kernarg_segment_ptr 1
		.amdhsa_user_sgpr_dispatch_id 0
		.amdhsa_user_sgpr_private_segment_size 0
		.amdhsa_wavefront_size32 1
		.amdhsa_uses_dynamic_stack 0
		.amdhsa_enable_private_segment 0
		.amdhsa_system_sgpr_workgroup_id_x 1
		.amdhsa_system_sgpr_workgroup_id_y 0
		.amdhsa_system_sgpr_workgroup_id_z 0
		.amdhsa_system_sgpr_workgroup_info 0
		.amdhsa_system_vgpr_workitem_id 0
		.amdhsa_next_free_vgpr 1
		.amdhsa_next_free_sgpr 1
		.amdhsa_reserve_vcc 0
		.amdhsa_float_round_mode_32 0
		.amdhsa_float_round_mode_16_64 0
		.amdhsa_float_denorm_mode_32 3
		.amdhsa_float_denorm_mode_16_64 3
		.amdhsa_dx10_clamp 1
		.amdhsa_ieee_mode 1
		.amdhsa_fp16_overflow 0
		.amdhsa_workgroup_processor_mode 1
		.amdhsa_memory_ordered 1
		.amdhsa_forward_progress 0
		.amdhsa_shared_vgpr_count 0
		.amdhsa_exception_fp_ieee_invalid_op 0
		.amdhsa_exception_fp_denorm_src 0
		.amdhsa_exception_fp_ieee_div_zero 0
		.amdhsa_exception_fp_ieee_overflow 0
		.amdhsa_exception_fp_ieee_underflow 0
		.amdhsa_exception_fp_ieee_inexact 0
		.amdhsa_exception_int_div_zero 0
	.end_amdhsa_kernel
	.section	.text._ZN7rocprim17ROCPRIM_400000_NS6detail17trampoline_kernelINS0_14default_configENS1_35adjacent_difference_config_selectorILb1EdEEZNS1_24adjacent_difference_implIS3_Lb1ELb0EPdS7_N6thrust23THRUST_200600_302600_NS4plusIdEEEE10hipError_tPvRmT2_T3_mT4_P12ihipStream_tbEUlT_E_NS1_11comp_targetILNS1_3genE3ELNS1_11target_archE908ELNS1_3gpuE7ELNS1_3repE0EEENS1_30default_config_static_selectorELNS0_4arch9wavefront6targetE0EEEvT1_,"axG",@progbits,_ZN7rocprim17ROCPRIM_400000_NS6detail17trampoline_kernelINS0_14default_configENS1_35adjacent_difference_config_selectorILb1EdEEZNS1_24adjacent_difference_implIS3_Lb1ELb0EPdS7_N6thrust23THRUST_200600_302600_NS4plusIdEEEE10hipError_tPvRmT2_T3_mT4_P12ihipStream_tbEUlT_E_NS1_11comp_targetILNS1_3genE3ELNS1_11target_archE908ELNS1_3gpuE7ELNS1_3repE0EEENS1_30default_config_static_selectorELNS0_4arch9wavefront6targetE0EEEvT1_,comdat
.Lfunc_end48:
	.size	_ZN7rocprim17ROCPRIM_400000_NS6detail17trampoline_kernelINS0_14default_configENS1_35adjacent_difference_config_selectorILb1EdEEZNS1_24adjacent_difference_implIS3_Lb1ELb0EPdS7_N6thrust23THRUST_200600_302600_NS4plusIdEEEE10hipError_tPvRmT2_T3_mT4_P12ihipStream_tbEUlT_E_NS1_11comp_targetILNS1_3genE3ELNS1_11target_archE908ELNS1_3gpuE7ELNS1_3repE0EEENS1_30default_config_static_selectorELNS0_4arch9wavefront6targetE0EEEvT1_, .Lfunc_end48-_ZN7rocprim17ROCPRIM_400000_NS6detail17trampoline_kernelINS0_14default_configENS1_35adjacent_difference_config_selectorILb1EdEEZNS1_24adjacent_difference_implIS3_Lb1ELb0EPdS7_N6thrust23THRUST_200600_302600_NS4plusIdEEEE10hipError_tPvRmT2_T3_mT4_P12ihipStream_tbEUlT_E_NS1_11comp_targetILNS1_3genE3ELNS1_11target_archE908ELNS1_3gpuE7ELNS1_3repE0EEENS1_30default_config_static_selectorELNS0_4arch9wavefront6targetE0EEEvT1_
                                        ; -- End function
	.section	.AMDGPU.csdata,"",@progbits
; Kernel info:
; codeLenInByte = 0
; NumSgprs: 0
; NumVgprs: 0
; ScratchSize: 0
; MemoryBound: 0
; FloatMode: 240
; IeeeMode: 1
; LDSByteSize: 0 bytes/workgroup (compile time only)
; SGPRBlocks: 0
; VGPRBlocks: 0
; NumSGPRsForWavesPerEU: 1
; NumVGPRsForWavesPerEU: 1
; Occupancy: 16
; WaveLimiterHint : 0
; COMPUTE_PGM_RSRC2:SCRATCH_EN: 0
; COMPUTE_PGM_RSRC2:USER_SGPR: 15
; COMPUTE_PGM_RSRC2:TRAP_HANDLER: 0
; COMPUTE_PGM_RSRC2:TGID_X_EN: 1
; COMPUTE_PGM_RSRC2:TGID_Y_EN: 0
; COMPUTE_PGM_RSRC2:TGID_Z_EN: 0
; COMPUTE_PGM_RSRC2:TIDIG_COMP_CNT: 0
	.section	.text._ZN7rocprim17ROCPRIM_400000_NS6detail17trampoline_kernelINS0_14default_configENS1_35adjacent_difference_config_selectorILb1EdEEZNS1_24adjacent_difference_implIS3_Lb1ELb0EPdS7_N6thrust23THRUST_200600_302600_NS4plusIdEEEE10hipError_tPvRmT2_T3_mT4_P12ihipStream_tbEUlT_E_NS1_11comp_targetILNS1_3genE2ELNS1_11target_archE906ELNS1_3gpuE6ELNS1_3repE0EEENS1_30default_config_static_selectorELNS0_4arch9wavefront6targetE0EEEvT1_,"axG",@progbits,_ZN7rocprim17ROCPRIM_400000_NS6detail17trampoline_kernelINS0_14default_configENS1_35adjacent_difference_config_selectorILb1EdEEZNS1_24adjacent_difference_implIS3_Lb1ELb0EPdS7_N6thrust23THRUST_200600_302600_NS4plusIdEEEE10hipError_tPvRmT2_T3_mT4_P12ihipStream_tbEUlT_E_NS1_11comp_targetILNS1_3genE2ELNS1_11target_archE906ELNS1_3gpuE6ELNS1_3repE0EEENS1_30default_config_static_selectorELNS0_4arch9wavefront6targetE0EEEvT1_,comdat
	.protected	_ZN7rocprim17ROCPRIM_400000_NS6detail17trampoline_kernelINS0_14default_configENS1_35adjacent_difference_config_selectorILb1EdEEZNS1_24adjacent_difference_implIS3_Lb1ELb0EPdS7_N6thrust23THRUST_200600_302600_NS4plusIdEEEE10hipError_tPvRmT2_T3_mT4_P12ihipStream_tbEUlT_E_NS1_11comp_targetILNS1_3genE2ELNS1_11target_archE906ELNS1_3gpuE6ELNS1_3repE0EEENS1_30default_config_static_selectorELNS0_4arch9wavefront6targetE0EEEvT1_ ; -- Begin function _ZN7rocprim17ROCPRIM_400000_NS6detail17trampoline_kernelINS0_14default_configENS1_35adjacent_difference_config_selectorILb1EdEEZNS1_24adjacent_difference_implIS3_Lb1ELb0EPdS7_N6thrust23THRUST_200600_302600_NS4plusIdEEEE10hipError_tPvRmT2_T3_mT4_P12ihipStream_tbEUlT_E_NS1_11comp_targetILNS1_3genE2ELNS1_11target_archE906ELNS1_3gpuE6ELNS1_3repE0EEENS1_30default_config_static_selectorELNS0_4arch9wavefront6targetE0EEEvT1_
	.globl	_ZN7rocprim17ROCPRIM_400000_NS6detail17trampoline_kernelINS0_14default_configENS1_35adjacent_difference_config_selectorILb1EdEEZNS1_24adjacent_difference_implIS3_Lb1ELb0EPdS7_N6thrust23THRUST_200600_302600_NS4plusIdEEEE10hipError_tPvRmT2_T3_mT4_P12ihipStream_tbEUlT_E_NS1_11comp_targetILNS1_3genE2ELNS1_11target_archE906ELNS1_3gpuE6ELNS1_3repE0EEENS1_30default_config_static_selectorELNS0_4arch9wavefront6targetE0EEEvT1_
	.p2align	8
	.type	_ZN7rocprim17ROCPRIM_400000_NS6detail17trampoline_kernelINS0_14default_configENS1_35adjacent_difference_config_selectorILb1EdEEZNS1_24adjacent_difference_implIS3_Lb1ELb0EPdS7_N6thrust23THRUST_200600_302600_NS4plusIdEEEE10hipError_tPvRmT2_T3_mT4_P12ihipStream_tbEUlT_E_NS1_11comp_targetILNS1_3genE2ELNS1_11target_archE906ELNS1_3gpuE6ELNS1_3repE0EEENS1_30default_config_static_selectorELNS0_4arch9wavefront6targetE0EEEvT1_,@function
_ZN7rocprim17ROCPRIM_400000_NS6detail17trampoline_kernelINS0_14default_configENS1_35adjacent_difference_config_selectorILb1EdEEZNS1_24adjacent_difference_implIS3_Lb1ELb0EPdS7_N6thrust23THRUST_200600_302600_NS4plusIdEEEE10hipError_tPvRmT2_T3_mT4_P12ihipStream_tbEUlT_E_NS1_11comp_targetILNS1_3genE2ELNS1_11target_archE906ELNS1_3gpuE6ELNS1_3repE0EEENS1_30default_config_static_selectorELNS0_4arch9wavefront6targetE0EEEvT1_: ; @_ZN7rocprim17ROCPRIM_400000_NS6detail17trampoline_kernelINS0_14default_configENS1_35adjacent_difference_config_selectorILb1EdEEZNS1_24adjacent_difference_implIS3_Lb1ELb0EPdS7_N6thrust23THRUST_200600_302600_NS4plusIdEEEE10hipError_tPvRmT2_T3_mT4_P12ihipStream_tbEUlT_E_NS1_11comp_targetILNS1_3genE2ELNS1_11target_archE906ELNS1_3gpuE6ELNS1_3repE0EEENS1_30default_config_static_selectorELNS0_4arch9wavefront6targetE0EEEvT1_
; %bb.0:
	.section	.rodata,"a",@progbits
	.p2align	6, 0x0
	.amdhsa_kernel _ZN7rocprim17ROCPRIM_400000_NS6detail17trampoline_kernelINS0_14default_configENS1_35adjacent_difference_config_selectorILb1EdEEZNS1_24adjacent_difference_implIS3_Lb1ELb0EPdS7_N6thrust23THRUST_200600_302600_NS4plusIdEEEE10hipError_tPvRmT2_T3_mT4_P12ihipStream_tbEUlT_E_NS1_11comp_targetILNS1_3genE2ELNS1_11target_archE906ELNS1_3gpuE6ELNS1_3repE0EEENS1_30default_config_static_selectorELNS0_4arch9wavefront6targetE0EEEvT1_
		.amdhsa_group_segment_fixed_size 0
		.amdhsa_private_segment_fixed_size 0
		.amdhsa_kernarg_size 56
		.amdhsa_user_sgpr_count 15
		.amdhsa_user_sgpr_dispatch_ptr 0
		.amdhsa_user_sgpr_queue_ptr 0
		.amdhsa_user_sgpr_kernarg_segment_ptr 1
		.amdhsa_user_sgpr_dispatch_id 0
		.amdhsa_user_sgpr_private_segment_size 0
		.amdhsa_wavefront_size32 1
		.amdhsa_uses_dynamic_stack 0
		.amdhsa_enable_private_segment 0
		.amdhsa_system_sgpr_workgroup_id_x 1
		.amdhsa_system_sgpr_workgroup_id_y 0
		.amdhsa_system_sgpr_workgroup_id_z 0
		.amdhsa_system_sgpr_workgroup_info 0
		.amdhsa_system_vgpr_workitem_id 0
		.amdhsa_next_free_vgpr 1
		.amdhsa_next_free_sgpr 1
		.amdhsa_reserve_vcc 0
		.amdhsa_float_round_mode_32 0
		.amdhsa_float_round_mode_16_64 0
		.amdhsa_float_denorm_mode_32 3
		.amdhsa_float_denorm_mode_16_64 3
		.amdhsa_dx10_clamp 1
		.amdhsa_ieee_mode 1
		.amdhsa_fp16_overflow 0
		.amdhsa_workgroup_processor_mode 1
		.amdhsa_memory_ordered 1
		.amdhsa_forward_progress 0
		.amdhsa_shared_vgpr_count 0
		.amdhsa_exception_fp_ieee_invalid_op 0
		.amdhsa_exception_fp_denorm_src 0
		.amdhsa_exception_fp_ieee_div_zero 0
		.amdhsa_exception_fp_ieee_overflow 0
		.amdhsa_exception_fp_ieee_underflow 0
		.amdhsa_exception_fp_ieee_inexact 0
		.amdhsa_exception_int_div_zero 0
	.end_amdhsa_kernel
	.section	.text._ZN7rocprim17ROCPRIM_400000_NS6detail17trampoline_kernelINS0_14default_configENS1_35adjacent_difference_config_selectorILb1EdEEZNS1_24adjacent_difference_implIS3_Lb1ELb0EPdS7_N6thrust23THRUST_200600_302600_NS4plusIdEEEE10hipError_tPvRmT2_T3_mT4_P12ihipStream_tbEUlT_E_NS1_11comp_targetILNS1_3genE2ELNS1_11target_archE906ELNS1_3gpuE6ELNS1_3repE0EEENS1_30default_config_static_selectorELNS0_4arch9wavefront6targetE0EEEvT1_,"axG",@progbits,_ZN7rocprim17ROCPRIM_400000_NS6detail17trampoline_kernelINS0_14default_configENS1_35adjacent_difference_config_selectorILb1EdEEZNS1_24adjacent_difference_implIS3_Lb1ELb0EPdS7_N6thrust23THRUST_200600_302600_NS4plusIdEEEE10hipError_tPvRmT2_T3_mT4_P12ihipStream_tbEUlT_E_NS1_11comp_targetILNS1_3genE2ELNS1_11target_archE906ELNS1_3gpuE6ELNS1_3repE0EEENS1_30default_config_static_selectorELNS0_4arch9wavefront6targetE0EEEvT1_,comdat
.Lfunc_end49:
	.size	_ZN7rocprim17ROCPRIM_400000_NS6detail17trampoline_kernelINS0_14default_configENS1_35adjacent_difference_config_selectorILb1EdEEZNS1_24adjacent_difference_implIS3_Lb1ELb0EPdS7_N6thrust23THRUST_200600_302600_NS4plusIdEEEE10hipError_tPvRmT2_T3_mT4_P12ihipStream_tbEUlT_E_NS1_11comp_targetILNS1_3genE2ELNS1_11target_archE906ELNS1_3gpuE6ELNS1_3repE0EEENS1_30default_config_static_selectorELNS0_4arch9wavefront6targetE0EEEvT1_, .Lfunc_end49-_ZN7rocprim17ROCPRIM_400000_NS6detail17trampoline_kernelINS0_14default_configENS1_35adjacent_difference_config_selectorILb1EdEEZNS1_24adjacent_difference_implIS3_Lb1ELb0EPdS7_N6thrust23THRUST_200600_302600_NS4plusIdEEEE10hipError_tPvRmT2_T3_mT4_P12ihipStream_tbEUlT_E_NS1_11comp_targetILNS1_3genE2ELNS1_11target_archE906ELNS1_3gpuE6ELNS1_3repE0EEENS1_30default_config_static_selectorELNS0_4arch9wavefront6targetE0EEEvT1_
                                        ; -- End function
	.section	.AMDGPU.csdata,"",@progbits
; Kernel info:
; codeLenInByte = 0
; NumSgprs: 0
; NumVgprs: 0
; ScratchSize: 0
; MemoryBound: 0
; FloatMode: 240
; IeeeMode: 1
; LDSByteSize: 0 bytes/workgroup (compile time only)
; SGPRBlocks: 0
; VGPRBlocks: 0
; NumSGPRsForWavesPerEU: 1
; NumVGPRsForWavesPerEU: 1
; Occupancy: 16
; WaveLimiterHint : 0
; COMPUTE_PGM_RSRC2:SCRATCH_EN: 0
; COMPUTE_PGM_RSRC2:USER_SGPR: 15
; COMPUTE_PGM_RSRC2:TRAP_HANDLER: 0
; COMPUTE_PGM_RSRC2:TGID_X_EN: 1
; COMPUTE_PGM_RSRC2:TGID_Y_EN: 0
; COMPUTE_PGM_RSRC2:TGID_Z_EN: 0
; COMPUTE_PGM_RSRC2:TIDIG_COMP_CNT: 0
	.section	.text._ZN7rocprim17ROCPRIM_400000_NS6detail17trampoline_kernelINS0_14default_configENS1_35adjacent_difference_config_selectorILb1EdEEZNS1_24adjacent_difference_implIS3_Lb1ELb0EPdS7_N6thrust23THRUST_200600_302600_NS4plusIdEEEE10hipError_tPvRmT2_T3_mT4_P12ihipStream_tbEUlT_E_NS1_11comp_targetILNS1_3genE9ELNS1_11target_archE1100ELNS1_3gpuE3ELNS1_3repE0EEENS1_30default_config_static_selectorELNS0_4arch9wavefront6targetE0EEEvT1_,"axG",@progbits,_ZN7rocprim17ROCPRIM_400000_NS6detail17trampoline_kernelINS0_14default_configENS1_35adjacent_difference_config_selectorILb1EdEEZNS1_24adjacent_difference_implIS3_Lb1ELb0EPdS7_N6thrust23THRUST_200600_302600_NS4plusIdEEEE10hipError_tPvRmT2_T3_mT4_P12ihipStream_tbEUlT_E_NS1_11comp_targetILNS1_3genE9ELNS1_11target_archE1100ELNS1_3gpuE3ELNS1_3repE0EEENS1_30default_config_static_selectorELNS0_4arch9wavefront6targetE0EEEvT1_,comdat
	.protected	_ZN7rocprim17ROCPRIM_400000_NS6detail17trampoline_kernelINS0_14default_configENS1_35adjacent_difference_config_selectorILb1EdEEZNS1_24adjacent_difference_implIS3_Lb1ELb0EPdS7_N6thrust23THRUST_200600_302600_NS4plusIdEEEE10hipError_tPvRmT2_T3_mT4_P12ihipStream_tbEUlT_E_NS1_11comp_targetILNS1_3genE9ELNS1_11target_archE1100ELNS1_3gpuE3ELNS1_3repE0EEENS1_30default_config_static_selectorELNS0_4arch9wavefront6targetE0EEEvT1_ ; -- Begin function _ZN7rocprim17ROCPRIM_400000_NS6detail17trampoline_kernelINS0_14default_configENS1_35adjacent_difference_config_selectorILb1EdEEZNS1_24adjacent_difference_implIS3_Lb1ELb0EPdS7_N6thrust23THRUST_200600_302600_NS4plusIdEEEE10hipError_tPvRmT2_T3_mT4_P12ihipStream_tbEUlT_E_NS1_11comp_targetILNS1_3genE9ELNS1_11target_archE1100ELNS1_3gpuE3ELNS1_3repE0EEENS1_30default_config_static_selectorELNS0_4arch9wavefront6targetE0EEEvT1_
	.globl	_ZN7rocprim17ROCPRIM_400000_NS6detail17trampoline_kernelINS0_14default_configENS1_35adjacent_difference_config_selectorILb1EdEEZNS1_24adjacent_difference_implIS3_Lb1ELb0EPdS7_N6thrust23THRUST_200600_302600_NS4plusIdEEEE10hipError_tPvRmT2_T3_mT4_P12ihipStream_tbEUlT_E_NS1_11comp_targetILNS1_3genE9ELNS1_11target_archE1100ELNS1_3gpuE3ELNS1_3repE0EEENS1_30default_config_static_selectorELNS0_4arch9wavefront6targetE0EEEvT1_
	.p2align	8
	.type	_ZN7rocprim17ROCPRIM_400000_NS6detail17trampoline_kernelINS0_14default_configENS1_35adjacent_difference_config_selectorILb1EdEEZNS1_24adjacent_difference_implIS3_Lb1ELb0EPdS7_N6thrust23THRUST_200600_302600_NS4plusIdEEEE10hipError_tPvRmT2_T3_mT4_P12ihipStream_tbEUlT_E_NS1_11comp_targetILNS1_3genE9ELNS1_11target_archE1100ELNS1_3gpuE3ELNS1_3repE0EEENS1_30default_config_static_selectorELNS0_4arch9wavefront6targetE0EEEvT1_,@function
_ZN7rocprim17ROCPRIM_400000_NS6detail17trampoline_kernelINS0_14default_configENS1_35adjacent_difference_config_selectorILb1EdEEZNS1_24adjacent_difference_implIS3_Lb1ELb0EPdS7_N6thrust23THRUST_200600_302600_NS4plusIdEEEE10hipError_tPvRmT2_T3_mT4_P12ihipStream_tbEUlT_E_NS1_11comp_targetILNS1_3genE9ELNS1_11target_archE1100ELNS1_3gpuE3ELNS1_3repE0EEENS1_30default_config_static_selectorELNS0_4arch9wavefront6targetE0EEEvT1_: ; @_ZN7rocprim17ROCPRIM_400000_NS6detail17trampoline_kernelINS0_14default_configENS1_35adjacent_difference_config_selectorILb1EdEEZNS1_24adjacent_difference_implIS3_Lb1ELb0EPdS7_N6thrust23THRUST_200600_302600_NS4plusIdEEEE10hipError_tPvRmT2_T3_mT4_P12ihipStream_tbEUlT_E_NS1_11comp_targetILNS1_3genE9ELNS1_11target_archE1100ELNS1_3gpuE3ELNS1_3repE0EEENS1_30default_config_static_selectorELNS0_4arch9wavefront6targetE0EEEvT1_
; %bb.0:
	s_load_b256 s[4:11], s[0:1], 0x0
	s_mov_b32 s2, 0x411a7a30
	s_mov_b32 s16, s15
	s_waitcnt lgkmcnt(0)
	s_lshl_b64 s[12:13], s[6:7], 3
	s_delay_alu instid0(SALU_CYCLE_1) | instskip(SKIP_4) | instid1(VALU_DEP_1)
	s_add_u32 s23, s4, s12
	s_addc_u32 s24, s5, s13
	s_add_u32 s2, 0x76, s2
	s_addc_u32 s3, 0, 0
	v_add_co_u32 v1, s2, 0x20000000, s2
	s_cmp_lg_u32 s2, 0
	s_addc_u32 s3, s3, 0x11a7b9
	s_delay_alu instid0(VALU_DEP_1) | instskip(SKIP_1) | instid1(VALU_DEP_1)
	v_readfirstlane_b32 s2, v1
	s_mul_i32 s4, s3, 0xfffff180
	s_mul_hi_u32 s5, s2, 0xfffff180
	s_mul_i32 s6, s2, 0xfffff180
	s_sub_i32 s5, s5, s2
	s_mul_hi_u32 s7, s2, s6
	s_add_i32 s5, s5, s4
	s_mul_hi_u32 s14, s3, s6
	s_mul_i32 s4, s3, s6
	s_mul_hi_u32 s6, s2, s5
	s_mul_i32 s2, s2, s5
	s_mul_hi_u32 s15, s3, s5
	s_add_u32 s2, s7, s2
	s_addc_u32 s6, 0, s6
	s_add_u32 s2, s2, s4
	s_mul_i32 s5, s3, s5
	s_addc_u32 s2, s6, s14
	s_addc_u32 s4, s15, 0
	s_add_u32 s2, s2, s5
	s_addc_u32 s4, 0, s4
	v_add_co_u32 v1, s2, v1, s2
	s_delay_alu instid0(VALU_DEP_1) | instskip(SKIP_1) | instid1(VALU_DEP_1)
	s_cmp_lg_u32 s2, 0
	s_addc_u32 s2, s3, s4
	v_readfirstlane_b32 s3, v1
	s_mul_i32 s5, s10, s2
	s_mul_hi_u32 s4, s10, s2
	s_mul_hi_u32 s6, s11, s2
	s_mul_i32 s2, s11, s2
	s_mul_hi_u32 s7, s10, s3
	s_mul_hi_u32 s14, s11, s3
	s_mul_i32 s3, s11, s3
	s_add_u32 s5, s7, s5
	s_addc_u32 s4, 0, s4
	s_add_u32 s3, s5, s3
	s_addc_u32 s3, s4, s14
	s_addc_u32 s4, s6, 0
	s_add_u32 s5, s3, s2
	s_addc_u32 s4, 0, s4
	s_mul_i32 s3, s5, 0xe80
	s_add_u32 s2, s5, 1
	v_sub_co_u32 v1, s3, s10, s3
	s_mul_hi_u32 s6, s5, 0xe80
	s_addc_u32 s7, s4, 0
	s_mul_i32 s14, s4, 0xe80
	s_delay_alu instid0(VALU_DEP_1)
	v_subrev_co_u32 v2, s15, 0xe80, v1
	s_add_u32 s17, s5, 2
	s_addc_u32 s18, s4, 0
	s_add_i32 s6, s6, s14
	s_cmp_lg_u32 s3, 0
	v_readfirstlane_b32 s3, v2
	s_subb_u32 s6, s11, s6
	s_cmp_lg_u32 s15, 0
	s_subb_u32 s14, s6, 0
	s_delay_alu instid0(VALU_DEP_1) | instskip(SKIP_4) | instid1(SALU_CYCLE_1)
	s_cmpk_gt_u32 s3, 0xe7f
	s_cselect_b32 s3, -1, 0
	s_cmp_eq_u32 s14, 0
	v_readfirstlane_b32 s14, v1
	s_cselect_b32 s3, s3, -1
	s_cmp_lg_u32 s3, 0
	s_cselect_b32 s15, s17, s2
	s_cselect_b32 s7, s18, s7
	s_cmpk_gt_u32 s14, 0xe7f
	s_mov_b32 s17, 0
	s_cselect_b32 s2, -1, 0
	s_cmp_eq_u32 s6, 0
	s_cselect_b32 s2, s2, -1
	s_delay_alu instid0(SALU_CYCLE_1)
	s_cmp_lg_u32 s2, 0
	s_load_b128 s[0:3], s[0:1], 0x28
	s_cselect_b32 s6, s7, s4
	s_cselect_b32 s7, s15, s5
	s_mul_i32 s4, s6, 0xe80
	s_mul_hi_u32 s5, s7, 0xe80
	s_mul_i32 s14, s7, 0xe80
	s_add_i32 s5, s5, s4
	s_sub_u32 s4, s10, s14
	s_subb_u32 s5, s11, s5
	s_delay_alu instid0(SALU_CYCLE_1) | instskip(SKIP_1) | instid1(SALU_CYCLE_1)
	s_cmp_lg_u64 s[4:5], 0
	s_cselect_b32 s4, -1, 0
	v_cndmask_b32_e64 v1, 0, 1, s4
	s_delay_alu instid0(VALU_DEP_1) | instskip(NEXT) | instid1(VALU_DEP_1)
	v_readfirstlane_b32 s4, v1
	s_add_u32 s14, s7, s4
	s_addc_u32 s15, s6, 0
	s_waitcnt lgkmcnt(0)
	s_add_u32 s4, s2, s16
	s_addc_u32 s5, s3, 0
	s_add_u32 s18, s14, -1
	s_addc_u32 s19, s15, -1
	s_mul_i32 s6, s16, 0xe80
	v_cmp_ge_u64_e64 s22, s[4:5], s[18:19]
	s_mov_b32 s7, -1
	s_mul_i32 s11, s18, 0xfffff180
	s_delay_alu instid0(VALU_DEP_1)
	s_and_b32 vcc_lo, exec_lo, s22
	s_cbranch_vccz .LBB50_60
; %bb.1:
	s_mov_b32 s7, s17
	s_add_i32 s25, s11, s10
	s_lshl_b64 s[20:21], s[6:7], 3
	s_mov_b32 s7, exec_lo
	s_add_u32 s20, s23, s20
	s_addc_u32 s21, s24, s21
                                        ; implicit-def: $vgpr1_vgpr2
	v_cmpx_gt_u32_e64 s25, v0
	s_cbranch_execz .LBB50_3
; %bb.2:
	v_lshlrev_b32_e32 v1, 3, v0
	global_load_b64 v[1:2], v1, s[20:21]
.LBB50_3:
	s_or_b32 exec_lo, exec_lo, s7
	v_or_b32_e32 v3, 0x80, v0
	s_delay_alu instid0(VALU_DEP_1)
	v_cmp_gt_u32_e32 vcc_lo, s25, v3
                                        ; implicit-def: $vgpr3_vgpr4
	s_and_saveexec_b32 s7, vcc_lo
	s_cbranch_execz .LBB50_5
; %bb.4:
	v_lshlrev_b32_e32 v3, 3, v0
	global_load_b64 v[3:4], v3, s[20:21] offset:1024
.LBB50_5:
	s_or_b32 exec_lo, exec_lo, s7
	v_or_b32_e32 v5, 0x100, v0
	s_delay_alu instid0(VALU_DEP_1)
	v_cmp_gt_u32_e32 vcc_lo, s25, v5
                                        ; implicit-def: $vgpr5_vgpr6
	s_and_saveexec_b32 s7, vcc_lo
	s_cbranch_execz .LBB50_7
; %bb.6:
	v_lshlrev_b32_e32 v5, 3, v0
	global_load_b64 v[5:6], v5, s[20:21] offset:2048
.LBB50_7:
	s_or_b32 exec_lo, exec_lo, s7
	v_or_b32_e32 v7, 0x180, v0
	s_delay_alu instid0(VALU_DEP_1)
	v_cmp_gt_u32_e32 vcc_lo, s25, v7
                                        ; implicit-def: $vgpr7_vgpr8
	s_and_saveexec_b32 s7, vcc_lo
	s_cbranch_execz .LBB50_9
; %bb.8:
	v_lshlrev_b32_e32 v7, 3, v0
	global_load_b64 v[7:8], v7, s[20:21] offset:3072
.LBB50_9:
	s_or_b32 exec_lo, exec_lo, s7
	v_or_b32_e32 v11, 0x200, v0
	s_mov_b32 s7, exec_lo
                                        ; implicit-def: $vgpr9_vgpr10
	s_delay_alu instid0(VALU_DEP_1)
	v_cmpx_gt_u32_e64 s25, v11
	s_cbranch_execz .LBB50_11
; %bb.10:
	v_lshlrev_b32_e32 v9, 3, v11
	global_load_b64 v[9:10], v9, s[20:21]
.LBB50_11:
	s_or_b32 exec_lo, exec_lo, s7
	v_or_b32_e32 v13, 0x280, v0
	s_mov_b32 s7, exec_lo
                                        ; implicit-def: $vgpr11_vgpr12
	s_delay_alu instid0(VALU_DEP_1)
	v_cmpx_gt_u32_e64 s25, v13
	s_cbranch_execz .LBB50_13
; %bb.12:
	v_lshlrev_b32_e32 v11, 3, v13
	global_load_b64 v[11:12], v11, s[20:21]
.LBB50_13:
	s_or_b32 exec_lo, exec_lo, s7
	v_or_b32_e32 v15, 0x300, v0
	s_mov_b32 s7, exec_lo
                                        ; implicit-def: $vgpr13_vgpr14
	s_delay_alu instid0(VALU_DEP_1)
	v_cmpx_gt_u32_e64 s25, v15
	s_cbranch_execz .LBB50_15
; %bb.14:
	v_lshlrev_b32_e32 v13, 3, v15
	global_load_b64 v[13:14], v13, s[20:21]
.LBB50_15:
	s_or_b32 exec_lo, exec_lo, s7
	v_or_b32_e32 v17, 0x380, v0
	s_mov_b32 s7, exec_lo
                                        ; implicit-def: $vgpr15_vgpr16
	s_delay_alu instid0(VALU_DEP_1)
	v_cmpx_gt_u32_e64 s25, v17
	s_cbranch_execz .LBB50_17
; %bb.16:
	v_lshlrev_b32_e32 v15, 3, v17
	global_load_b64 v[15:16], v15, s[20:21]
.LBB50_17:
	s_or_b32 exec_lo, exec_lo, s7
	v_or_b32_e32 v19, 0x400, v0
	s_mov_b32 s7, exec_lo
                                        ; implicit-def: $vgpr17_vgpr18
	s_delay_alu instid0(VALU_DEP_1)
	v_cmpx_gt_u32_e64 s25, v19
	s_cbranch_execz .LBB50_19
; %bb.18:
	v_lshlrev_b32_e32 v17, 3, v19
	global_load_b64 v[17:18], v17, s[20:21]
.LBB50_19:
	s_or_b32 exec_lo, exec_lo, s7
	v_or_b32_e32 v21, 0x480, v0
	s_mov_b32 s7, exec_lo
                                        ; implicit-def: $vgpr19_vgpr20
	s_delay_alu instid0(VALU_DEP_1)
	v_cmpx_gt_u32_e64 s25, v21
	s_cbranch_execz .LBB50_21
; %bb.20:
	v_lshlrev_b32_e32 v19, 3, v21
	global_load_b64 v[19:20], v19, s[20:21]
.LBB50_21:
	s_or_b32 exec_lo, exec_lo, s7
	v_or_b32_e32 v23, 0x500, v0
	s_mov_b32 s7, exec_lo
                                        ; implicit-def: $vgpr21_vgpr22
	s_delay_alu instid0(VALU_DEP_1)
	v_cmpx_gt_u32_e64 s25, v23
	s_cbranch_execz .LBB50_23
; %bb.22:
	v_lshlrev_b32_e32 v21, 3, v23
	global_load_b64 v[21:22], v21, s[20:21]
.LBB50_23:
	s_or_b32 exec_lo, exec_lo, s7
	v_or_b32_e32 v25, 0x580, v0
	s_mov_b32 s7, exec_lo
                                        ; implicit-def: $vgpr23_vgpr24
	s_delay_alu instid0(VALU_DEP_1)
	v_cmpx_gt_u32_e64 s25, v25
	s_cbranch_execz .LBB50_25
; %bb.24:
	v_lshlrev_b32_e32 v23, 3, v25
	global_load_b64 v[23:24], v23, s[20:21]
.LBB50_25:
	s_or_b32 exec_lo, exec_lo, s7
	v_or_b32_e32 v27, 0x600, v0
	s_mov_b32 s7, exec_lo
                                        ; implicit-def: $vgpr25_vgpr26
	s_delay_alu instid0(VALU_DEP_1)
	v_cmpx_gt_u32_e64 s25, v27
	s_cbranch_execz .LBB50_27
; %bb.26:
	v_lshlrev_b32_e32 v25, 3, v27
	global_load_b64 v[25:26], v25, s[20:21]
.LBB50_27:
	s_or_b32 exec_lo, exec_lo, s7
	v_or_b32_e32 v29, 0x680, v0
	s_mov_b32 s7, exec_lo
                                        ; implicit-def: $vgpr27_vgpr28
	s_delay_alu instid0(VALU_DEP_1)
	v_cmpx_gt_u32_e64 s25, v29
	s_cbranch_execz .LBB50_29
; %bb.28:
	v_lshlrev_b32_e32 v27, 3, v29
	global_load_b64 v[27:28], v27, s[20:21]
.LBB50_29:
	s_or_b32 exec_lo, exec_lo, s7
	v_or_b32_e32 v31, 0x700, v0
	s_mov_b32 s7, exec_lo
                                        ; implicit-def: $vgpr29_vgpr30
	s_delay_alu instid0(VALU_DEP_1)
	v_cmpx_gt_u32_e64 s25, v31
	s_cbranch_execz .LBB50_31
; %bb.30:
	v_lshlrev_b32_e32 v29, 3, v31
	global_load_b64 v[29:30], v29, s[20:21]
.LBB50_31:
	s_or_b32 exec_lo, exec_lo, s7
	v_or_b32_e32 v33, 0x780, v0
	s_mov_b32 s7, exec_lo
                                        ; implicit-def: $vgpr31_vgpr32
	s_delay_alu instid0(VALU_DEP_1)
	v_cmpx_gt_u32_e64 s25, v33
	s_cbranch_execz .LBB50_33
; %bb.32:
	v_lshlrev_b32_e32 v31, 3, v33
	global_load_b64 v[31:32], v31, s[20:21]
.LBB50_33:
	s_or_b32 exec_lo, exec_lo, s7
	v_or_b32_e32 v35, 0x800, v0
	s_mov_b32 s7, exec_lo
                                        ; implicit-def: $vgpr33_vgpr34
	s_delay_alu instid0(VALU_DEP_1)
	v_cmpx_gt_u32_e64 s25, v35
	s_cbranch_execz .LBB50_35
; %bb.34:
	v_lshlrev_b32_e32 v33, 3, v35
	global_load_b64 v[33:34], v33, s[20:21]
.LBB50_35:
	s_or_b32 exec_lo, exec_lo, s7
	v_or_b32_e32 v37, 0x880, v0
	s_mov_b32 s7, exec_lo
                                        ; implicit-def: $vgpr35_vgpr36
	s_delay_alu instid0(VALU_DEP_1)
	v_cmpx_gt_u32_e64 s25, v37
	s_cbranch_execz .LBB50_37
; %bb.36:
	v_lshlrev_b32_e32 v35, 3, v37
	global_load_b64 v[35:36], v35, s[20:21]
.LBB50_37:
	s_or_b32 exec_lo, exec_lo, s7
	v_or_b32_e32 v39, 0x900, v0
	s_mov_b32 s7, exec_lo
                                        ; implicit-def: $vgpr37_vgpr38
	s_delay_alu instid0(VALU_DEP_1)
	v_cmpx_gt_u32_e64 s25, v39
	s_cbranch_execz .LBB50_39
; %bb.38:
	v_lshlrev_b32_e32 v37, 3, v39
	global_load_b64 v[37:38], v37, s[20:21]
.LBB50_39:
	s_or_b32 exec_lo, exec_lo, s7
	v_or_b32_e32 v41, 0x980, v0
	s_mov_b32 s7, exec_lo
                                        ; implicit-def: $vgpr39_vgpr40
	s_delay_alu instid0(VALU_DEP_1)
	v_cmpx_gt_u32_e64 s25, v41
	s_cbranch_execz .LBB50_41
; %bb.40:
	v_lshlrev_b32_e32 v39, 3, v41
	global_load_b64 v[39:40], v39, s[20:21]
.LBB50_41:
	s_or_b32 exec_lo, exec_lo, s7
	v_or_b32_e32 v43, 0xa00, v0
	s_mov_b32 s7, exec_lo
                                        ; implicit-def: $vgpr41_vgpr42
	s_delay_alu instid0(VALU_DEP_1)
	v_cmpx_gt_u32_e64 s25, v43
	s_cbranch_execz .LBB50_43
; %bb.42:
	v_lshlrev_b32_e32 v41, 3, v43
	global_load_b64 v[41:42], v41, s[20:21]
.LBB50_43:
	s_or_b32 exec_lo, exec_lo, s7
	v_or_b32_e32 v45, 0xa80, v0
	s_mov_b32 s7, exec_lo
                                        ; implicit-def: $vgpr43_vgpr44
	s_delay_alu instid0(VALU_DEP_1)
	v_cmpx_gt_u32_e64 s25, v45
	s_cbranch_execz .LBB50_45
; %bb.44:
	v_lshlrev_b32_e32 v43, 3, v45
	global_load_b64 v[43:44], v43, s[20:21]
.LBB50_45:
	s_or_b32 exec_lo, exec_lo, s7
	v_or_b32_e32 v47, 0xb00, v0
	s_mov_b32 s7, exec_lo
                                        ; implicit-def: $vgpr45_vgpr46
	s_delay_alu instid0(VALU_DEP_1)
	v_cmpx_gt_u32_e64 s25, v47
	s_cbranch_execz .LBB50_47
; %bb.46:
	v_lshlrev_b32_e32 v45, 3, v47
	global_load_b64 v[45:46], v45, s[20:21]
.LBB50_47:
	s_or_b32 exec_lo, exec_lo, s7
	v_or_b32_e32 v49, 0xb80, v0
	s_mov_b32 s7, exec_lo
                                        ; implicit-def: $vgpr47_vgpr48
	s_delay_alu instid0(VALU_DEP_1)
	v_cmpx_gt_u32_e64 s25, v49
	s_cbranch_execz .LBB50_49
; %bb.48:
	v_lshlrev_b32_e32 v47, 3, v49
	global_load_b64 v[47:48], v47, s[20:21]
.LBB50_49:
	s_or_b32 exec_lo, exec_lo, s7
	v_or_b32_e32 v51, 0xc00, v0
	s_mov_b32 s7, exec_lo
                                        ; implicit-def: $vgpr49_vgpr50
	s_delay_alu instid0(VALU_DEP_1)
	v_cmpx_gt_u32_e64 s25, v51
	s_cbranch_execz .LBB50_51
; %bb.50:
	v_lshlrev_b32_e32 v49, 3, v51
	global_load_b64 v[49:50], v49, s[20:21]
.LBB50_51:
	s_or_b32 exec_lo, exec_lo, s7
	v_or_b32_e32 v53, 0xc80, v0
	s_mov_b32 s7, exec_lo
                                        ; implicit-def: $vgpr51_vgpr52
	s_delay_alu instid0(VALU_DEP_1)
	v_cmpx_gt_u32_e64 s25, v53
	s_cbranch_execz .LBB50_53
; %bb.52:
	v_lshlrev_b32_e32 v51, 3, v53
	global_load_b64 v[51:52], v51, s[20:21]
.LBB50_53:
	s_or_b32 exec_lo, exec_lo, s7
	v_or_b32_e32 v55, 0xd00, v0
	s_mov_b32 s7, exec_lo
                                        ; implicit-def: $vgpr53_vgpr54
	s_delay_alu instid0(VALU_DEP_1)
	v_cmpx_gt_u32_e64 s25, v55
	s_cbranch_execz .LBB50_55
; %bb.54:
	v_lshlrev_b32_e32 v53, 3, v55
	global_load_b64 v[53:54], v53, s[20:21]
.LBB50_55:
	s_or_b32 exec_lo, exec_lo, s7
	v_or_b32_e32 v57, 0xd80, v0
	s_mov_b32 s7, exec_lo
                                        ; implicit-def: $vgpr55_vgpr56
	s_delay_alu instid0(VALU_DEP_1)
	v_cmpx_gt_u32_e64 s25, v57
	s_cbranch_execz .LBB50_57
; %bb.56:
	v_lshlrev_b32_e32 v55, 3, v57
	global_load_b64 v[55:56], v55, s[20:21]
.LBB50_57:
	s_or_b32 exec_lo, exec_lo, s7
	v_or_b32_e32 v59, 0xe00, v0
	s_mov_b32 s7, exec_lo
                                        ; implicit-def: $vgpr57_vgpr58
	s_delay_alu instid0(VALU_DEP_1)
	v_cmpx_gt_u32_e64 s25, v59
	s_cbranch_execz .LBB50_59
; %bb.58:
	v_lshlrev_b32_e32 v57, 3, v59
	global_load_b64 v[57:58], v57, s[20:21]
.LBB50_59:
	s_or_b32 exec_lo, exec_lo, s7
	v_lshlrev_b32_e32 v59, 3, v0
	s_mov_b32 s7, 0
	s_waitcnt vmcnt(0)
	ds_store_2addr_stride64_b64 v59, v[1:2], v[3:4] offset1:2
	ds_store_2addr_stride64_b64 v59, v[5:6], v[7:8] offset0:4 offset1:6
	ds_store_2addr_stride64_b64 v59, v[9:10], v[11:12] offset0:8 offset1:10
	;; [unrolled: 1-line block ×13, first 2 shown]
	ds_store_b64 v59, v[57:58] offset:28672
	s_waitcnt lgkmcnt(0)
	s_barrier
.LBB50_60:
	v_lshlrev_b32_e32 v147, 3, v0
	s_and_b32 vcc_lo, exec_lo, s7
	s_cbranch_vccz .LBB50_62
; %bb.61:
	s_mov_b32 s7, 0
	s_delay_alu instid0(SALU_CYCLE_1) | instskip(NEXT) | instid1(SALU_CYCLE_1)
	s_lshl_b64 s[20:21], s[6:7], 3
	s_add_u32 s20, s23, s20
	s_addc_u32 s21, s24, s21
	v_add_co_u32 v49, s7, s20, v147
	s_delay_alu instid0(VALU_DEP_1)
	v_add_co_ci_u32_e64 v50, null, s21, 0, s7
	s_clause 0x3
	global_load_b64 v[1:2], v147, s[20:21]
	global_load_b64 v[3:4], v147, s[20:21] offset:1024
	global_load_b64 v[5:6], v147, s[20:21] offset:2048
	;; [unrolled: 1-line block ×3, first 2 shown]
	v_add_co_u32 v9, vcc_lo, 0x1000, v49
	v_add_co_ci_u32_e32 v10, vcc_lo, 0, v50, vcc_lo
	v_add_co_u32 v11, vcc_lo, v49, 0x2000
	v_add_co_ci_u32_e32 v12, vcc_lo, 0, v50, vcc_lo
	;; [unrolled: 2-line block ×10, first 2 shown]
	s_clause 0x18
	global_load_b64 v[15:16], v[11:12], off offset:-4096
	global_load_b64 v[17:18], v[9:10], off offset:1024
	global_load_b64 v[19:20], v[9:10], off offset:2048
	;; [unrolled: 1-line block ×12, first 2 shown]
	global_load_b64 v[11:12], v[11:12], off
	global_load_b64 v[43:44], v[25:26], off offset:-4096
	global_load_b64 v[25:26], v[25:26], off
	global_load_b64 v[45:46], v[39:40], off offset:-4096
	global_load_b64 v[39:40], v[39:40], off
	global_load_b64 v[51:52], v[41:42], off offset:1024
	global_load_b64 v[53:54], v[41:42], off offset:2048
	;; [unrolled: 1-line block ×6, first 2 shown]
	global_load_b64 v[49:50], v[49:50], off
	s_waitcnt vmcnt(27)
	ds_store_2addr_stride64_b64 v147, v[1:2], v[3:4] offset1:2
	s_waitcnt vmcnt(25)
	ds_store_2addr_stride64_b64 v147, v[5:6], v[7:8] offset0:4 offset1:6
	s_waitcnt vmcnt(23)
	ds_store_2addr_stride64_b64 v147, v[15:16], v[17:18] offset0:8 offset1:10
	;; [unrolled: 2-line block ×4, first 2 shown]
	ds_store_2addr_stride64_b64 v147, v[29:30], v[13:14] offset0:20 offset1:22
	s_waitcnt vmcnt(10)
	ds_store_2addr_stride64_b64 v147, v[43:44], v[31:32] offset0:24 offset1:26
	ds_store_2addr_stride64_b64 v147, v[33:34], v[23:24] offset0:28 offset1:30
	s_waitcnt vmcnt(9)
	ds_store_2addr_stride64_b64 v147, v[25:26], v[35:36] offset0:32 offset1:34
	;; [unrolled: 3-line block ×3, first 2 shown]
	s_waitcnt vmcnt(4)
	ds_store_2addr_stride64_b64 v147, v[53:54], v[41:42] offset0:44 offset1:46
	s_waitcnt vmcnt(3)
	ds_store_2addr_stride64_b64 v147, v[39:40], v[55:56] offset0:48 offset1:50
	;; [unrolled: 2-line block ×3, first 2 shown]
	s_waitcnt vmcnt(0)
	ds_store_b64 v147, v[49:50] offset:28672
	s_waitcnt lgkmcnt(0)
	s_barrier
.LBB50_62:
	v_mul_u32_u24_e32 v1, 29, v0
	buffer_gl0_inv
	s_cmp_eq_u64 s[4:5], 0
	v_lshlrev_b32_e32 v1, 3, v1
	ds_load_b64 v[145:146], v1 offset:224
	ds_load_2addr_b64 v[97:100], v1 offset0:26 offset1:27
	ds_load_2addr_b64 v[89:92], v1 offset0:24 offset1:25
	ds_load_2addr_b64 v[57:60], v1 offset1:1
	ds_load_2addr_b64 v[61:64], v1 offset0:2 offset1:3
	ds_load_2addr_b64 v[65:68], v1 offset0:4 offset1:5
	;; [unrolled: 1-line block ×11, first 2 shown]
	s_waitcnt lgkmcnt(0)
	s_barrier
	buffer_gl0_inv
	s_cbranch_scc1 .LBB50_67
; %bb.63:
	s_lshl_b64 s[2:3], s[2:3], 3
	s_delay_alu instid0(SALU_CYCLE_1) | instskip(SKIP_2) | instid1(SALU_CYCLE_1)
	s_add_u32 s2, s0, s2
	s_addc_u32 s3, s1, s3
	s_lshl_b64 s[0:1], s[16:17], 3
	s_add_u32 s0, s2, s0
	s_addc_u32 s1, s3, s1
	s_add_u32 s0, s0, -8
	s_addc_u32 s1, s1, -1
	s_cmp_eq_u64 s[4:5], s[18:19]
	s_load_b64 s[0:1], s[0:1], 0x0
	s_cbranch_scc1 .LBB50_68
; %bb.64:
	s_waitcnt lgkmcnt(0)
	v_dual_mov_b32 v2, s1 :: v_dual_mov_b32 v1, s0
	s_mov_b32 s2, 0
	s_mov_b32 s3, exec_lo
	ds_store_b64 v147, v[145:146]
	s_waitcnt lgkmcnt(0)
	s_barrier
	buffer_gl0_inv
	v_cmpx_ne_u32_e32 0, v0
	s_cbranch_execz .LBB50_66
; %bb.65:
	v_add_nc_u32_e32 v1, -8, v147
	ds_load_b64 v[1:2], v1
.LBB50_66:
	s_or_b32 exec_lo, exec_lo, s3
	v_add_f64 v[117:118], v[145:146], v[99:100]
	v_add_f64 v[3:4], v[99:100], v[97:98]
	;; [unrolled: 1-line block ×28, first 2 shown]
	s_waitcnt lgkmcnt(0)
	v_add_f64 v[73:74], v[57:58], v[1:2]
	s_and_b32 vcc_lo, exec_lo, s2
	s_cbranch_vccnz .LBB50_69
	s_branch .LBB50_72
.LBB50_67:
                                        ; implicit-def: $vgpr73_vgpr74
                                        ; implicit-def: $vgpr143_vgpr144
                                        ; implicit-def: $vgpr141_vgpr142
                                        ; implicit-def: $vgpr139_vgpr140
                                        ; implicit-def: $vgpr137_vgpr138
                                        ; implicit-def: $vgpr135_vgpr136
                                        ; implicit-def: $vgpr133_vgpr134
                                        ; implicit-def: $vgpr131_vgpr132
                                        ; implicit-def: $vgpr129_vgpr130
                                        ; implicit-def: $vgpr127_vgpr128
                                        ; implicit-def: $vgpr125_vgpr126
                                        ; implicit-def: $vgpr123_vgpr124
                                        ; implicit-def: $vgpr121_vgpr122
                                        ; implicit-def: $vgpr119_vgpr120
                                        ; implicit-def: $vgpr117_vgpr118
                                        ; implicit-def: $vgpr1_vgpr2_vgpr3_vgpr4
                                        ; implicit-def: $vgpr5_vgpr6_vgpr7_vgpr8
                                        ; implicit-def: $vgpr9_vgpr10_vgpr11_vgpr12
                                        ; implicit-def: $vgpr13_vgpr14_vgpr15_vgpr16
                                        ; implicit-def: $vgpr17_vgpr18_vgpr19_vgpr20
                                        ; implicit-def: $vgpr21_vgpr22_vgpr23_vgpr24
                                        ; implicit-def: $vgpr25_vgpr26_vgpr27_vgpr28
                                        ; implicit-def: $vgpr29_vgpr30_vgpr31_vgpr32
                                        ; implicit-def: $vgpr33_vgpr34_vgpr35_vgpr36
                                        ; implicit-def: $vgpr37_vgpr38_vgpr39_vgpr40
                                        ; implicit-def: $vgpr41_vgpr42_vgpr43_vgpr44
                                        ; implicit-def: $vgpr45_vgpr46_vgpr47_vgpr48
                                        ; implicit-def: $vgpr49_vgpr50_vgpr51_vgpr52
                                        ; implicit-def: $vgpr53_vgpr54_vgpr55_vgpr56
	s_branch .LBB50_73
.LBB50_68:
                                        ; implicit-def: $vgpr73_vgpr74
                                        ; implicit-def: $vgpr143_vgpr144
                                        ; implicit-def: $vgpr141_vgpr142
                                        ; implicit-def: $vgpr139_vgpr140
                                        ; implicit-def: $vgpr137_vgpr138
                                        ; implicit-def: $vgpr135_vgpr136
                                        ; implicit-def: $vgpr133_vgpr134
                                        ; implicit-def: $vgpr131_vgpr132
                                        ; implicit-def: $vgpr129_vgpr130
                                        ; implicit-def: $vgpr127_vgpr128
                                        ; implicit-def: $vgpr125_vgpr126
                                        ; implicit-def: $vgpr123_vgpr124
                                        ; implicit-def: $vgpr121_vgpr122
                                        ; implicit-def: $vgpr119_vgpr120
                                        ; implicit-def: $vgpr117_vgpr118
                                        ; implicit-def: $vgpr1_vgpr2_vgpr3_vgpr4
                                        ; implicit-def: $vgpr5_vgpr6_vgpr7_vgpr8
                                        ; implicit-def: $vgpr9_vgpr10_vgpr11_vgpr12
                                        ; implicit-def: $vgpr13_vgpr14_vgpr15_vgpr16
                                        ; implicit-def: $vgpr17_vgpr18_vgpr19_vgpr20
                                        ; implicit-def: $vgpr21_vgpr22_vgpr23_vgpr24
                                        ; implicit-def: $vgpr25_vgpr26_vgpr27_vgpr28
                                        ; implicit-def: $vgpr29_vgpr30_vgpr31_vgpr32
                                        ; implicit-def: $vgpr33_vgpr34_vgpr35_vgpr36
                                        ; implicit-def: $vgpr37_vgpr38_vgpr39_vgpr40
                                        ; implicit-def: $vgpr41_vgpr42_vgpr43_vgpr44
                                        ; implicit-def: $vgpr45_vgpr46_vgpr47_vgpr48
                                        ; implicit-def: $vgpr49_vgpr50_vgpr51_vgpr52
                                        ; implicit-def: $vgpr53_vgpr54_vgpr55_vgpr56
	s_cbranch_execz .LBB50_72
.LBB50_69:
	v_mul_u32_u24_e32 v5, 29, v0
	s_waitcnt lgkmcnt(0)
	v_dual_mov_b32 v2, s1 :: v_dual_mov_b32 v1, s0
	s_mov_b32 s0, exec_lo
	ds_store_b64 v147, v[145:146]
	s_waitcnt lgkmcnt(0)
	s_barrier
	buffer_gl0_inv
	v_cmpx_ne_u32_e32 0, v0
	s_cbranch_execz .LBB50_71
; %bb.70:
	v_add_nc_u32_e32 v1, -8, v147
	ds_load_b64 v[1:2], v1
.LBB50_71:
	s_or_b32 exec_lo, exec_lo, s0
	v_add_f64 v[3:4], v[145:146], v[99:100]
	v_add_f64 v[6:7], v[99:100], v[97:98]
	;; [unrolled: 1-line block ×9, first 2 shown]
	v_add_nc_u32_e32 v31, 27, v5
	s_mul_i32 s5, s4, 0xfffff180
	v_add_f64 v[18:19], v[109:110], v[111:112]
	s_add_i32 s5, s5, s10
	v_add_nc_u32_e32 v36, 22, v5
	v_cmp_gt_u32_e32 vcc_lo, s5, v31
	v_add_nc_u32_e32 v30, 28, v5
	v_add_f64 v[26:27], v[101:102], v[103:104]
	v_add_nc_u32_e32 v35, 23, v5
	v_add_f64 v[24:25], v[103:104], v[105:106]
	v_add_f64 v[28:29], v[95:96], v[101:102]
	v_cmp_gt_u32_e64 s1, s5, v30
	v_add_f64 v[41:42], v[63:64], v[65:66]
	v_cmp_gt_u32_e64 s4, s5, v35
	v_add_f64 v[45:46], v[57:58], v[59:60]
	s_waitcnt lgkmcnt(0)
	v_add_f64 v[1:2], v[57:58], v[1:2]
	v_cndmask_b32_e64 v118, v146, v4, s1
	v_cndmask_b32_e64 v117, v145, v3, s1
	v_dual_cndmask_b32 v4, v100, v7 :: v_dual_cndmask_b32 v3, v99, v6
	v_cmp_gt_u32_e32 vcc_lo, s5, v36
	v_add_nc_u32_e32 v6, 20, v5
	v_add_nc_u32_e32 v32, 26, v5
	v_add_f64 v[35:36], v[81:82], v[83:84]
	v_cmp_gt_u32_e64 s1, s5, v5
	v_dual_cndmask_b32 v123, v113, v16 :: v_dual_cndmask_b32 v124, v114, v17
	v_cmp_gt_u32_e32 vcc_lo, s5, v6
	v_add_nc_u32_e32 v6, 19, v5
	v_add_nc_u32_e32 v34, 24, v5
	v_cmp_gt_u32_e64 s0, s5, v32
	v_dual_cndmask_b32 v125, v109, v20 :: v_dual_cndmask_b32 v126, v110, v21
	s_delay_alu instid0(VALU_DEP_4)
	v_cmp_gt_u32_e32 vcc_lo, s5, v6
	v_add_nc_u32_e32 v33, 25, v5
	v_cmp_gt_u32_e64 s3, s5, v34
	v_cndmask_b32_e64 v119, v97, v8, s0
	v_cndmask_b32_e64 v120, v98, v9, s0
	v_cndmask_b32_e32 v20, v108, v23, vcc_lo
	v_cmp_gt_u32_e64 s2, s5, v33
	v_cndmask_b32_e64 v122, v90, v13, s3
	v_cndmask_b32_e64 v121, v89, v12, s3
	;; [unrolled: 1-line block ×3, first 2 shown]
	v_add_nc_u32_e32 v6, 17, v5
	v_cndmask_b32_e64 v8, v92, v11, s2
	v_cndmask_b32_e64 v11, v115, v14, s4
	v_add_f64 v[13:14], v[87:88], v[93:94]
	v_add_nc_u32_e32 v37, 21, v5
	v_cndmask_b32_e64 v7, v91, v10, s2
	v_add_f64 v[9:10], v[93:94], v[95:96]
	v_add_f64 v[33:34], v[83:84], v[85:86]
	v_cndmask_b32_e64 v74, v58, v2, s1
	v_cmp_gt_u32_e64 s0, s5, v37
	v_add_f64 v[37:38], v[67:68], v[69:70]
	v_cndmask_b32_e64 v73, v57, v1, s1
	s_delay_alu instid0(VALU_DEP_3) | instskip(SKIP_3) | instid1(VALU_DEP_1)
	v_cndmask_b32_e64 v16, v112, v19, s0
	v_cndmask_b32_e64 v15, v111, v18, s0
	v_add_f64 v[17:18], v[85:86], v[87:88]
	v_add_nc_u32_e32 v19, 18, v5
	v_cmp_gt_u32_e64 s0, s5, v19
	v_cndmask_b32_e32 v19, v107, v22, vcc_lo
	v_cmp_gt_u32_e32 vcc_lo, s5, v6
	v_add_nc_u32_e32 v6, 16, v5
	v_add_f64 v[21:22], v[79:80], v[81:82]
	v_cndmask_b32_e64 v127, v105, v24, s0
	v_cndmask_b32_e64 v128, v106, v25, s0
	v_dual_cndmask_b32 v24, v104, v27 :: v_dual_cndmask_b32 v23, v103, v26
	v_cmp_gt_u32_e32 vcc_lo, s5, v6
	v_add_nc_u32_e32 v6, 14, v5
	v_add_nc_u32_e32 v27, 15, v5
	v_add_f64 v[25:26], v[77:78], v[79:80]
	v_cndmask_b32_e32 v130, v102, v29, vcc_lo
	v_add_f64 v[29:30], v[71:72], v[77:78]
	v_cndmask_b32_e32 v129, v101, v28, vcc_lo
	v_cmp_gt_u32_e32 vcc_lo, s5, v6
	v_add_nc_u32_e32 v6, 13, v5
	v_cmp_gt_u32_e64 s0, s5, v27
	v_dual_cndmask_b32 v132, v94, v14 :: v_dual_add_nc_u32 v31, 12, v5
	v_cndmask_b32_e32 v131, v93, v13, vcc_lo
	s_delay_alu instid0(VALU_DEP_4)
	v_cmp_gt_u32_e32 vcc_lo, s5, v6
	v_add_nc_u32_e32 v6, 11, v5
	v_cndmask_b32_e64 v28, v96, v10, s0
	v_cndmask_b32_e64 v27, v95, v9, s0
	v_add_f64 v[9:10], v[69:70], v[71:72]
	v_cmp_gt_u32_e64 s0, s5, v31
	v_add_f64 v[13:14], v[65:66], v[67:68]
	v_dual_cndmask_b32 v32, v88, v18 :: v_dual_cndmask_b32 v31, v87, v17
	v_cmp_gt_u32_e32 vcc_lo, s5, v6
	v_add_nc_u32_e32 v6, 10, v5
	v_add_f64 v[17:18], v[61:62], v[63:64]
	v_cndmask_b32_e64 v134, v86, v34, s0
	v_cndmask_b32_e64 v133, v85, v33, s0
	v_dual_cndmask_b32 v36, v84, v36 :: v_dual_cndmask_b32 v35, v83, v35
	v_cmp_gt_u32_e32 vcc_lo, s5, v6
	v_add_nc_u32_e32 v6, 8, v5
	v_add_f64 v[33:34], v[59:60], v[61:62]
	v_dual_cndmask_b32 v136, v82, v22 :: v_dual_cndmask_b32 v135, v81, v21
	s_delay_alu instid0(VALU_DEP_3) | instskip(SKIP_3) | instid1(VALU_DEP_3)
	v_cmp_gt_u32_e32 vcc_lo, s5, v6
	v_add_nc_u32_e32 v6, 6, v5
	v_dual_cndmask_b32 v138, v78, v30 :: v_dual_add_nc_u32 v21, 7, v5
	v_cndmask_b32_e32 v137, v77, v29, vcc_lo
	v_cmp_gt_u32_e32 vcc_lo, s5, v6
	v_add_nc_u32_e32 v6, 4, v5
	v_dual_cndmask_b32 v140, v70, v38 :: v_dual_cndmask_b32 v139, v69, v37
	s_delay_alu instid0(VALU_DEP_2) | instskip(SKIP_3) | instid1(VALU_DEP_3)
	v_cmp_gt_u32_e32 vcc_lo, s5, v6
	v_add_nc_u32_e32 v39, 9, v5
	v_add_nc_u32_e32 v6, 2, v5
	v_cndmask_b32_e32 v142, v66, v42, vcc_lo
	v_cmp_gt_u32_e64 s0, s5, v39
	v_cndmask_b32_e32 v141, v65, v41, vcc_lo
	s_delay_alu instid0(VALU_DEP_4) | instskip(NEXT) | instid1(VALU_DEP_3)
	v_cmp_gt_u32_e32 vcc_lo, s5, v6
	v_cndmask_b32_e64 v40, v80, v26, s0
	v_cndmask_b32_e64 v39, v79, v25, s0
	v_cmp_gt_u32_e64 s0, s5, v21
	v_add_nc_u32_e32 v21, 5, v5
	s_delay_alu instid0(VALU_DEP_2) | instskip(SKIP_1) | instid1(VALU_DEP_3)
	v_cndmask_b32_e64 v44, v72, v10, s0
	v_cndmask_b32_e64 v43, v71, v9, s0
	v_cmp_gt_u32_e64 s0, s5, v21
	v_dual_cndmask_b32 v144, v62, v34 :: v_dual_add_nc_u32 v9, 3, v5
	v_cndmask_b32_e32 v143, v61, v33, vcc_lo
	s_delay_alu instid0(VALU_DEP_3) | instskip(SKIP_1) | instid1(VALU_DEP_4)
	v_cndmask_b32_e64 v48, v68, v14, s0
	v_cndmask_b32_e64 v47, v67, v13, s0
	v_cmp_gt_u32_e64 s0, s5, v9
	v_add_nc_u32_e32 v9, 1, v5
	s_delay_alu instid0(VALU_DEP_2) | instskip(SKIP_1) | instid1(VALU_DEP_3)
	v_cndmask_b32_e64 v52, v64, v18, s0
	v_cndmask_b32_e64 v51, v63, v17, s0
	v_cmp_gt_u32_e64 s0, s5, v9
	s_delay_alu instid0(VALU_DEP_1)
	v_cndmask_b32_e64 v56, v60, v46, s0
	v_cndmask_b32_e64 v55, v59, v45, s0
.LBB50_72:
	s_waitcnt lgkmcnt(0)
	s_cbranch_execnz .LBB50_81
.LBB50_73:
	v_add_f64 v[117:118], v[145:146], v[99:100]
	v_add_f64 v[3:4], v[99:100], v[97:98]
	;; [unrolled: 1-line block ×28, first 2 shown]
	v_cmp_ne_u32_e32 vcc_lo, 0, v0
	s_cmp_eq_u64 s[14:15], 1
	s_cbranch_scc1 .LBB50_77
; %bb.74:
	v_dual_mov_b32 v74, v58 :: v_dual_mov_b32 v73, v57
	s_mov_b32 s0, 0
	ds_store_b64 v147, v[145:146]
	s_waitcnt lgkmcnt(0)
	s_barrier
	buffer_gl0_inv
	s_and_saveexec_b32 s1, vcc_lo
	s_cbranch_execz .LBB50_76
; %bb.75:
	v_add_nc_u32_e32 v1, -8, v147
	ds_load_b64 v[1:2], v1
	s_waitcnt lgkmcnt(0)
	v_add_f64 v[73:74], v[57:58], v[1:2]
.LBB50_76:
	s_or_b32 exec_lo, exec_lo, s1
	s_delay_alu instid0(SALU_CYCLE_1)
	s_and_not1_b32 vcc_lo, exec_lo, s0
	s_cbranch_vccz .LBB50_78
	s_branch .LBB50_81
.LBB50_77:
                                        ; implicit-def: $vgpr73_vgpr74_vgpr75_vgpr76
.LBB50_78:
	v_mad_u32_u24 v1, v0, 29, 28
	v_mad_u32_u24 v2, v0, 29, 27
	;; [unrolled: 1-line block ×3, first 2 shown]
	v_mul_u32_u24_e32 v5, 29, v0
	ds_store_b64 v147, v[145:146]
	v_cmp_gt_u32_e32 vcc_lo, s10, v1
	v_mad_u32_u24 v1, v0, 29, 25
	v_cmp_gt_u32_e64 s0, s10, v2
	v_mad_u32_u24 v2, v0, 29, 24
	v_cmp_gt_u32_e64 s1, s10, v5
	v_dual_cndmask_b32 v118, v146, v118 :: v_dual_cndmask_b32 v117, v145, v117
	v_cmp_gt_u32_e32 vcc_lo, s10, v6
	v_cndmask_b32_e64 v4, v100, v4, s0
	v_cndmask_b32_e64 v3, v99, v3, s0
	v_cmp_gt_u32_e64 s0, s10, v1
	v_mad_u32_u24 v1, v0, 29, 23
	v_dual_cndmask_b32 v120, v98, v120 :: v_dual_cndmask_b32 v119, v97, v119
	v_cmp_gt_u32_e32 vcc_lo, s10, v2
	v_mad_u32_u24 v2, v0, 29, 22
	v_cndmask_b32_e64 v8, v92, v8, s0
	v_cndmask_b32_e64 v7, v91, v7, s0
	v_cmp_gt_u32_e64 s0, s10, v1
	v_mad_u32_u24 v1, v0, 29, 21
	v_dual_cndmask_b32 v122, v90, v122 :: v_dual_cndmask_b32 v121, v89, v121
	v_cmp_gt_u32_e32 vcc_lo, s10, v2
	v_mad_u32_u24 v2, v0, 29, 20
	;; [unrolled: 7-line block ×11, first 2 shown]
	v_cndmask_b32_e64 v48, v68, v48, s0
	v_cndmask_b32_e64 v47, v67, v47, s0
	v_cmp_gt_u32_e64 s0, s10, v1
	v_mad_u32_u24 v1, v0, 29, 1
	v_dual_cndmask_b32 v142, v66, v142 :: v_dual_cndmask_b32 v141, v65, v141
	v_cmp_gt_u32_e32 vcc_lo, s10, v2
	s_delay_alu instid0(VALU_DEP_4)
	v_cndmask_b32_e64 v52, v64, v52, s0
	v_cndmask_b32_e64 v51, v63, v51, s0
	v_cmp_gt_u32_e64 s0, s10, v1
	s_waitcnt lgkmcnt(0)
	v_dual_cndmask_b32 v144, v62, v144 :: v_dual_cndmask_b32 v143, v61, v143
	v_cmp_ne_u32_e32 vcc_lo, 0, v0
	s_delay_alu instid0(VALU_DEP_3) | instskip(SKIP_4) | instid1(SALU_CYCLE_1)
	v_cndmask_b32_e64 v56, v60, v56, s0
	v_cndmask_b32_e64 v55, v59, v55, s0
	s_barrier
	buffer_gl0_inv
	s_and_b32 s1, vcc_lo, s1
	s_and_saveexec_b32 s0, s1
	s_cbranch_execz .LBB50_80
; %bb.79:
	v_add_nc_u32_e32 v1, -8, v147
	ds_load_b64 v[1:2], v1
	s_waitcnt lgkmcnt(0)
	v_add_f64 v[57:58], v[57:58], v[1:2]
.LBB50_80:
	s_or_b32 exec_lo, exec_lo, s0
	s_delay_alu instid0(VALU_DEP_1)
	v_dual_mov_b32 v74, v58 :: v_dual_mov_b32 v73, v57
.LBB50_81:
	v_mul_u32_u24_e32 v5, 0xe8, v0
	v_mul_i32_i24_e32 v6, 0xffffff20, v0
	s_add_u32 s3, s8, s12
	s_addc_u32 s2, s9, s13
	s_and_b32 vcc_lo, exec_lo, s22
	s_barrier
	buffer_gl0_inv
	s_cbranch_vccz .LBB50_139
; %bb.82:
	v_mad_u32_u24 v1, 0xe8, v0, v6
	ds_store_2addr_b64 v5, v[73:74], v[55:56] offset1:1
	ds_store_2addr_b64 v5, v[143:144], v[51:52] offset0:2 offset1:3
	ds_store_2addr_b64 v5, v[141:142], v[47:48] offset0:4 offset1:5
	;; [unrolled: 1-line block ×13, first 2 shown]
	ds_store_b64 v5, v[117:118] offset:224
	s_waitcnt lgkmcnt(0)
	s_barrier
	buffer_gl0_inv
	ds_load_2addr_stride64_b64 v[111:114], v1 offset0:2 offset1:4
	ds_load_2addr_stride64_b64 v[107:110], v1 offset0:6 offset1:8
	;; [unrolled: 1-line block ×14, first 2 shown]
	s_mov_b32 s7, 0
	s_add_i32 s11, s11, s10
	s_lshl_b64 s[0:1], s[6:7], 3
	s_delay_alu instid0(SALU_CYCLE_1) | instskip(SKIP_2) | instid1(VALU_DEP_1)
	s_add_u32 s0, s3, s0
	s_addc_u32 s1, s2, s1
	v_add_co_u32 v1, s0, s0, v147
	v_add_co_ci_u32_e64 v2, null, s1, 0, s0
	s_mov_b32 s0, exec_lo
	v_cmpx_gt_u32_e64 s11, v0
	s_cbranch_execz .LBB50_84
; %bb.83:
	v_add_nc_u32_e32 v9, v5, v6
	ds_load_b64 v[9:10], v9
	s_waitcnt lgkmcnt(0)
	global_store_b64 v[1:2], v[9:10], off
.LBB50_84:
	s_or_b32 exec_lo, exec_lo, s0
	v_or_b32_e32 v9, 0x80, v0
	s_mov_b32 s0, exec_lo
	s_delay_alu instid0(VALU_DEP_1)
	v_cmpx_gt_u32_e64 s11, v9
	s_cbranch_execz .LBB50_86
; %bb.85:
	s_waitcnt lgkmcnt(13)
	global_store_b64 v[1:2], v[111:112], off offset:1024
.LBB50_86:
	s_or_b32 exec_lo, exec_lo, s0
	v_or_b32_e32 v9, 0x100, v0
	s_mov_b32 s0, exec_lo
	s_delay_alu instid0(VALU_DEP_1)
	v_cmpx_gt_u32_e64 s11, v9
	s_cbranch_execz .LBB50_88
; %bb.87:
	s_waitcnt lgkmcnt(13)
	global_store_b64 v[1:2], v[113:114], off offset:2048
.LBB50_88:
	s_or_b32 exec_lo, exec_lo, s0
	v_or_b32_e32 v9, 0x180, v0
	s_mov_b32 s0, exec_lo
	s_delay_alu instid0(VALU_DEP_1)
	v_cmpx_gt_u32_e64 s11, v9
	s_cbranch_execz .LBB50_90
; %bb.89:
	s_waitcnt lgkmcnt(12)
	global_store_b64 v[1:2], v[107:108], off offset:3072
.LBB50_90:
	s_or_b32 exec_lo, exec_lo, s0
	v_or_b32_e32 v9, 0x200, v0
	s_mov_b32 s0, exec_lo
	s_delay_alu instid0(VALU_DEP_1)
	v_cmpx_gt_u32_e64 s11, v9
	s_cbranch_execz .LBB50_92
; %bb.91:
	v_add_co_u32 v9, vcc_lo, 0x1000, v1
	v_add_co_ci_u32_e32 v10, vcc_lo, 0, v2, vcc_lo
	s_waitcnt lgkmcnt(12)
	global_store_b64 v[9:10], v[109:110], off
.LBB50_92:
	s_or_b32 exec_lo, exec_lo, s0
	v_or_b32_e32 v9, 0x280, v0
	s_mov_b32 s0, exec_lo
	s_delay_alu instid0(VALU_DEP_1)
	v_cmpx_gt_u32_e64 s11, v9
	s_cbranch_execz .LBB50_94
; %bb.93:
	v_add_co_u32 v9, vcc_lo, 0x1000, v1
	v_add_co_ci_u32_e32 v10, vcc_lo, 0, v2, vcc_lo
	s_waitcnt lgkmcnt(11)
	global_store_b64 v[9:10], v[103:104], off offset:1024
.LBB50_94:
	s_or_b32 exec_lo, exec_lo, s0
	v_or_b32_e32 v9, 0x300, v0
	s_mov_b32 s0, exec_lo
	s_delay_alu instid0(VALU_DEP_1)
	v_cmpx_gt_u32_e64 s11, v9
	s_cbranch_execz .LBB50_96
; %bb.95:
	v_add_co_u32 v9, vcc_lo, 0x1000, v1
	v_add_co_ci_u32_e32 v10, vcc_lo, 0, v2, vcc_lo
	s_waitcnt lgkmcnt(11)
	global_store_b64 v[9:10], v[105:106], off offset:2048
.LBB50_96:
	s_or_b32 exec_lo, exec_lo, s0
	v_or_b32_e32 v9, 0x380, v0
	s_mov_b32 s0, exec_lo
	s_delay_alu instid0(VALU_DEP_1)
	v_cmpx_gt_u32_e64 s11, v9
	s_cbranch_execz .LBB50_98
; %bb.97:
	v_add_co_u32 v9, vcc_lo, 0x1000, v1
	v_add_co_ci_u32_e32 v10, vcc_lo, 0, v2, vcc_lo
	s_waitcnt lgkmcnt(10)
	global_store_b64 v[9:10], v[99:100], off offset:3072
.LBB50_98:
	s_or_b32 exec_lo, exec_lo, s0
	v_or_b32_e32 v9, 0x400, v0
	s_mov_b32 s0, exec_lo
	s_delay_alu instid0(VALU_DEP_1)
	v_cmpx_gt_u32_e64 s11, v9
	s_cbranch_execz .LBB50_100
; %bb.99:
	v_add_co_u32 v9, vcc_lo, 0x2000, v1
	v_add_co_ci_u32_e32 v10, vcc_lo, 0, v2, vcc_lo
	s_waitcnt lgkmcnt(10)
	global_store_b64 v[9:10], v[101:102], off
.LBB50_100:
	s_or_b32 exec_lo, exec_lo, s0
	v_or_b32_e32 v9, 0x480, v0
	s_mov_b32 s0, exec_lo
	s_delay_alu instid0(VALU_DEP_1)
	v_cmpx_gt_u32_e64 s11, v9
	s_cbranch_execz .LBB50_102
; %bb.101:
	v_add_co_u32 v9, vcc_lo, 0x2000, v1
	v_add_co_ci_u32_e32 v10, vcc_lo, 0, v2, vcc_lo
	s_waitcnt lgkmcnt(9)
	global_store_b64 v[9:10], v[95:96], off offset:1024
.LBB50_102:
	s_or_b32 exec_lo, exec_lo, s0
	v_or_b32_e32 v9, 0x500, v0
	s_mov_b32 s0, exec_lo
	s_delay_alu instid0(VALU_DEP_1)
	v_cmpx_gt_u32_e64 s11, v9
	s_cbranch_execz .LBB50_104
; %bb.103:
	v_add_co_u32 v9, vcc_lo, 0x2000, v1
	v_add_co_ci_u32_e32 v10, vcc_lo, 0, v2, vcc_lo
	s_waitcnt lgkmcnt(9)
	global_store_b64 v[9:10], v[97:98], off offset:2048
.LBB50_104:
	s_or_b32 exec_lo, exec_lo, s0
	v_or_b32_e32 v9, 0x580, v0
	s_mov_b32 s0, exec_lo
	s_delay_alu instid0(VALU_DEP_1)
	v_cmpx_gt_u32_e64 s11, v9
	s_cbranch_execz .LBB50_106
; %bb.105:
	v_add_co_u32 v9, vcc_lo, 0x2000, v1
	v_add_co_ci_u32_e32 v10, vcc_lo, 0, v2, vcc_lo
	s_waitcnt lgkmcnt(8)
	global_store_b64 v[9:10], v[91:92], off offset:3072
.LBB50_106:
	;; [unrolled: 48-line block ×6, first 2 shown]
	s_or_b32 exec_lo, exec_lo, s0
	v_or_b32_e32 v9, 0xe00, v0
	s_delay_alu instid0(VALU_DEP_1)
	v_cmp_gt_u32_e64 s4, s11, v9
	s_branch .LBB50_141
.LBB50_139:
	s_mov_b32 s4, 0
                                        ; implicit-def: $vgpr59_vgpr60
                                        ; implicit-def: $vgpr1_vgpr2
	s_cbranch_execz .LBB50_141
; %bb.140:
	v_mad_u32_u24 v0, 0xe8, v0, v6
	ds_store_2addr_b64 v5, v[73:74], v[55:56] offset1:1
	ds_store_2addr_b64 v5, v[143:144], v[51:52] offset0:2 offset1:3
	ds_store_2addr_b64 v5, v[141:142], v[47:48] offset0:4 offset1:5
	ds_store_2addr_b64 v5, v[139:140], v[43:44] offset0:6 offset1:7
	ds_store_2addr_b64 v5, v[137:138], v[39:40] offset0:8 offset1:9
	ds_store_2addr_b64 v5, v[135:136], v[35:36] offset0:10 offset1:11
	ds_store_2addr_b64 v5, v[133:134], v[31:32] offset0:12 offset1:13
	ds_store_2addr_b64 v5, v[131:132], v[27:28] offset0:14 offset1:15
	ds_store_2addr_b64 v5, v[129:130], v[23:24] offset0:16 offset1:17
	ds_store_2addr_b64 v5, v[127:128], v[19:20] offset0:18 offset1:19
	ds_store_2addr_b64 v5, v[125:126], v[15:16] offset0:20 offset1:21
	ds_store_2addr_b64 v5, v[123:124], v[11:12] offset0:22 offset1:23
	ds_store_2addr_b64 v5, v[121:122], v[7:8] offset0:24 offset1:25
	ds_store_2addr_b64 v5, v[119:120], v[3:4] offset0:26 offset1:27
	ds_store_b64 v5, v[117:118] offset:224
	s_waitcnt lgkmcnt(0)
	s_waitcnt_vscnt null, 0x0
	s_barrier
	buffer_gl0_inv
	ds_load_2addr_stride64_b64 v[3:6], v0 offset1:2
	s_mov_b32 s7, 0
	ds_load_2addr_stride64_b64 v[7:10], v0 offset0:4 offset1:6
	ds_load_2addr_stride64_b64 v[11:14], v0 offset0:8 offset1:10
	;; [unrolled: 1-line block ×13, first 2 shown]
	ds_load_b64 v[59:60], v0 offset:28672
	s_lshl_b64 s[0:1], s[6:7], 3
	s_delay_alu instid0(SALU_CYCLE_1) | instskip(SKIP_2) | instid1(VALU_DEP_1)
	s_add_u32 s0, s3, s0
	s_addc_u32 s1, s2, s1
	v_add_co_u32 v1, s2, s0, v147
	v_add_co_ci_u32_e64 v2, null, s1, 0, s2
	s_or_b32 s4, s4, exec_lo
	s_waitcnt lgkmcnt(14)
	s_clause 0x1
	global_store_b64 v147, v[3:4], s[0:1]
	global_store_b64 v147, v[5:6], s[0:1] offset:1024
	s_waitcnt lgkmcnt(13)
	s_clause 0x1
	global_store_b64 v147, v[7:8], s[0:1] offset:2048
	global_store_b64 v147, v[9:10], s[0:1] offset:3072
	v_add_co_u32 v3, vcc_lo, 0x1000, v1
	v_add_co_ci_u32_e32 v4, vcc_lo, 0, v2, vcc_lo
	v_add_co_u32 v5, vcc_lo, v1, 0x2000
	v_add_co_ci_u32_e32 v6, vcc_lo, 0, v2, vcc_lo
	v_add_co_u32 v7, vcc_lo, 0x2000, v1
	v_add_co_ci_u32_e32 v8, vcc_lo, 0, v2, vcc_lo
	s_waitcnt lgkmcnt(10)
	s_clause 0x4
	global_store_b64 v[5:6], v[19:20], off
	global_store_b64 v[3:4], v[13:14], off offset:1024
	global_store_b64 v[3:4], v[15:16], off offset:2048
	;; [unrolled: 1-line block ×4, first 2 shown]
	v_add_co_u32 v3, vcc_lo, 0x3000, v1
	v_add_co_ci_u32_e32 v4, vcc_lo, 0, v2, vcc_lo
	v_add_co_u32 v9, vcc_lo, v1, 0x4000
	v_add_co_ci_u32_e32 v10, vcc_lo, 0, v2, vcc_lo
	;; [unrolled: 2-line block ×3, first 2 shown]
	s_waitcnt lgkmcnt(9)
	s_clause 0x1
	global_store_b64 v[7:8], v[23:24], off offset:2048
	global_store_b64 v[7:8], v[25:26], off offset:3072
	s_waitcnt lgkmcnt(8)
	global_store_b64 v[3:4], v[29:30], off offset:1024
	s_waitcnt lgkmcnt(7)
	s_clause 0x1
	global_store_b64 v[3:4], v[31:32], off offset:2048
	global_store_b64 v[3:4], v[33:34], off offset:3072
	s_waitcnt lgkmcnt(6)
	global_store_b64 v[13:14], v[37:38], off offset:1024
	s_waitcnt lgkmcnt(5)
	s_clause 0x1
	global_store_b64 v[13:14], v[39:40], off offset:2048
	global_store_b64 v[13:14], v[41:42], off offset:3072
	v_add_co_u32 v3, vcc_lo, 0x5000, v1
	v_add_co_ci_u32_e32 v4, vcc_lo, 0, v2, vcc_lo
	v_add_co_u32 v7, vcc_lo, v1, 0x6000
	v_add_co_ci_u32_e32 v8, vcc_lo, 0, v2, vcc_lo
	;; [unrolled: 2-line block ×3, first 2 shown]
	s_clause 0x1
	global_store_b64 v[9:10], v[27:28], off offset:-4096
	global_store_b64 v[9:10], v[35:36], off
	s_waitcnt lgkmcnt(4)
	global_store_b64 v[7:8], v[43:44], off offset:-4096
	s_waitcnt lgkmcnt(2)
	s_clause 0x4
	global_store_b64 v[7:8], v[51:52], off
	global_store_b64 v[3:4], v[45:46], off offset:1024
	global_store_b64 v[3:4], v[47:48], off offset:2048
	;; [unrolled: 1-line block ×4, first 2 shown]
	s_waitcnt lgkmcnt(1)
	s_clause 0x2
	global_store_b64 v[13:14], v[55:56], off offset:2048
	global_store_b64 v[5:6], v[11:12], off offset:-4096
	global_store_b64 v[13:14], v[57:58], off offset:3072
.LBB50_141:
	s_delay_alu instid0(VALU_DEP_1)
	s_and_saveexec_b32 s0, s4
	s_cbranch_execnz .LBB50_143
; %bb.142:
	s_nop 0
	s_sendmsg sendmsg(MSG_DEALLOC_VGPRS)
	s_endpgm
.LBB50_143:
	v_add_co_u32 v0, vcc_lo, 0x7000, v1
	v_add_co_ci_u32_e32 v1, vcc_lo, 0, v2, vcc_lo
	s_waitcnt lgkmcnt(0)
	global_store_b64 v[0:1], v[59:60], off
	s_nop 0
	s_sendmsg sendmsg(MSG_DEALLOC_VGPRS)
	s_endpgm
	.section	.rodata,"a",@progbits
	.p2align	6, 0x0
	.amdhsa_kernel _ZN7rocprim17ROCPRIM_400000_NS6detail17trampoline_kernelINS0_14default_configENS1_35adjacent_difference_config_selectorILb1EdEEZNS1_24adjacent_difference_implIS3_Lb1ELb0EPdS7_N6thrust23THRUST_200600_302600_NS4plusIdEEEE10hipError_tPvRmT2_T3_mT4_P12ihipStream_tbEUlT_E_NS1_11comp_targetILNS1_3genE9ELNS1_11target_archE1100ELNS1_3gpuE3ELNS1_3repE0EEENS1_30default_config_static_selectorELNS0_4arch9wavefront6targetE0EEEvT1_
		.amdhsa_group_segment_fixed_size 29696
		.amdhsa_private_segment_fixed_size 0
		.amdhsa_kernarg_size 56
		.amdhsa_user_sgpr_count 15
		.amdhsa_user_sgpr_dispatch_ptr 0
		.amdhsa_user_sgpr_queue_ptr 0
		.amdhsa_user_sgpr_kernarg_segment_ptr 1
		.amdhsa_user_sgpr_dispatch_id 0
		.amdhsa_user_sgpr_private_segment_size 0
		.amdhsa_wavefront_size32 1
		.amdhsa_uses_dynamic_stack 0
		.amdhsa_enable_private_segment 0
		.amdhsa_system_sgpr_workgroup_id_x 1
		.amdhsa_system_sgpr_workgroup_id_y 0
		.amdhsa_system_sgpr_workgroup_id_z 0
		.amdhsa_system_sgpr_workgroup_info 0
		.amdhsa_system_vgpr_workitem_id 0
		.amdhsa_next_free_vgpr 148
		.amdhsa_next_free_sgpr 26
		.amdhsa_reserve_vcc 1
		.amdhsa_float_round_mode_32 0
		.amdhsa_float_round_mode_16_64 0
		.amdhsa_float_denorm_mode_32 3
		.amdhsa_float_denorm_mode_16_64 3
		.amdhsa_dx10_clamp 1
		.amdhsa_ieee_mode 1
		.amdhsa_fp16_overflow 0
		.amdhsa_workgroup_processor_mode 1
		.amdhsa_memory_ordered 1
		.amdhsa_forward_progress 0
		.amdhsa_shared_vgpr_count 0
		.amdhsa_exception_fp_ieee_invalid_op 0
		.amdhsa_exception_fp_denorm_src 0
		.amdhsa_exception_fp_ieee_div_zero 0
		.amdhsa_exception_fp_ieee_overflow 0
		.amdhsa_exception_fp_ieee_underflow 0
		.amdhsa_exception_fp_ieee_inexact 0
		.amdhsa_exception_int_div_zero 0
	.end_amdhsa_kernel
	.section	.text._ZN7rocprim17ROCPRIM_400000_NS6detail17trampoline_kernelINS0_14default_configENS1_35adjacent_difference_config_selectorILb1EdEEZNS1_24adjacent_difference_implIS3_Lb1ELb0EPdS7_N6thrust23THRUST_200600_302600_NS4plusIdEEEE10hipError_tPvRmT2_T3_mT4_P12ihipStream_tbEUlT_E_NS1_11comp_targetILNS1_3genE9ELNS1_11target_archE1100ELNS1_3gpuE3ELNS1_3repE0EEENS1_30default_config_static_selectorELNS0_4arch9wavefront6targetE0EEEvT1_,"axG",@progbits,_ZN7rocprim17ROCPRIM_400000_NS6detail17trampoline_kernelINS0_14default_configENS1_35adjacent_difference_config_selectorILb1EdEEZNS1_24adjacent_difference_implIS3_Lb1ELb0EPdS7_N6thrust23THRUST_200600_302600_NS4plusIdEEEE10hipError_tPvRmT2_T3_mT4_P12ihipStream_tbEUlT_E_NS1_11comp_targetILNS1_3genE9ELNS1_11target_archE1100ELNS1_3gpuE3ELNS1_3repE0EEENS1_30default_config_static_selectorELNS0_4arch9wavefront6targetE0EEEvT1_,comdat
.Lfunc_end50:
	.size	_ZN7rocprim17ROCPRIM_400000_NS6detail17trampoline_kernelINS0_14default_configENS1_35adjacent_difference_config_selectorILb1EdEEZNS1_24adjacent_difference_implIS3_Lb1ELb0EPdS7_N6thrust23THRUST_200600_302600_NS4plusIdEEEE10hipError_tPvRmT2_T3_mT4_P12ihipStream_tbEUlT_E_NS1_11comp_targetILNS1_3genE9ELNS1_11target_archE1100ELNS1_3gpuE3ELNS1_3repE0EEENS1_30default_config_static_selectorELNS0_4arch9wavefront6targetE0EEEvT1_, .Lfunc_end50-_ZN7rocprim17ROCPRIM_400000_NS6detail17trampoline_kernelINS0_14default_configENS1_35adjacent_difference_config_selectorILb1EdEEZNS1_24adjacent_difference_implIS3_Lb1ELb0EPdS7_N6thrust23THRUST_200600_302600_NS4plusIdEEEE10hipError_tPvRmT2_T3_mT4_P12ihipStream_tbEUlT_E_NS1_11comp_targetILNS1_3genE9ELNS1_11target_archE1100ELNS1_3gpuE3ELNS1_3repE0EEENS1_30default_config_static_selectorELNS0_4arch9wavefront6targetE0EEEvT1_
                                        ; -- End function
	.section	.AMDGPU.csdata,"",@progbits
; Kernel info:
; codeLenInByte = 8100
; NumSgprs: 28
; NumVgprs: 148
; ScratchSize: 0
; MemoryBound: 0
; FloatMode: 240
; IeeeMode: 1
; LDSByteSize: 29696 bytes/workgroup (compile time only)
; SGPRBlocks: 3
; VGPRBlocks: 18
; NumSGPRsForWavesPerEU: 28
; NumVGPRsForWavesPerEU: 148
; Occupancy: 4
; WaveLimiterHint : 1
; COMPUTE_PGM_RSRC2:SCRATCH_EN: 0
; COMPUTE_PGM_RSRC2:USER_SGPR: 15
; COMPUTE_PGM_RSRC2:TRAP_HANDLER: 0
; COMPUTE_PGM_RSRC2:TGID_X_EN: 1
; COMPUTE_PGM_RSRC2:TGID_Y_EN: 0
; COMPUTE_PGM_RSRC2:TGID_Z_EN: 0
; COMPUTE_PGM_RSRC2:TIDIG_COMP_CNT: 0
	.section	.text._ZN7rocprim17ROCPRIM_400000_NS6detail17trampoline_kernelINS0_14default_configENS1_35adjacent_difference_config_selectorILb1EdEEZNS1_24adjacent_difference_implIS3_Lb1ELb0EPdS7_N6thrust23THRUST_200600_302600_NS4plusIdEEEE10hipError_tPvRmT2_T3_mT4_P12ihipStream_tbEUlT_E_NS1_11comp_targetILNS1_3genE8ELNS1_11target_archE1030ELNS1_3gpuE2ELNS1_3repE0EEENS1_30default_config_static_selectorELNS0_4arch9wavefront6targetE0EEEvT1_,"axG",@progbits,_ZN7rocprim17ROCPRIM_400000_NS6detail17trampoline_kernelINS0_14default_configENS1_35adjacent_difference_config_selectorILb1EdEEZNS1_24adjacent_difference_implIS3_Lb1ELb0EPdS7_N6thrust23THRUST_200600_302600_NS4plusIdEEEE10hipError_tPvRmT2_T3_mT4_P12ihipStream_tbEUlT_E_NS1_11comp_targetILNS1_3genE8ELNS1_11target_archE1030ELNS1_3gpuE2ELNS1_3repE0EEENS1_30default_config_static_selectorELNS0_4arch9wavefront6targetE0EEEvT1_,comdat
	.protected	_ZN7rocprim17ROCPRIM_400000_NS6detail17trampoline_kernelINS0_14default_configENS1_35adjacent_difference_config_selectorILb1EdEEZNS1_24adjacent_difference_implIS3_Lb1ELb0EPdS7_N6thrust23THRUST_200600_302600_NS4plusIdEEEE10hipError_tPvRmT2_T3_mT4_P12ihipStream_tbEUlT_E_NS1_11comp_targetILNS1_3genE8ELNS1_11target_archE1030ELNS1_3gpuE2ELNS1_3repE0EEENS1_30default_config_static_selectorELNS0_4arch9wavefront6targetE0EEEvT1_ ; -- Begin function _ZN7rocprim17ROCPRIM_400000_NS6detail17trampoline_kernelINS0_14default_configENS1_35adjacent_difference_config_selectorILb1EdEEZNS1_24adjacent_difference_implIS3_Lb1ELb0EPdS7_N6thrust23THRUST_200600_302600_NS4plusIdEEEE10hipError_tPvRmT2_T3_mT4_P12ihipStream_tbEUlT_E_NS1_11comp_targetILNS1_3genE8ELNS1_11target_archE1030ELNS1_3gpuE2ELNS1_3repE0EEENS1_30default_config_static_selectorELNS0_4arch9wavefront6targetE0EEEvT1_
	.globl	_ZN7rocprim17ROCPRIM_400000_NS6detail17trampoline_kernelINS0_14default_configENS1_35adjacent_difference_config_selectorILb1EdEEZNS1_24adjacent_difference_implIS3_Lb1ELb0EPdS7_N6thrust23THRUST_200600_302600_NS4plusIdEEEE10hipError_tPvRmT2_T3_mT4_P12ihipStream_tbEUlT_E_NS1_11comp_targetILNS1_3genE8ELNS1_11target_archE1030ELNS1_3gpuE2ELNS1_3repE0EEENS1_30default_config_static_selectorELNS0_4arch9wavefront6targetE0EEEvT1_
	.p2align	8
	.type	_ZN7rocprim17ROCPRIM_400000_NS6detail17trampoline_kernelINS0_14default_configENS1_35adjacent_difference_config_selectorILb1EdEEZNS1_24adjacent_difference_implIS3_Lb1ELb0EPdS7_N6thrust23THRUST_200600_302600_NS4plusIdEEEE10hipError_tPvRmT2_T3_mT4_P12ihipStream_tbEUlT_E_NS1_11comp_targetILNS1_3genE8ELNS1_11target_archE1030ELNS1_3gpuE2ELNS1_3repE0EEENS1_30default_config_static_selectorELNS0_4arch9wavefront6targetE0EEEvT1_,@function
_ZN7rocprim17ROCPRIM_400000_NS6detail17trampoline_kernelINS0_14default_configENS1_35adjacent_difference_config_selectorILb1EdEEZNS1_24adjacent_difference_implIS3_Lb1ELb0EPdS7_N6thrust23THRUST_200600_302600_NS4plusIdEEEE10hipError_tPvRmT2_T3_mT4_P12ihipStream_tbEUlT_E_NS1_11comp_targetILNS1_3genE8ELNS1_11target_archE1030ELNS1_3gpuE2ELNS1_3repE0EEENS1_30default_config_static_selectorELNS0_4arch9wavefront6targetE0EEEvT1_: ; @_ZN7rocprim17ROCPRIM_400000_NS6detail17trampoline_kernelINS0_14default_configENS1_35adjacent_difference_config_selectorILb1EdEEZNS1_24adjacent_difference_implIS3_Lb1ELb0EPdS7_N6thrust23THRUST_200600_302600_NS4plusIdEEEE10hipError_tPvRmT2_T3_mT4_P12ihipStream_tbEUlT_E_NS1_11comp_targetILNS1_3genE8ELNS1_11target_archE1030ELNS1_3gpuE2ELNS1_3repE0EEENS1_30default_config_static_selectorELNS0_4arch9wavefront6targetE0EEEvT1_
; %bb.0:
	.section	.rodata,"a",@progbits
	.p2align	6, 0x0
	.amdhsa_kernel _ZN7rocprim17ROCPRIM_400000_NS6detail17trampoline_kernelINS0_14default_configENS1_35adjacent_difference_config_selectorILb1EdEEZNS1_24adjacent_difference_implIS3_Lb1ELb0EPdS7_N6thrust23THRUST_200600_302600_NS4plusIdEEEE10hipError_tPvRmT2_T3_mT4_P12ihipStream_tbEUlT_E_NS1_11comp_targetILNS1_3genE8ELNS1_11target_archE1030ELNS1_3gpuE2ELNS1_3repE0EEENS1_30default_config_static_selectorELNS0_4arch9wavefront6targetE0EEEvT1_
		.amdhsa_group_segment_fixed_size 0
		.amdhsa_private_segment_fixed_size 0
		.amdhsa_kernarg_size 56
		.amdhsa_user_sgpr_count 15
		.amdhsa_user_sgpr_dispatch_ptr 0
		.amdhsa_user_sgpr_queue_ptr 0
		.amdhsa_user_sgpr_kernarg_segment_ptr 1
		.amdhsa_user_sgpr_dispatch_id 0
		.amdhsa_user_sgpr_private_segment_size 0
		.amdhsa_wavefront_size32 1
		.amdhsa_uses_dynamic_stack 0
		.amdhsa_enable_private_segment 0
		.amdhsa_system_sgpr_workgroup_id_x 1
		.amdhsa_system_sgpr_workgroup_id_y 0
		.amdhsa_system_sgpr_workgroup_id_z 0
		.amdhsa_system_sgpr_workgroup_info 0
		.amdhsa_system_vgpr_workitem_id 0
		.amdhsa_next_free_vgpr 1
		.amdhsa_next_free_sgpr 1
		.amdhsa_reserve_vcc 0
		.amdhsa_float_round_mode_32 0
		.amdhsa_float_round_mode_16_64 0
		.amdhsa_float_denorm_mode_32 3
		.amdhsa_float_denorm_mode_16_64 3
		.amdhsa_dx10_clamp 1
		.amdhsa_ieee_mode 1
		.amdhsa_fp16_overflow 0
		.amdhsa_workgroup_processor_mode 1
		.amdhsa_memory_ordered 1
		.amdhsa_forward_progress 0
		.amdhsa_shared_vgpr_count 0
		.amdhsa_exception_fp_ieee_invalid_op 0
		.amdhsa_exception_fp_denorm_src 0
		.amdhsa_exception_fp_ieee_div_zero 0
		.amdhsa_exception_fp_ieee_overflow 0
		.amdhsa_exception_fp_ieee_underflow 0
		.amdhsa_exception_fp_ieee_inexact 0
		.amdhsa_exception_int_div_zero 0
	.end_amdhsa_kernel
	.section	.text._ZN7rocprim17ROCPRIM_400000_NS6detail17trampoline_kernelINS0_14default_configENS1_35adjacent_difference_config_selectorILb1EdEEZNS1_24adjacent_difference_implIS3_Lb1ELb0EPdS7_N6thrust23THRUST_200600_302600_NS4plusIdEEEE10hipError_tPvRmT2_T3_mT4_P12ihipStream_tbEUlT_E_NS1_11comp_targetILNS1_3genE8ELNS1_11target_archE1030ELNS1_3gpuE2ELNS1_3repE0EEENS1_30default_config_static_selectorELNS0_4arch9wavefront6targetE0EEEvT1_,"axG",@progbits,_ZN7rocprim17ROCPRIM_400000_NS6detail17trampoline_kernelINS0_14default_configENS1_35adjacent_difference_config_selectorILb1EdEEZNS1_24adjacent_difference_implIS3_Lb1ELb0EPdS7_N6thrust23THRUST_200600_302600_NS4plusIdEEEE10hipError_tPvRmT2_T3_mT4_P12ihipStream_tbEUlT_E_NS1_11comp_targetILNS1_3genE8ELNS1_11target_archE1030ELNS1_3gpuE2ELNS1_3repE0EEENS1_30default_config_static_selectorELNS0_4arch9wavefront6targetE0EEEvT1_,comdat
.Lfunc_end51:
	.size	_ZN7rocprim17ROCPRIM_400000_NS6detail17trampoline_kernelINS0_14default_configENS1_35adjacent_difference_config_selectorILb1EdEEZNS1_24adjacent_difference_implIS3_Lb1ELb0EPdS7_N6thrust23THRUST_200600_302600_NS4plusIdEEEE10hipError_tPvRmT2_T3_mT4_P12ihipStream_tbEUlT_E_NS1_11comp_targetILNS1_3genE8ELNS1_11target_archE1030ELNS1_3gpuE2ELNS1_3repE0EEENS1_30default_config_static_selectorELNS0_4arch9wavefront6targetE0EEEvT1_, .Lfunc_end51-_ZN7rocprim17ROCPRIM_400000_NS6detail17trampoline_kernelINS0_14default_configENS1_35adjacent_difference_config_selectorILb1EdEEZNS1_24adjacent_difference_implIS3_Lb1ELb0EPdS7_N6thrust23THRUST_200600_302600_NS4plusIdEEEE10hipError_tPvRmT2_T3_mT4_P12ihipStream_tbEUlT_E_NS1_11comp_targetILNS1_3genE8ELNS1_11target_archE1030ELNS1_3gpuE2ELNS1_3repE0EEENS1_30default_config_static_selectorELNS0_4arch9wavefront6targetE0EEEvT1_
                                        ; -- End function
	.section	.AMDGPU.csdata,"",@progbits
; Kernel info:
; codeLenInByte = 0
; NumSgprs: 0
; NumVgprs: 0
; ScratchSize: 0
; MemoryBound: 0
; FloatMode: 240
; IeeeMode: 1
; LDSByteSize: 0 bytes/workgroup (compile time only)
; SGPRBlocks: 0
; VGPRBlocks: 0
; NumSGPRsForWavesPerEU: 1
; NumVGPRsForWavesPerEU: 1
; Occupancy: 16
; WaveLimiterHint : 0
; COMPUTE_PGM_RSRC2:SCRATCH_EN: 0
; COMPUTE_PGM_RSRC2:USER_SGPR: 15
; COMPUTE_PGM_RSRC2:TRAP_HANDLER: 0
; COMPUTE_PGM_RSRC2:TGID_X_EN: 1
; COMPUTE_PGM_RSRC2:TGID_Y_EN: 0
; COMPUTE_PGM_RSRC2:TGID_Z_EN: 0
; COMPUTE_PGM_RSRC2:TIDIG_COMP_CNT: 0
	.section	.text._ZN6thrust23THRUST_200600_302600_NS11hip_rocprim14__parallel_for6kernelILj256ENS1_20__uninitialized_fill7functorINS0_10device_ptrIfEEfEEmLj1EEEvT0_T1_SA_,"axG",@progbits,_ZN6thrust23THRUST_200600_302600_NS11hip_rocprim14__parallel_for6kernelILj256ENS1_20__uninitialized_fill7functorINS0_10device_ptrIfEEfEEmLj1EEEvT0_T1_SA_,comdat
	.protected	_ZN6thrust23THRUST_200600_302600_NS11hip_rocprim14__parallel_for6kernelILj256ENS1_20__uninitialized_fill7functorINS0_10device_ptrIfEEfEEmLj1EEEvT0_T1_SA_ ; -- Begin function _ZN6thrust23THRUST_200600_302600_NS11hip_rocprim14__parallel_for6kernelILj256ENS1_20__uninitialized_fill7functorINS0_10device_ptrIfEEfEEmLj1EEEvT0_T1_SA_
	.globl	_ZN6thrust23THRUST_200600_302600_NS11hip_rocprim14__parallel_for6kernelILj256ENS1_20__uninitialized_fill7functorINS0_10device_ptrIfEEfEEmLj1EEEvT0_T1_SA_
	.p2align	8
	.type	_ZN6thrust23THRUST_200600_302600_NS11hip_rocprim14__parallel_for6kernelILj256ENS1_20__uninitialized_fill7functorINS0_10device_ptrIfEEfEEmLj1EEEvT0_T1_SA_,@function
_ZN6thrust23THRUST_200600_302600_NS11hip_rocprim14__parallel_for6kernelILj256ENS1_20__uninitialized_fill7functorINS0_10device_ptrIfEEfEEmLj1EEEvT0_T1_SA_: ; @_ZN6thrust23THRUST_200600_302600_NS11hip_rocprim14__parallel_for6kernelILj256ENS1_20__uninitialized_fill7functorINS0_10device_ptrIfEEfEEmLj1EEEvT0_T1_SA_
; %bb.0:
	s_load_b128 s[4:7], s[0:1], 0x10
	s_lshl_b32 s2, s15, 8
	s_waitcnt lgkmcnt(0)
	s_add_u32 s2, s2, s6
	s_addc_u32 s3, 0, s7
	s_sub_u32 s4, s4, s2
	s_subb_u32 s5, s5, s3
	s_delay_alu instid0(SALU_CYCLE_1) | instskip(NEXT) | instid1(VALU_DEP_1)
	v_cmp_gt_u64_e64 s5, 0x100, s[4:5]
	s_and_b32 vcc_lo, exec_lo, s5
	s_mov_b32 s5, 0
	s_cbranch_vccz .LBB52_2
; %bb.1:
	v_cmp_gt_u32_e32 vcc_lo, s4, v0
	s_and_b32 s5, vcc_lo, exec_lo
	s_cbranch_execz .LBB52_3
	s_branch .LBB52_4
.LBB52_2:
.LBB52_3:
	s_or_b32 s5, s5, exec_lo
.LBB52_4:
	s_delay_alu instid0(SALU_CYCLE_1)
	s_and_saveexec_b32 s4, s5
	s_cbranch_execnz .LBB52_6
; %bb.5:
	s_endpgm
.LBB52_6:
	s_clause 0x1
	s_load_b64 s[4:5], s[0:1], 0x0
	s_load_b32 s6, s[0:1], 0x8
	v_mov_b32_e32 v1, 0
	s_lshl_b64 s[0:1], s[2:3], 2
	s_waitcnt lgkmcnt(0)
	s_add_u32 s0, s4, s0
	v_mov_b32_e32 v2, s6
	v_lshlrev_b64 v[0:1], 2, v[0:1]
	s_addc_u32 s1, s5, s1
	s_delay_alu instid0(VALU_DEP_1) | instskip(NEXT) | instid1(VALU_DEP_2)
	v_add_co_u32 v0, vcc_lo, s0, v0
	v_add_co_ci_u32_e32 v1, vcc_lo, s1, v1, vcc_lo
	flat_store_b32 v[0:1], v2
	s_endpgm
	.section	.rodata,"a",@progbits
	.p2align	6, 0x0
	.amdhsa_kernel _ZN6thrust23THRUST_200600_302600_NS11hip_rocprim14__parallel_for6kernelILj256ENS1_20__uninitialized_fill7functorINS0_10device_ptrIfEEfEEmLj1EEEvT0_T1_SA_
		.amdhsa_group_segment_fixed_size 0
		.amdhsa_private_segment_fixed_size 0
		.amdhsa_kernarg_size 32
		.amdhsa_user_sgpr_count 15
		.amdhsa_user_sgpr_dispatch_ptr 0
		.amdhsa_user_sgpr_queue_ptr 0
		.amdhsa_user_sgpr_kernarg_segment_ptr 1
		.amdhsa_user_sgpr_dispatch_id 0
		.amdhsa_user_sgpr_private_segment_size 0
		.amdhsa_wavefront_size32 1
		.amdhsa_uses_dynamic_stack 0
		.amdhsa_enable_private_segment 0
		.amdhsa_system_sgpr_workgroup_id_x 1
		.amdhsa_system_sgpr_workgroup_id_y 0
		.amdhsa_system_sgpr_workgroup_id_z 0
		.amdhsa_system_sgpr_workgroup_info 0
		.amdhsa_system_vgpr_workitem_id 0
		.amdhsa_next_free_vgpr 3
		.amdhsa_next_free_sgpr 16
		.amdhsa_reserve_vcc 1
		.amdhsa_float_round_mode_32 0
		.amdhsa_float_round_mode_16_64 0
		.amdhsa_float_denorm_mode_32 3
		.amdhsa_float_denorm_mode_16_64 3
		.amdhsa_dx10_clamp 1
		.amdhsa_ieee_mode 1
		.amdhsa_fp16_overflow 0
		.amdhsa_workgroup_processor_mode 1
		.amdhsa_memory_ordered 1
		.amdhsa_forward_progress 0
		.amdhsa_shared_vgpr_count 0
		.amdhsa_exception_fp_ieee_invalid_op 0
		.amdhsa_exception_fp_denorm_src 0
		.amdhsa_exception_fp_ieee_div_zero 0
		.amdhsa_exception_fp_ieee_overflow 0
		.amdhsa_exception_fp_ieee_underflow 0
		.amdhsa_exception_fp_ieee_inexact 0
		.amdhsa_exception_int_div_zero 0
	.end_amdhsa_kernel
	.section	.text._ZN6thrust23THRUST_200600_302600_NS11hip_rocprim14__parallel_for6kernelILj256ENS1_20__uninitialized_fill7functorINS0_10device_ptrIfEEfEEmLj1EEEvT0_T1_SA_,"axG",@progbits,_ZN6thrust23THRUST_200600_302600_NS11hip_rocprim14__parallel_for6kernelILj256ENS1_20__uninitialized_fill7functorINS0_10device_ptrIfEEfEEmLj1EEEvT0_T1_SA_,comdat
.Lfunc_end52:
	.size	_ZN6thrust23THRUST_200600_302600_NS11hip_rocprim14__parallel_for6kernelILj256ENS1_20__uninitialized_fill7functorINS0_10device_ptrIfEEfEEmLj1EEEvT0_T1_SA_, .Lfunc_end52-_ZN6thrust23THRUST_200600_302600_NS11hip_rocprim14__parallel_for6kernelILj256ENS1_20__uninitialized_fill7functorINS0_10device_ptrIfEEfEEmLj1EEEvT0_T1_SA_
                                        ; -- End function
	.section	.AMDGPU.csdata,"",@progbits
; Kernel info:
; codeLenInByte = 176
; NumSgprs: 18
; NumVgprs: 3
; ScratchSize: 0
; MemoryBound: 0
; FloatMode: 240
; IeeeMode: 1
; LDSByteSize: 0 bytes/workgroup (compile time only)
; SGPRBlocks: 2
; VGPRBlocks: 0
; NumSGPRsForWavesPerEU: 18
; NumVGPRsForWavesPerEU: 3
; Occupancy: 16
; WaveLimiterHint : 0
; COMPUTE_PGM_RSRC2:SCRATCH_EN: 0
; COMPUTE_PGM_RSRC2:USER_SGPR: 15
; COMPUTE_PGM_RSRC2:TRAP_HANDLER: 0
; COMPUTE_PGM_RSRC2:TGID_X_EN: 1
; COMPUTE_PGM_RSRC2:TGID_Y_EN: 0
; COMPUTE_PGM_RSRC2:TGID_Z_EN: 0
; COMPUTE_PGM_RSRC2:TIDIG_COMP_CNT: 0
	.section	.text._ZN7rocprim17ROCPRIM_400000_NS6detail17trampoline_kernelINS0_14default_configENS1_35adjacent_difference_config_selectorILb0EfEEZNS1_24adjacent_difference_implIS3_Lb0ELb0EPfS7_N6thrust23THRUST_200600_302600_NS5minusIfEEEE10hipError_tPvRmT2_T3_mT4_P12ihipStream_tbEUlT_E_NS1_11comp_targetILNS1_3genE0ELNS1_11target_archE4294967295ELNS1_3gpuE0ELNS1_3repE0EEENS1_30default_config_static_selectorELNS0_4arch9wavefront6targetE0EEEvT1_,"axG",@progbits,_ZN7rocprim17ROCPRIM_400000_NS6detail17trampoline_kernelINS0_14default_configENS1_35adjacent_difference_config_selectorILb0EfEEZNS1_24adjacent_difference_implIS3_Lb0ELb0EPfS7_N6thrust23THRUST_200600_302600_NS5minusIfEEEE10hipError_tPvRmT2_T3_mT4_P12ihipStream_tbEUlT_E_NS1_11comp_targetILNS1_3genE0ELNS1_11target_archE4294967295ELNS1_3gpuE0ELNS1_3repE0EEENS1_30default_config_static_selectorELNS0_4arch9wavefront6targetE0EEEvT1_,comdat
	.protected	_ZN7rocprim17ROCPRIM_400000_NS6detail17trampoline_kernelINS0_14default_configENS1_35adjacent_difference_config_selectorILb0EfEEZNS1_24adjacent_difference_implIS3_Lb0ELb0EPfS7_N6thrust23THRUST_200600_302600_NS5minusIfEEEE10hipError_tPvRmT2_T3_mT4_P12ihipStream_tbEUlT_E_NS1_11comp_targetILNS1_3genE0ELNS1_11target_archE4294967295ELNS1_3gpuE0ELNS1_3repE0EEENS1_30default_config_static_selectorELNS0_4arch9wavefront6targetE0EEEvT1_ ; -- Begin function _ZN7rocprim17ROCPRIM_400000_NS6detail17trampoline_kernelINS0_14default_configENS1_35adjacent_difference_config_selectorILb0EfEEZNS1_24adjacent_difference_implIS3_Lb0ELb0EPfS7_N6thrust23THRUST_200600_302600_NS5minusIfEEEE10hipError_tPvRmT2_T3_mT4_P12ihipStream_tbEUlT_E_NS1_11comp_targetILNS1_3genE0ELNS1_11target_archE4294967295ELNS1_3gpuE0ELNS1_3repE0EEENS1_30default_config_static_selectorELNS0_4arch9wavefront6targetE0EEEvT1_
	.globl	_ZN7rocprim17ROCPRIM_400000_NS6detail17trampoline_kernelINS0_14default_configENS1_35adjacent_difference_config_selectorILb0EfEEZNS1_24adjacent_difference_implIS3_Lb0ELb0EPfS7_N6thrust23THRUST_200600_302600_NS5minusIfEEEE10hipError_tPvRmT2_T3_mT4_P12ihipStream_tbEUlT_E_NS1_11comp_targetILNS1_3genE0ELNS1_11target_archE4294967295ELNS1_3gpuE0ELNS1_3repE0EEENS1_30default_config_static_selectorELNS0_4arch9wavefront6targetE0EEEvT1_
	.p2align	8
	.type	_ZN7rocprim17ROCPRIM_400000_NS6detail17trampoline_kernelINS0_14default_configENS1_35adjacent_difference_config_selectorILb0EfEEZNS1_24adjacent_difference_implIS3_Lb0ELb0EPfS7_N6thrust23THRUST_200600_302600_NS5minusIfEEEE10hipError_tPvRmT2_T3_mT4_P12ihipStream_tbEUlT_E_NS1_11comp_targetILNS1_3genE0ELNS1_11target_archE4294967295ELNS1_3gpuE0ELNS1_3repE0EEENS1_30default_config_static_selectorELNS0_4arch9wavefront6targetE0EEEvT1_,@function
_ZN7rocprim17ROCPRIM_400000_NS6detail17trampoline_kernelINS0_14default_configENS1_35adjacent_difference_config_selectorILb0EfEEZNS1_24adjacent_difference_implIS3_Lb0ELb0EPfS7_N6thrust23THRUST_200600_302600_NS5minusIfEEEE10hipError_tPvRmT2_T3_mT4_P12ihipStream_tbEUlT_E_NS1_11comp_targetILNS1_3genE0ELNS1_11target_archE4294967295ELNS1_3gpuE0ELNS1_3repE0EEENS1_30default_config_static_selectorELNS0_4arch9wavefront6targetE0EEEvT1_: ; @_ZN7rocprim17ROCPRIM_400000_NS6detail17trampoline_kernelINS0_14default_configENS1_35adjacent_difference_config_selectorILb0EfEEZNS1_24adjacent_difference_implIS3_Lb0ELb0EPfS7_N6thrust23THRUST_200600_302600_NS5minusIfEEEE10hipError_tPvRmT2_T3_mT4_P12ihipStream_tbEUlT_E_NS1_11comp_targetILNS1_3genE0ELNS1_11target_archE4294967295ELNS1_3gpuE0ELNS1_3repE0EEENS1_30default_config_static_selectorELNS0_4arch9wavefront6targetE0EEEvT1_
; %bb.0:
	.section	.rodata,"a",@progbits
	.p2align	6, 0x0
	.amdhsa_kernel _ZN7rocprim17ROCPRIM_400000_NS6detail17trampoline_kernelINS0_14default_configENS1_35adjacent_difference_config_selectorILb0EfEEZNS1_24adjacent_difference_implIS3_Lb0ELb0EPfS7_N6thrust23THRUST_200600_302600_NS5minusIfEEEE10hipError_tPvRmT2_T3_mT4_P12ihipStream_tbEUlT_E_NS1_11comp_targetILNS1_3genE0ELNS1_11target_archE4294967295ELNS1_3gpuE0ELNS1_3repE0EEENS1_30default_config_static_selectorELNS0_4arch9wavefront6targetE0EEEvT1_
		.amdhsa_group_segment_fixed_size 0
		.amdhsa_private_segment_fixed_size 0
		.amdhsa_kernarg_size 56
		.amdhsa_user_sgpr_count 15
		.amdhsa_user_sgpr_dispatch_ptr 0
		.amdhsa_user_sgpr_queue_ptr 0
		.amdhsa_user_sgpr_kernarg_segment_ptr 1
		.amdhsa_user_sgpr_dispatch_id 0
		.amdhsa_user_sgpr_private_segment_size 0
		.amdhsa_wavefront_size32 1
		.amdhsa_uses_dynamic_stack 0
		.amdhsa_enable_private_segment 0
		.amdhsa_system_sgpr_workgroup_id_x 1
		.amdhsa_system_sgpr_workgroup_id_y 0
		.amdhsa_system_sgpr_workgroup_id_z 0
		.amdhsa_system_sgpr_workgroup_info 0
		.amdhsa_system_vgpr_workitem_id 0
		.amdhsa_next_free_vgpr 1
		.amdhsa_next_free_sgpr 1
		.amdhsa_reserve_vcc 0
		.amdhsa_float_round_mode_32 0
		.amdhsa_float_round_mode_16_64 0
		.amdhsa_float_denorm_mode_32 3
		.amdhsa_float_denorm_mode_16_64 3
		.amdhsa_dx10_clamp 1
		.amdhsa_ieee_mode 1
		.amdhsa_fp16_overflow 0
		.amdhsa_workgroup_processor_mode 1
		.amdhsa_memory_ordered 1
		.amdhsa_forward_progress 0
		.amdhsa_shared_vgpr_count 0
		.amdhsa_exception_fp_ieee_invalid_op 0
		.amdhsa_exception_fp_denorm_src 0
		.amdhsa_exception_fp_ieee_div_zero 0
		.amdhsa_exception_fp_ieee_overflow 0
		.amdhsa_exception_fp_ieee_underflow 0
		.amdhsa_exception_fp_ieee_inexact 0
		.amdhsa_exception_int_div_zero 0
	.end_amdhsa_kernel
	.section	.text._ZN7rocprim17ROCPRIM_400000_NS6detail17trampoline_kernelINS0_14default_configENS1_35adjacent_difference_config_selectorILb0EfEEZNS1_24adjacent_difference_implIS3_Lb0ELb0EPfS7_N6thrust23THRUST_200600_302600_NS5minusIfEEEE10hipError_tPvRmT2_T3_mT4_P12ihipStream_tbEUlT_E_NS1_11comp_targetILNS1_3genE0ELNS1_11target_archE4294967295ELNS1_3gpuE0ELNS1_3repE0EEENS1_30default_config_static_selectorELNS0_4arch9wavefront6targetE0EEEvT1_,"axG",@progbits,_ZN7rocprim17ROCPRIM_400000_NS6detail17trampoline_kernelINS0_14default_configENS1_35adjacent_difference_config_selectorILb0EfEEZNS1_24adjacent_difference_implIS3_Lb0ELb0EPfS7_N6thrust23THRUST_200600_302600_NS5minusIfEEEE10hipError_tPvRmT2_T3_mT4_P12ihipStream_tbEUlT_E_NS1_11comp_targetILNS1_3genE0ELNS1_11target_archE4294967295ELNS1_3gpuE0ELNS1_3repE0EEENS1_30default_config_static_selectorELNS0_4arch9wavefront6targetE0EEEvT1_,comdat
.Lfunc_end53:
	.size	_ZN7rocprim17ROCPRIM_400000_NS6detail17trampoline_kernelINS0_14default_configENS1_35adjacent_difference_config_selectorILb0EfEEZNS1_24adjacent_difference_implIS3_Lb0ELb0EPfS7_N6thrust23THRUST_200600_302600_NS5minusIfEEEE10hipError_tPvRmT2_T3_mT4_P12ihipStream_tbEUlT_E_NS1_11comp_targetILNS1_3genE0ELNS1_11target_archE4294967295ELNS1_3gpuE0ELNS1_3repE0EEENS1_30default_config_static_selectorELNS0_4arch9wavefront6targetE0EEEvT1_, .Lfunc_end53-_ZN7rocprim17ROCPRIM_400000_NS6detail17trampoline_kernelINS0_14default_configENS1_35adjacent_difference_config_selectorILb0EfEEZNS1_24adjacent_difference_implIS3_Lb0ELb0EPfS7_N6thrust23THRUST_200600_302600_NS5minusIfEEEE10hipError_tPvRmT2_T3_mT4_P12ihipStream_tbEUlT_E_NS1_11comp_targetILNS1_3genE0ELNS1_11target_archE4294967295ELNS1_3gpuE0ELNS1_3repE0EEENS1_30default_config_static_selectorELNS0_4arch9wavefront6targetE0EEEvT1_
                                        ; -- End function
	.section	.AMDGPU.csdata,"",@progbits
; Kernel info:
; codeLenInByte = 0
; NumSgprs: 0
; NumVgprs: 0
; ScratchSize: 0
; MemoryBound: 0
; FloatMode: 240
; IeeeMode: 1
; LDSByteSize: 0 bytes/workgroup (compile time only)
; SGPRBlocks: 0
; VGPRBlocks: 0
; NumSGPRsForWavesPerEU: 1
; NumVGPRsForWavesPerEU: 1
; Occupancy: 16
; WaveLimiterHint : 0
; COMPUTE_PGM_RSRC2:SCRATCH_EN: 0
; COMPUTE_PGM_RSRC2:USER_SGPR: 15
; COMPUTE_PGM_RSRC2:TRAP_HANDLER: 0
; COMPUTE_PGM_RSRC2:TGID_X_EN: 1
; COMPUTE_PGM_RSRC2:TGID_Y_EN: 0
; COMPUTE_PGM_RSRC2:TGID_Z_EN: 0
; COMPUTE_PGM_RSRC2:TIDIG_COMP_CNT: 0
	.section	.text._ZN7rocprim17ROCPRIM_400000_NS6detail17trampoline_kernelINS0_14default_configENS1_35adjacent_difference_config_selectorILb0EfEEZNS1_24adjacent_difference_implIS3_Lb0ELb0EPfS7_N6thrust23THRUST_200600_302600_NS5minusIfEEEE10hipError_tPvRmT2_T3_mT4_P12ihipStream_tbEUlT_E_NS1_11comp_targetILNS1_3genE10ELNS1_11target_archE1201ELNS1_3gpuE5ELNS1_3repE0EEENS1_30default_config_static_selectorELNS0_4arch9wavefront6targetE0EEEvT1_,"axG",@progbits,_ZN7rocprim17ROCPRIM_400000_NS6detail17trampoline_kernelINS0_14default_configENS1_35adjacent_difference_config_selectorILb0EfEEZNS1_24adjacent_difference_implIS3_Lb0ELb0EPfS7_N6thrust23THRUST_200600_302600_NS5minusIfEEEE10hipError_tPvRmT2_T3_mT4_P12ihipStream_tbEUlT_E_NS1_11comp_targetILNS1_3genE10ELNS1_11target_archE1201ELNS1_3gpuE5ELNS1_3repE0EEENS1_30default_config_static_selectorELNS0_4arch9wavefront6targetE0EEEvT1_,comdat
	.protected	_ZN7rocprim17ROCPRIM_400000_NS6detail17trampoline_kernelINS0_14default_configENS1_35adjacent_difference_config_selectorILb0EfEEZNS1_24adjacent_difference_implIS3_Lb0ELb0EPfS7_N6thrust23THRUST_200600_302600_NS5minusIfEEEE10hipError_tPvRmT2_T3_mT4_P12ihipStream_tbEUlT_E_NS1_11comp_targetILNS1_3genE10ELNS1_11target_archE1201ELNS1_3gpuE5ELNS1_3repE0EEENS1_30default_config_static_selectorELNS0_4arch9wavefront6targetE0EEEvT1_ ; -- Begin function _ZN7rocprim17ROCPRIM_400000_NS6detail17trampoline_kernelINS0_14default_configENS1_35adjacent_difference_config_selectorILb0EfEEZNS1_24adjacent_difference_implIS3_Lb0ELb0EPfS7_N6thrust23THRUST_200600_302600_NS5minusIfEEEE10hipError_tPvRmT2_T3_mT4_P12ihipStream_tbEUlT_E_NS1_11comp_targetILNS1_3genE10ELNS1_11target_archE1201ELNS1_3gpuE5ELNS1_3repE0EEENS1_30default_config_static_selectorELNS0_4arch9wavefront6targetE0EEEvT1_
	.globl	_ZN7rocprim17ROCPRIM_400000_NS6detail17trampoline_kernelINS0_14default_configENS1_35adjacent_difference_config_selectorILb0EfEEZNS1_24adjacent_difference_implIS3_Lb0ELb0EPfS7_N6thrust23THRUST_200600_302600_NS5minusIfEEEE10hipError_tPvRmT2_T3_mT4_P12ihipStream_tbEUlT_E_NS1_11comp_targetILNS1_3genE10ELNS1_11target_archE1201ELNS1_3gpuE5ELNS1_3repE0EEENS1_30default_config_static_selectorELNS0_4arch9wavefront6targetE0EEEvT1_
	.p2align	8
	.type	_ZN7rocprim17ROCPRIM_400000_NS6detail17trampoline_kernelINS0_14default_configENS1_35adjacent_difference_config_selectorILb0EfEEZNS1_24adjacent_difference_implIS3_Lb0ELb0EPfS7_N6thrust23THRUST_200600_302600_NS5minusIfEEEE10hipError_tPvRmT2_T3_mT4_P12ihipStream_tbEUlT_E_NS1_11comp_targetILNS1_3genE10ELNS1_11target_archE1201ELNS1_3gpuE5ELNS1_3repE0EEENS1_30default_config_static_selectorELNS0_4arch9wavefront6targetE0EEEvT1_,@function
_ZN7rocprim17ROCPRIM_400000_NS6detail17trampoline_kernelINS0_14default_configENS1_35adjacent_difference_config_selectorILb0EfEEZNS1_24adjacent_difference_implIS3_Lb0ELb0EPfS7_N6thrust23THRUST_200600_302600_NS5minusIfEEEE10hipError_tPvRmT2_T3_mT4_P12ihipStream_tbEUlT_E_NS1_11comp_targetILNS1_3genE10ELNS1_11target_archE1201ELNS1_3gpuE5ELNS1_3repE0EEENS1_30default_config_static_selectorELNS0_4arch9wavefront6targetE0EEEvT1_: ; @_ZN7rocprim17ROCPRIM_400000_NS6detail17trampoline_kernelINS0_14default_configENS1_35adjacent_difference_config_selectorILb0EfEEZNS1_24adjacent_difference_implIS3_Lb0ELb0EPfS7_N6thrust23THRUST_200600_302600_NS5minusIfEEEE10hipError_tPvRmT2_T3_mT4_P12ihipStream_tbEUlT_E_NS1_11comp_targetILNS1_3genE10ELNS1_11target_archE1201ELNS1_3gpuE5ELNS1_3repE0EEENS1_30default_config_static_selectorELNS0_4arch9wavefront6targetE0EEEvT1_
; %bb.0:
	.section	.rodata,"a",@progbits
	.p2align	6, 0x0
	.amdhsa_kernel _ZN7rocprim17ROCPRIM_400000_NS6detail17trampoline_kernelINS0_14default_configENS1_35adjacent_difference_config_selectorILb0EfEEZNS1_24adjacent_difference_implIS3_Lb0ELb0EPfS7_N6thrust23THRUST_200600_302600_NS5minusIfEEEE10hipError_tPvRmT2_T3_mT4_P12ihipStream_tbEUlT_E_NS1_11comp_targetILNS1_3genE10ELNS1_11target_archE1201ELNS1_3gpuE5ELNS1_3repE0EEENS1_30default_config_static_selectorELNS0_4arch9wavefront6targetE0EEEvT1_
		.amdhsa_group_segment_fixed_size 0
		.amdhsa_private_segment_fixed_size 0
		.amdhsa_kernarg_size 56
		.amdhsa_user_sgpr_count 15
		.amdhsa_user_sgpr_dispatch_ptr 0
		.amdhsa_user_sgpr_queue_ptr 0
		.amdhsa_user_sgpr_kernarg_segment_ptr 1
		.amdhsa_user_sgpr_dispatch_id 0
		.amdhsa_user_sgpr_private_segment_size 0
		.amdhsa_wavefront_size32 1
		.amdhsa_uses_dynamic_stack 0
		.amdhsa_enable_private_segment 0
		.amdhsa_system_sgpr_workgroup_id_x 1
		.amdhsa_system_sgpr_workgroup_id_y 0
		.amdhsa_system_sgpr_workgroup_id_z 0
		.amdhsa_system_sgpr_workgroup_info 0
		.amdhsa_system_vgpr_workitem_id 0
		.amdhsa_next_free_vgpr 1
		.amdhsa_next_free_sgpr 1
		.amdhsa_reserve_vcc 0
		.amdhsa_float_round_mode_32 0
		.amdhsa_float_round_mode_16_64 0
		.amdhsa_float_denorm_mode_32 3
		.amdhsa_float_denorm_mode_16_64 3
		.amdhsa_dx10_clamp 1
		.amdhsa_ieee_mode 1
		.amdhsa_fp16_overflow 0
		.amdhsa_workgroup_processor_mode 1
		.amdhsa_memory_ordered 1
		.amdhsa_forward_progress 0
		.amdhsa_shared_vgpr_count 0
		.amdhsa_exception_fp_ieee_invalid_op 0
		.amdhsa_exception_fp_denorm_src 0
		.amdhsa_exception_fp_ieee_div_zero 0
		.amdhsa_exception_fp_ieee_overflow 0
		.amdhsa_exception_fp_ieee_underflow 0
		.amdhsa_exception_fp_ieee_inexact 0
		.amdhsa_exception_int_div_zero 0
	.end_amdhsa_kernel
	.section	.text._ZN7rocprim17ROCPRIM_400000_NS6detail17trampoline_kernelINS0_14default_configENS1_35adjacent_difference_config_selectorILb0EfEEZNS1_24adjacent_difference_implIS3_Lb0ELb0EPfS7_N6thrust23THRUST_200600_302600_NS5minusIfEEEE10hipError_tPvRmT2_T3_mT4_P12ihipStream_tbEUlT_E_NS1_11comp_targetILNS1_3genE10ELNS1_11target_archE1201ELNS1_3gpuE5ELNS1_3repE0EEENS1_30default_config_static_selectorELNS0_4arch9wavefront6targetE0EEEvT1_,"axG",@progbits,_ZN7rocprim17ROCPRIM_400000_NS6detail17trampoline_kernelINS0_14default_configENS1_35adjacent_difference_config_selectorILb0EfEEZNS1_24adjacent_difference_implIS3_Lb0ELb0EPfS7_N6thrust23THRUST_200600_302600_NS5minusIfEEEE10hipError_tPvRmT2_T3_mT4_P12ihipStream_tbEUlT_E_NS1_11comp_targetILNS1_3genE10ELNS1_11target_archE1201ELNS1_3gpuE5ELNS1_3repE0EEENS1_30default_config_static_selectorELNS0_4arch9wavefront6targetE0EEEvT1_,comdat
.Lfunc_end54:
	.size	_ZN7rocprim17ROCPRIM_400000_NS6detail17trampoline_kernelINS0_14default_configENS1_35adjacent_difference_config_selectorILb0EfEEZNS1_24adjacent_difference_implIS3_Lb0ELb0EPfS7_N6thrust23THRUST_200600_302600_NS5minusIfEEEE10hipError_tPvRmT2_T3_mT4_P12ihipStream_tbEUlT_E_NS1_11comp_targetILNS1_3genE10ELNS1_11target_archE1201ELNS1_3gpuE5ELNS1_3repE0EEENS1_30default_config_static_selectorELNS0_4arch9wavefront6targetE0EEEvT1_, .Lfunc_end54-_ZN7rocprim17ROCPRIM_400000_NS6detail17trampoline_kernelINS0_14default_configENS1_35adjacent_difference_config_selectorILb0EfEEZNS1_24adjacent_difference_implIS3_Lb0ELb0EPfS7_N6thrust23THRUST_200600_302600_NS5minusIfEEEE10hipError_tPvRmT2_T3_mT4_P12ihipStream_tbEUlT_E_NS1_11comp_targetILNS1_3genE10ELNS1_11target_archE1201ELNS1_3gpuE5ELNS1_3repE0EEENS1_30default_config_static_selectorELNS0_4arch9wavefront6targetE0EEEvT1_
                                        ; -- End function
	.section	.AMDGPU.csdata,"",@progbits
; Kernel info:
; codeLenInByte = 0
; NumSgprs: 0
; NumVgprs: 0
; ScratchSize: 0
; MemoryBound: 0
; FloatMode: 240
; IeeeMode: 1
; LDSByteSize: 0 bytes/workgroup (compile time only)
; SGPRBlocks: 0
; VGPRBlocks: 0
; NumSGPRsForWavesPerEU: 1
; NumVGPRsForWavesPerEU: 1
; Occupancy: 16
; WaveLimiterHint : 0
; COMPUTE_PGM_RSRC2:SCRATCH_EN: 0
; COMPUTE_PGM_RSRC2:USER_SGPR: 15
; COMPUTE_PGM_RSRC2:TRAP_HANDLER: 0
; COMPUTE_PGM_RSRC2:TGID_X_EN: 1
; COMPUTE_PGM_RSRC2:TGID_Y_EN: 0
; COMPUTE_PGM_RSRC2:TGID_Z_EN: 0
; COMPUTE_PGM_RSRC2:TIDIG_COMP_CNT: 0
	.section	.text._ZN7rocprim17ROCPRIM_400000_NS6detail17trampoline_kernelINS0_14default_configENS1_35adjacent_difference_config_selectorILb0EfEEZNS1_24adjacent_difference_implIS3_Lb0ELb0EPfS7_N6thrust23THRUST_200600_302600_NS5minusIfEEEE10hipError_tPvRmT2_T3_mT4_P12ihipStream_tbEUlT_E_NS1_11comp_targetILNS1_3genE5ELNS1_11target_archE942ELNS1_3gpuE9ELNS1_3repE0EEENS1_30default_config_static_selectorELNS0_4arch9wavefront6targetE0EEEvT1_,"axG",@progbits,_ZN7rocprim17ROCPRIM_400000_NS6detail17trampoline_kernelINS0_14default_configENS1_35adjacent_difference_config_selectorILb0EfEEZNS1_24adjacent_difference_implIS3_Lb0ELb0EPfS7_N6thrust23THRUST_200600_302600_NS5minusIfEEEE10hipError_tPvRmT2_T3_mT4_P12ihipStream_tbEUlT_E_NS1_11comp_targetILNS1_3genE5ELNS1_11target_archE942ELNS1_3gpuE9ELNS1_3repE0EEENS1_30default_config_static_selectorELNS0_4arch9wavefront6targetE0EEEvT1_,comdat
	.protected	_ZN7rocprim17ROCPRIM_400000_NS6detail17trampoline_kernelINS0_14default_configENS1_35adjacent_difference_config_selectorILb0EfEEZNS1_24adjacent_difference_implIS3_Lb0ELb0EPfS7_N6thrust23THRUST_200600_302600_NS5minusIfEEEE10hipError_tPvRmT2_T3_mT4_P12ihipStream_tbEUlT_E_NS1_11comp_targetILNS1_3genE5ELNS1_11target_archE942ELNS1_3gpuE9ELNS1_3repE0EEENS1_30default_config_static_selectorELNS0_4arch9wavefront6targetE0EEEvT1_ ; -- Begin function _ZN7rocprim17ROCPRIM_400000_NS6detail17trampoline_kernelINS0_14default_configENS1_35adjacent_difference_config_selectorILb0EfEEZNS1_24adjacent_difference_implIS3_Lb0ELb0EPfS7_N6thrust23THRUST_200600_302600_NS5minusIfEEEE10hipError_tPvRmT2_T3_mT4_P12ihipStream_tbEUlT_E_NS1_11comp_targetILNS1_3genE5ELNS1_11target_archE942ELNS1_3gpuE9ELNS1_3repE0EEENS1_30default_config_static_selectorELNS0_4arch9wavefront6targetE0EEEvT1_
	.globl	_ZN7rocprim17ROCPRIM_400000_NS6detail17trampoline_kernelINS0_14default_configENS1_35adjacent_difference_config_selectorILb0EfEEZNS1_24adjacent_difference_implIS3_Lb0ELb0EPfS7_N6thrust23THRUST_200600_302600_NS5minusIfEEEE10hipError_tPvRmT2_T3_mT4_P12ihipStream_tbEUlT_E_NS1_11comp_targetILNS1_3genE5ELNS1_11target_archE942ELNS1_3gpuE9ELNS1_3repE0EEENS1_30default_config_static_selectorELNS0_4arch9wavefront6targetE0EEEvT1_
	.p2align	8
	.type	_ZN7rocprim17ROCPRIM_400000_NS6detail17trampoline_kernelINS0_14default_configENS1_35adjacent_difference_config_selectorILb0EfEEZNS1_24adjacent_difference_implIS3_Lb0ELb0EPfS7_N6thrust23THRUST_200600_302600_NS5minusIfEEEE10hipError_tPvRmT2_T3_mT4_P12ihipStream_tbEUlT_E_NS1_11comp_targetILNS1_3genE5ELNS1_11target_archE942ELNS1_3gpuE9ELNS1_3repE0EEENS1_30default_config_static_selectorELNS0_4arch9wavefront6targetE0EEEvT1_,@function
_ZN7rocprim17ROCPRIM_400000_NS6detail17trampoline_kernelINS0_14default_configENS1_35adjacent_difference_config_selectorILb0EfEEZNS1_24adjacent_difference_implIS3_Lb0ELb0EPfS7_N6thrust23THRUST_200600_302600_NS5minusIfEEEE10hipError_tPvRmT2_T3_mT4_P12ihipStream_tbEUlT_E_NS1_11comp_targetILNS1_3genE5ELNS1_11target_archE942ELNS1_3gpuE9ELNS1_3repE0EEENS1_30default_config_static_selectorELNS0_4arch9wavefront6targetE0EEEvT1_: ; @_ZN7rocprim17ROCPRIM_400000_NS6detail17trampoline_kernelINS0_14default_configENS1_35adjacent_difference_config_selectorILb0EfEEZNS1_24adjacent_difference_implIS3_Lb0ELb0EPfS7_N6thrust23THRUST_200600_302600_NS5minusIfEEEE10hipError_tPvRmT2_T3_mT4_P12ihipStream_tbEUlT_E_NS1_11comp_targetILNS1_3genE5ELNS1_11target_archE942ELNS1_3gpuE9ELNS1_3repE0EEENS1_30default_config_static_selectorELNS0_4arch9wavefront6targetE0EEEvT1_
; %bb.0:
	.section	.rodata,"a",@progbits
	.p2align	6, 0x0
	.amdhsa_kernel _ZN7rocprim17ROCPRIM_400000_NS6detail17trampoline_kernelINS0_14default_configENS1_35adjacent_difference_config_selectorILb0EfEEZNS1_24adjacent_difference_implIS3_Lb0ELb0EPfS7_N6thrust23THRUST_200600_302600_NS5minusIfEEEE10hipError_tPvRmT2_T3_mT4_P12ihipStream_tbEUlT_E_NS1_11comp_targetILNS1_3genE5ELNS1_11target_archE942ELNS1_3gpuE9ELNS1_3repE0EEENS1_30default_config_static_selectorELNS0_4arch9wavefront6targetE0EEEvT1_
		.amdhsa_group_segment_fixed_size 0
		.amdhsa_private_segment_fixed_size 0
		.amdhsa_kernarg_size 56
		.amdhsa_user_sgpr_count 15
		.amdhsa_user_sgpr_dispatch_ptr 0
		.amdhsa_user_sgpr_queue_ptr 0
		.amdhsa_user_sgpr_kernarg_segment_ptr 1
		.amdhsa_user_sgpr_dispatch_id 0
		.amdhsa_user_sgpr_private_segment_size 0
		.amdhsa_wavefront_size32 1
		.amdhsa_uses_dynamic_stack 0
		.amdhsa_enable_private_segment 0
		.amdhsa_system_sgpr_workgroup_id_x 1
		.amdhsa_system_sgpr_workgroup_id_y 0
		.amdhsa_system_sgpr_workgroup_id_z 0
		.amdhsa_system_sgpr_workgroup_info 0
		.amdhsa_system_vgpr_workitem_id 0
		.amdhsa_next_free_vgpr 1
		.amdhsa_next_free_sgpr 1
		.amdhsa_reserve_vcc 0
		.amdhsa_float_round_mode_32 0
		.amdhsa_float_round_mode_16_64 0
		.amdhsa_float_denorm_mode_32 3
		.amdhsa_float_denorm_mode_16_64 3
		.amdhsa_dx10_clamp 1
		.amdhsa_ieee_mode 1
		.amdhsa_fp16_overflow 0
		.amdhsa_workgroup_processor_mode 1
		.amdhsa_memory_ordered 1
		.amdhsa_forward_progress 0
		.amdhsa_shared_vgpr_count 0
		.amdhsa_exception_fp_ieee_invalid_op 0
		.amdhsa_exception_fp_denorm_src 0
		.amdhsa_exception_fp_ieee_div_zero 0
		.amdhsa_exception_fp_ieee_overflow 0
		.amdhsa_exception_fp_ieee_underflow 0
		.amdhsa_exception_fp_ieee_inexact 0
		.amdhsa_exception_int_div_zero 0
	.end_amdhsa_kernel
	.section	.text._ZN7rocprim17ROCPRIM_400000_NS6detail17trampoline_kernelINS0_14default_configENS1_35adjacent_difference_config_selectorILb0EfEEZNS1_24adjacent_difference_implIS3_Lb0ELb0EPfS7_N6thrust23THRUST_200600_302600_NS5minusIfEEEE10hipError_tPvRmT2_T3_mT4_P12ihipStream_tbEUlT_E_NS1_11comp_targetILNS1_3genE5ELNS1_11target_archE942ELNS1_3gpuE9ELNS1_3repE0EEENS1_30default_config_static_selectorELNS0_4arch9wavefront6targetE0EEEvT1_,"axG",@progbits,_ZN7rocprim17ROCPRIM_400000_NS6detail17trampoline_kernelINS0_14default_configENS1_35adjacent_difference_config_selectorILb0EfEEZNS1_24adjacent_difference_implIS3_Lb0ELb0EPfS7_N6thrust23THRUST_200600_302600_NS5minusIfEEEE10hipError_tPvRmT2_T3_mT4_P12ihipStream_tbEUlT_E_NS1_11comp_targetILNS1_3genE5ELNS1_11target_archE942ELNS1_3gpuE9ELNS1_3repE0EEENS1_30default_config_static_selectorELNS0_4arch9wavefront6targetE0EEEvT1_,comdat
.Lfunc_end55:
	.size	_ZN7rocprim17ROCPRIM_400000_NS6detail17trampoline_kernelINS0_14default_configENS1_35adjacent_difference_config_selectorILb0EfEEZNS1_24adjacent_difference_implIS3_Lb0ELb0EPfS7_N6thrust23THRUST_200600_302600_NS5minusIfEEEE10hipError_tPvRmT2_T3_mT4_P12ihipStream_tbEUlT_E_NS1_11comp_targetILNS1_3genE5ELNS1_11target_archE942ELNS1_3gpuE9ELNS1_3repE0EEENS1_30default_config_static_selectorELNS0_4arch9wavefront6targetE0EEEvT1_, .Lfunc_end55-_ZN7rocprim17ROCPRIM_400000_NS6detail17trampoline_kernelINS0_14default_configENS1_35adjacent_difference_config_selectorILb0EfEEZNS1_24adjacent_difference_implIS3_Lb0ELb0EPfS7_N6thrust23THRUST_200600_302600_NS5minusIfEEEE10hipError_tPvRmT2_T3_mT4_P12ihipStream_tbEUlT_E_NS1_11comp_targetILNS1_3genE5ELNS1_11target_archE942ELNS1_3gpuE9ELNS1_3repE0EEENS1_30default_config_static_selectorELNS0_4arch9wavefront6targetE0EEEvT1_
                                        ; -- End function
	.section	.AMDGPU.csdata,"",@progbits
; Kernel info:
; codeLenInByte = 0
; NumSgprs: 0
; NumVgprs: 0
; ScratchSize: 0
; MemoryBound: 0
; FloatMode: 240
; IeeeMode: 1
; LDSByteSize: 0 bytes/workgroup (compile time only)
; SGPRBlocks: 0
; VGPRBlocks: 0
; NumSGPRsForWavesPerEU: 1
; NumVGPRsForWavesPerEU: 1
; Occupancy: 16
; WaveLimiterHint : 0
; COMPUTE_PGM_RSRC2:SCRATCH_EN: 0
; COMPUTE_PGM_RSRC2:USER_SGPR: 15
; COMPUTE_PGM_RSRC2:TRAP_HANDLER: 0
; COMPUTE_PGM_RSRC2:TGID_X_EN: 1
; COMPUTE_PGM_RSRC2:TGID_Y_EN: 0
; COMPUTE_PGM_RSRC2:TGID_Z_EN: 0
; COMPUTE_PGM_RSRC2:TIDIG_COMP_CNT: 0
	.section	.text._ZN7rocprim17ROCPRIM_400000_NS6detail17trampoline_kernelINS0_14default_configENS1_35adjacent_difference_config_selectorILb0EfEEZNS1_24adjacent_difference_implIS3_Lb0ELb0EPfS7_N6thrust23THRUST_200600_302600_NS5minusIfEEEE10hipError_tPvRmT2_T3_mT4_P12ihipStream_tbEUlT_E_NS1_11comp_targetILNS1_3genE4ELNS1_11target_archE910ELNS1_3gpuE8ELNS1_3repE0EEENS1_30default_config_static_selectorELNS0_4arch9wavefront6targetE0EEEvT1_,"axG",@progbits,_ZN7rocprim17ROCPRIM_400000_NS6detail17trampoline_kernelINS0_14default_configENS1_35adjacent_difference_config_selectorILb0EfEEZNS1_24adjacent_difference_implIS3_Lb0ELb0EPfS7_N6thrust23THRUST_200600_302600_NS5minusIfEEEE10hipError_tPvRmT2_T3_mT4_P12ihipStream_tbEUlT_E_NS1_11comp_targetILNS1_3genE4ELNS1_11target_archE910ELNS1_3gpuE8ELNS1_3repE0EEENS1_30default_config_static_selectorELNS0_4arch9wavefront6targetE0EEEvT1_,comdat
	.protected	_ZN7rocprim17ROCPRIM_400000_NS6detail17trampoline_kernelINS0_14default_configENS1_35adjacent_difference_config_selectorILb0EfEEZNS1_24adjacent_difference_implIS3_Lb0ELb0EPfS7_N6thrust23THRUST_200600_302600_NS5minusIfEEEE10hipError_tPvRmT2_T3_mT4_P12ihipStream_tbEUlT_E_NS1_11comp_targetILNS1_3genE4ELNS1_11target_archE910ELNS1_3gpuE8ELNS1_3repE0EEENS1_30default_config_static_selectorELNS0_4arch9wavefront6targetE0EEEvT1_ ; -- Begin function _ZN7rocprim17ROCPRIM_400000_NS6detail17trampoline_kernelINS0_14default_configENS1_35adjacent_difference_config_selectorILb0EfEEZNS1_24adjacent_difference_implIS3_Lb0ELb0EPfS7_N6thrust23THRUST_200600_302600_NS5minusIfEEEE10hipError_tPvRmT2_T3_mT4_P12ihipStream_tbEUlT_E_NS1_11comp_targetILNS1_3genE4ELNS1_11target_archE910ELNS1_3gpuE8ELNS1_3repE0EEENS1_30default_config_static_selectorELNS0_4arch9wavefront6targetE0EEEvT1_
	.globl	_ZN7rocprim17ROCPRIM_400000_NS6detail17trampoline_kernelINS0_14default_configENS1_35adjacent_difference_config_selectorILb0EfEEZNS1_24adjacent_difference_implIS3_Lb0ELb0EPfS7_N6thrust23THRUST_200600_302600_NS5minusIfEEEE10hipError_tPvRmT2_T3_mT4_P12ihipStream_tbEUlT_E_NS1_11comp_targetILNS1_3genE4ELNS1_11target_archE910ELNS1_3gpuE8ELNS1_3repE0EEENS1_30default_config_static_selectorELNS0_4arch9wavefront6targetE0EEEvT1_
	.p2align	8
	.type	_ZN7rocprim17ROCPRIM_400000_NS6detail17trampoline_kernelINS0_14default_configENS1_35adjacent_difference_config_selectorILb0EfEEZNS1_24adjacent_difference_implIS3_Lb0ELb0EPfS7_N6thrust23THRUST_200600_302600_NS5minusIfEEEE10hipError_tPvRmT2_T3_mT4_P12ihipStream_tbEUlT_E_NS1_11comp_targetILNS1_3genE4ELNS1_11target_archE910ELNS1_3gpuE8ELNS1_3repE0EEENS1_30default_config_static_selectorELNS0_4arch9wavefront6targetE0EEEvT1_,@function
_ZN7rocprim17ROCPRIM_400000_NS6detail17trampoline_kernelINS0_14default_configENS1_35adjacent_difference_config_selectorILb0EfEEZNS1_24adjacent_difference_implIS3_Lb0ELb0EPfS7_N6thrust23THRUST_200600_302600_NS5minusIfEEEE10hipError_tPvRmT2_T3_mT4_P12ihipStream_tbEUlT_E_NS1_11comp_targetILNS1_3genE4ELNS1_11target_archE910ELNS1_3gpuE8ELNS1_3repE0EEENS1_30default_config_static_selectorELNS0_4arch9wavefront6targetE0EEEvT1_: ; @_ZN7rocprim17ROCPRIM_400000_NS6detail17trampoline_kernelINS0_14default_configENS1_35adjacent_difference_config_selectorILb0EfEEZNS1_24adjacent_difference_implIS3_Lb0ELb0EPfS7_N6thrust23THRUST_200600_302600_NS5minusIfEEEE10hipError_tPvRmT2_T3_mT4_P12ihipStream_tbEUlT_E_NS1_11comp_targetILNS1_3genE4ELNS1_11target_archE910ELNS1_3gpuE8ELNS1_3repE0EEENS1_30default_config_static_selectorELNS0_4arch9wavefront6targetE0EEEvT1_
; %bb.0:
	.section	.rodata,"a",@progbits
	.p2align	6, 0x0
	.amdhsa_kernel _ZN7rocprim17ROCPRIM_400000_NS6detail17trampoline_kernelINS0_14default_configENS1_35adjacent_difference_config_selectorILb0EfEEZNS1_24adjacent_difference_implIS3_Lb0ELb0EPfS7_N6thrust23THRUST_200600_302600_NS5minusIfEEEE10hipError_tPvRmT2_T3_mT4_P12ihipStream_tbEUlT_E_NS1_11comp_targetILNS1_3genE4ELNS1_11target_archE910ELNS1_3gpuE8ELNS1_3repE0EEENS1_30default_config_static_selectorELNS0_4arch9wavefront6targetE0EEEvT1_
		.amdhsa_group_segment_fixed_size 0
		.amdhsa_private_segment_fixed_size 0
		.amdhsa_kernarg_size 56
		.amdhsa_user_sgpr_count 15
		.amdhsa_user_sgpr_dispatch_ptr 0
		.amdhsa_user_sgpr_queue_ptr 0
		.amdhsa_user_sgpr_kernarg_segment_ptr 1
		.amdhsa_user_sgpr_dispatch_id 0
		.amdhsa_user_sgpr_private_segment_size 0
		.amdhsa_wavefront_size32 1
		.amdhsa_uses_dynamic_stack 0
		.amdhsa_enable_private_segment 0
		.amdhsa_system_sgpr_workgroup_id_x 1
		.amdhsa_system_sgpr_workgroup_id_y 0
		.amdhsa_system_sgpr_workgroup_id_z 0
		.amdhsa_system_sgpr_workgroup_info 0
		.amdhsa_system_vgpr_workitem_id 0
		.amdhsa_next_free_vgpr 1
		.amdhsa_next_free_sgpr 1
		.amdhsa_reserve_vcc 0
		.amdhsa_float_round_mode_32 0
		.amdhsa_float_round_mode_16_64 0
		.amdhsa_float_denorm_mode_32 3
		.amdhsa_float_denorm_mode_16_64 3
		.amdhsa_dx10_clamp 1
		.amdhsa_ieee_mode 1
		.amdhsa_fp16_overflow 0
		.amdhsa_workgroup_processor_mode 1
		.amdhsa_memory_ordered 1
		.amdhsa_forward_progress 0
		.amdhsa_shared_vgpr_count 0
		.amdhsa_exception_fp_ieee_invalid_op 0
		.amdhsa_exception_fp_denorm_src 0
		.amdhsa_exception_fp_ieee_div_zero 0
		.amdhsa_exception_fp_ieee_overflow 0
		.amdhsa_exception_fp_ieee_underflow 0
		.amdhsa_exception_fp_ieee_inexact 0
		.amdhsa_exception_int_div_zero 0
	.end_amdhsa_kernel
	.section	.text._ZN7rocprim17ROCPRIM_400000_NS6detail17trampoline_kernelINS0_14default_configENS1_35adjacent_difference_config_selectorILb0EfEEZNS1_24adjacent_difference_implIS3_Lb0ELb0EPfS7_N6thrust23THRUST_200600_302600_NS5minusIfEEEE10hipError_tPvRmT2_T3_mT4_P12ihipStream_tbEUlT_E_NS1_11comp_targetILNS1_3genE4ELNS1_11target_archE910ELNS1_3gpuE8ELNS1_3repE0EEENS1_30default_config_static_selectorELNS0_4arch9wavefront6targetE0EEEvT1_,"axG",@progbits,_ZN7rocprim17ROCPRIM_400000_NS6detail17trampoline_kernelINS0_14default_configENS1_35adjacent_difference_config_selectorILb0EfEEZNS1_24adjacent_difference_implIS3_Lb0ELb0EPfS7_N6thrust23THRUST_200600_302600_NS5minusIfEEEE10hipError_tPvRmT2_T3_mT4_P12ihipStream_tbEUlT_E_NS1_11comp_targetILNS1_3genE4ELNS1_11target_archE910ELNS1_3gpuE8ELNS1_3repE0EEENS1_30default_config_static_selectorELNS0_4arch9wavefront6targetE0EEEvT1_,comdat
.Lfunc_end56:
	.size	_ZN7rocprim17ROCPRIM_400000_NS6detail17trampoline_kernelINS0_14default_configENS1_35adjacent_difference_config_selectorILb0EfEEZNS1_24adjacent_difference_implIS3_Lb0ELb0EPfS7_N6thrust23THRUST_200600_302600_NS5minusIfEEEE10hipError_tPvRmT2_T3_mT4_P12ihipStream_tbEUlT_E_NS1_11comp_targetILNS1_3genE4ELNS1_11target_archE910ELNS1_3gpuE8ELNS1_3repE0EEENS1_30default_config_static_selectorELNS0_4arch9wavefront6targetE0EEEvT1_, .Lfunc_end56-_ZN7rocprim17ROCPRIM_400000_NS6detail17trampoline_kernelINS0_14default_configENS1_35adjacent_difference_config_selectorILb0EfEEZNS1_24adjacent_difference_implIS3_Lb0ELb0EPfS7_N6thrust23THRUST_200600_302600_NS5minusIfEEEE10hipError_tPvRmT2_T3_mT4_P12ihipStream_tbEUlT_E_NS1_11comp_targetILNS1_3genE4ELNS1_11target_archE910ELNS1_3gpuE8ELNS1_3repE0EEENS1_30default_config_static_selectorELNS0_4arch9wavefront6targetE0EEEvT1_
                                        ; -- End function
	.section	.AMDGPU.csdata,"",@progbits
; Kernel info:
; codeLenInByte = 0
; NumSgprs: 0
; NumVgprs: 0
; ScratchSize: 0
; MemoryBound: 0
; FloatMode: 240
; IeeeMode: 1
; LDSByteSize: 0 bytes/workgroup (compile time only)
; SGPRBlocks: 0
; VGPRBlocks: 0
; NumSGPRsForWavesPerEU: 1
; NumVGPRsForWavesPerEU: 1
; Occupancy: 16
; WaveLimiterHint : 0
; COMPUTE_PGM_RSRC2:SCRATCH_EN: 0
; COMPUTE_PGM_RSRC2:USER_SGPR: 15
; COMPUTE_PGM_RSRC2:TRAP_HANDLER: 0
; COMPUTE_PGM_RSRC2:TGID_X_EN: 1
; COMPUTE_PGM_RSRC2:TGID_Y_EN: 0
; COMPUTE_PGM_RSRC2:TGID_Z_EN: 0
; COMPUTE_PGM_RSRC2:TIDIG_COMP_CNT: 0
	.section	.text._ZN7rocprim17ROCPRIM_400000_NS6detail17trampoline_kernelINS0_14default_configENS1_35adjacent_difference_config_selectorILb0EfEEZNS1_24adjacent_difference_implIS3_Lb0ELb0EPfS7_N6thrust23THRUST_200600_302600_NS5minusIfEEEE10hipError_tPvRmT2_T3_mT4_P12ihipStream_tbEUlT_E_NS1_11comp_targetILNS1_3genE3ELNS1_11target_archE908ELNS1_3gpuE7ELNS1_3repE0EEENS1_30default_config_static_selectorELNS0_4arch9wavefront6targetE0EEEvT1_,"axG",@progbits,_ZN7rocprim17ROCPRIM_400000_NS6detail17trampoline_kernelINS0_14default_configENS1_35adjacent_difference_config_selectorILb0EfEEZNS1_24adjacent_difference_implIS3_Lb0ELb0EPfS7_N6thrust23THRUST_200600_302600_NS5minusIfEEEE10hipError_tPvRmT2_T3_mT4_P12ihipStream_tbEUlT_E_NS1_11comp_targetILNS1_3genE3ELNS1_11target_archE908ELNS1_3gpuE7ELNS1_3repE0EEENS1_30default_config_static_selectorELNS0_4arch9wavefront6targetE0EEEvT1_,comdat
	.protected	_ZN7rocprim17ROCPRIM_400000_NS6detail17trampoline_kernelINS0_14default_configENS1_35adjacent_difference_config_selectorILb0EfEEZNS1_24adjacent_difference_implIS3_Lb0ELb0EPfS7_N6thrust23THRUST_200600_302600_NS5minusIfEEEE10hipError_tPvRmT2_T3_mT4_P12ihipStream_tbEUlT_E_NS1_11comp_targetILNS1_3genE3ELNS1_11target_archE908ELNS1_3gpuE7ELNS1_3repE0EEENS1_30default_config_static_selectorELNS0_4arch9wavefront6targetE0EEEvT1_ ; -- Begin function _ZN7rocprim17ROCPRIM_400000_NS6detail17trampoline_kernelINS0_14default_configENS1_35adjacent_difference_config_selectorILb0EfEEZNS1_24adjacent_difference_implIS3_Lb0ELb0EPfS7_N6thrust23THRUST_200600_302600_NS5minusIfEEEE10hipError_tPvRmT2_T3_mT4_P12ihipStream_tbEUlT_E_NS1_11comp_targetILNS1_3genE3ELNS1_11target_archE908ELNS1_3gpuE7ELNS1_3repE0EEENS1_30default_config_static_selectorELNS0_4arch9wavefront6targetE0EEEvT1_
	.globl	_ZN7rocprim17ROCPRIM_400000_NS6detail17trampoline_kernelINS0_14default_configENS1_35adjacent_difference_config_selectorILb0EfEEZNS1_24adjacent_difference_implIS3_Lb0ELb0EPfS7_N6thrust23THRUST_200600_302600_NS5minusIfEEEE10hipError_tPvRmT2_T3_mT4_P12ihipStream_tbEUlT_E_NS1_11comp_targetILNS1_3genE3ELNS1_11target_archE908ELNS1_3gpuE7ELNS1_3repE0EEENS1_30default_config_static_selectorELNS0_4arch9wavefront6targetE0EEEvT1_
	.p2align	8
	.type	_ZN7rocprim17ROCPRIM_400000_NS6detail17trampoline_kernelINS0_14default_configENS1_35adjacent_difference_config_selectorILb0EfEEZNS1_24adjacent_difference_implIS3_Lb0ELb0EPfS7_N6thrust23THRUST_200600_302600_NS5minusIfEEEE10hipError_tPvRmT2_T3_mT4_P12ihipStream_tbEUlT_E_NS1_11comp_targetILNS1_3genE3ELNS1_11target_archE908ELNS1_3gpuE7ELNS1_3repE0EEENS1_30default_config_static_selectorELNS0_4arch9wavefront6targetE0EEEvT1_,@function
_ZN7rocprim17ROCPRIM_400000_NS6detail17trampoline_kernelINS0_14default_configENS1_35adjacent_difference_config_selectorILb0EfEEZNS1_24adjacent_difference_implIS3_Lb0ELb0EPfS7_N6thrust23THRUST_200600_302600_NS5minusIfEEEE10hipError_tPvRmT2_T3_mT4_P12ihipStream_tbEUlT_E_NS1_11comp_targetILNS1_3genE3ELNS1_11target_archE908ELNS1_3gpuE7ELNS1_3repE0EEENS1_30default_config_static_selectorELNS0_4arch9wavefront6targetE0EEEvT1_: ; @_ZN7rocprim17ROCPRIM_400000_NS6detail17trampoline_kernelINS0_14default_configENS1_35adjacent_difference_config_selectorILb0EfEEZNS1_24adjacent_difference_implIS3_Lb0ELb0EPfS7_N6thrust23THRUST_200600_302600_NS5minusIfEEEE10hipError_tPvRmT2_T3_mT4_P12ihipStream_tbEUlT_E_NS1_11comp_targetILNS1_3genE3ELNS1_11target_archE908ELNS1_3gpuE7ELNS1_3repE0EEENS1_30default_config_static_selectorELNS0_4arch9wavefront6targetE0EEEvT1_
; %bb.0:
	.section	.rodata,"a",@progbits
	.p2align	6, 0x0
	.amdhsa_kernel _ZN7rocprim17ROCPRIM_400000_NS6detail17trampoline_kernelINS0_14default_configENS1_35adjacent_difference_config_selectorILb0EfEEZNS1_24adjacent_difference_implIS3_Lb0ELb0EPfS7_N6thrust23THRUST_200600_302600_NS5minusIfEEEE10hipError_tPvRmT2_T3_mT4_P12ihipStream_tbEUlT_E_NS1_11comp_targetILNS1_3genE3ELNS1_11target_archE908ELNS1_3gpuE7ELNS1_3repE0EEENS1_30default_config_static_selectorELNS0_4arch9wavefront6targetE0EEEvT1_
		.amdhsa_group_segment_fixed_size 0
		.amdhsa_private_segment_fixed_size 0
		.amdhsa_kernarg_size 56
		.amdhsa_user_sgpr_count 15
		.amdhsa_user_sgpr_dispatch_ptr 0
		.amdhsa_user_sgpr_queue_ptr 0
		.amdhsa_user_sgpr_kernarg_segment_ptr 1
		.amdhsa_user_sgpr_dispatch_id 0
		.amdhsa_user_sgpr_private_segment_size 0
		.amdhsa_wavefront_size32 1
		.amdhsa_uses_dynamic_stack 0
		.amdhsa_enable_private_segment 0
		.amdhsa_system_sgpr_workgroup_id_x 1
		.amdhsa_system_sgpr_workgroup_id_y 0
		.amdhsa_system_sgpr_workgroup_id_z 0
		.amdhsa_system_sgpr_workgroup_info 0
		.amdhsa_system_vgpr_workitem_id 0
		.amdhsa_next_free_vgpr 1
		.amdhsa_next_free_sgpr 1
		.amdhsa_reserve_vcc 0
		.amdhsa_float_round_mode_32 0
		.amdhsa_float_round_mode_16_64 0
		.amdhsa_float_denorm_mode_32 3
		.amdhsa_float_denorm_mode_16_64 3
		.amdhsa_dx10_clamp 1
		.amdhsa_ieee_mode 1
		.amdhsa_fp16_overflow 0
		.amdhsa_workgroup_processor_mode 1
		.amdhsa_memory_ordered 1
		.amdhsa_forward_progress 0
		.amdhsa_shared_vgpr_count 0
		.amdhsa_exception_fp_ieee_invalid_op 0
		.amdhsa_exception_fp_denorm_src 0
		.amdhsa_exception_fp_ieee_div_zero 0
		.amdhsa_exception_fp_ieee_overflow 0
		.amdhsa_exception_fp_ieee_underflow 0
		.amdhsa_exception_fp_ieee_inexact 0
		.amdhsa_exception_int_div_zero 0
	.end_amdhsa_kernel
	.section	.text._ZN7rocprim17ROCPRIM_400000_NS6detail17trampoline_kernelINS0_14default_configENS1_35adjacent_difference_config_selectorILb0EfEEZNS1_24adjacent_difference_implIS3_Lb0ELb0EPfS7_N6thrust23THRUST_200600_302600_NS5minusIfEEEE10hipError_tPvRmT2_T3_mT4_P12ihipStream_tbEUlT_E_NS1_11comp_targetILNS1_3genE3ELNS1_11target_archE908ELNS1_3gpuE7ELNS1_3repE0EEENS1_30default_config_static_selectorELNS0_4arch9wavefront6targetE0EEEvT1_,"axG",@progbits,_ZN7rocprim17ROCPRIM_400000_NS6detail17trampoline_kernelINS0_14default_configENS1_35adjacent_difference_config_selectorILb0EfEEZNS1_24adjacent_difference_implIS3_Lb0ELb0EPfS7_N6thrust23THRUST_200600_302600_NS5minusIfEEEE10hipError_tPvRmT2_T3_mT4_P12ihipStream_tbEUlT_E_NS1_11comp_targetILNS1_3genE3ELNS1_11target_archE908ELNS1_3gpuE7ELNS1_3repE0EEENS1_30default_config_static_selectorELNS0_4arch9wavefront6targetE0EEEvT1_,comdat
.Lfunc_end57:
	.size	_ZN7rocprim17ROCPRIM_400000_NS6detail17trampoline_kernelINS0_14default_configENS1_35adjacent_difference_config_selectorILb0EfEEZNS1_24adjacent_difference_implIS3_Lb0ELb0EPfS7_N6thrust23THRUST_200600_302600_NS5minusIfEEEE10hipError_tPvRmT2_T3_mT4_P12ihipStream_tbEUlT_E_NS1_11comp_targetILNS1_3genE3ELNS1_11target_archE908ELNS1_3gpuE7ELNS1_3repE0EEENS1_30default_config_static_selectorELNS0_4arch9wavefront6targetE0EEEvT1_, .Lfunc_end57-_ZN7rocprim17ROCPRIM_400000_NS6detail17trampoline_kernelINS0_14default_configENS1_35adjacent_difference_config_selectorILb0EfEEZNS1_24adjacent_difference_implIS3_Lb0ELb0EPfS7_N6thrust23THRUST_200600_302600_NS5minusIfEEEE10hipError_tPvRmT2_T3_mT4_P12ihipStream_tbEUlT_E_NS1_11comp_targetILNS1_3genE3ELNS1_11target_archE908ELNS1_3gpuE7ELNS1_3repE0EEENS1_30default_config_static_selectorELNS0_4arch9wavefront6targetE0EEEvT1_
                                        ; -- End function
	.section	.AMDGPU.csdata,"",@progbits
; Kernel info:
; codeLenInByte = 0
; NumSgprs: 0
; NumVgprs: 0
; ScratchSize: 0
; MemoryBound: 0
; FloatMode: 240
; IeeeMode: 1
; LDSByteSize: 0 bytes/workgroup (compile time only)
; SGPRBlocks: 0
; VGPRBlocks: 0
; NumSGPRsForWavesPerEU: 1
; NumVGPRsForWavesPerEU: 1
; Occupancy: 16
; WaveLimiterHint : 0
; COMPUTE_PGM_RSRC2:SCRATCH_EN: 0
; COMPUTE_PGM_RSRC2:USER_SGPR: 15
; COMPUTE_PGM_RSRC2:TRAP_HANDLER: 0
; COMPUTE_PGM_RSRC2:TGID_X_EN: 1
; COMPUTE_PGM_RSRC2:TGID_Y_EN: 0
; COMPUTE_PGM_RSRC2:TGID_Z_EN: 0
; COMPUTE_PGM_RSRC2:TIDIG_COMP_CNT: 0
	.section	.text._ZN7rocprim17ROCPRIM_400000_NS6detail17trampoline_kernelINS0_14default_configENS1_35adjacent_difference_config_selectorILb0EfEEZNS1_24adjacent_difference_implIS3_Lb0ELb0EPfS7_N6thrust23THRUST_200600_302600_NS5minusIfEEEE10hipError_tPvRmT2_T3_mT4_P12ihipStream_tbEUlT_E_NS1_11comp_targetILNS1_3genE2ELNS1_11target_archE906ELNS1_3gpuE6ELNS1_3repE0EEENS1_30default_config_static_selectorELNS0_4arch9wavefront6targetE0EEEvT1_,"axG",@progbits,_ZN7rocprim17ROCPRIM_400000_NS6detail17trampoline_kernelINS0_14default_configENS1_35adjacent_difference_config_selectorILb0EfEEZNS1_24adjacent_difference_implIS3_Lb0ELb0EPfS7_N6thrust23THRUST_200600_302600_NS5minusIfEEEE10hipError_tPvRmT2_T3_mT4_P12ihipStream_tbEUlT_E_NS1_11comp_targetILNS1_3genE2ELNS1_11target_archE906ELNS1_3gpuE6ELNS1_3repE0EEENS1_30default_config_static_selectorELNS0_4arch9wavefront6targetE0EEEvT1_,comdat
	.protected	_ZN7rocprim17ROCPRIM_400000_NS6detail17trampoline_kernelINS0_14default_configENS1_35adjacent_difference_config_selectorILb0EfEEZNS1_24adjacent_difference_implIS3_Lb0ELb0EPfS7_N6thrust23THRUST_200600_302600_NS5minusIfEEEE10hipError_tPvRmT2_T3_mT4_P12ihipStream_tbEUlT_E_NS1_11comp_targetILNS1_3genE2ELNS1_11target_archE906ELNS1_3gpuE6ELNS1_3repE0EEENS1_30default_config_static_selectorELNS0_4arch9wavefront6targetE0EEEvT1_ ; -- Begin function _ZN7rocprim17ROCPRIM_400000_NS6detail17trampoline_kernelINS0_14default_configENS1_35adjacent_difference_config_selectorILb0EfEEZNS1_24adjacent_difference_implIS3_Lb0ELb0EPfS7_N6thrust23THRUST_200600_302600_NS5minusIfEEEE10hipError_tPvRmT2_T3_mT4_P12ihipStream_tbEUlT_E_NS1_11comp_targetILNS1_3genE2ELNS1_11target_archE906ELNS1_3gpuE6ELNS1_3repE0EEENS1_30default_config_static_selectorELNS0_4arch9wavefront6targetE0EEEvT1_
	.globl	_ZN7rocprim17ROCPRIM_400000_NS6detail17trampoline_kernelINS0_14default_configENS1_35adjacent_difference_config_selectorILb0EfEEZNS1_24adjacent_difference_implIS3_Lb0ELb0EPfS7_N6thrust23THRUST_200600_302600_NS5minusIfEEEE10hipError_tPvRmT2_T3_mT4_P12ihipStream_tbEUlT_E_NS1_11comp_targetILNS1_3genE2ELNS1_11target_archE906ELNS1_3gpuE6ELNS1_3repE0EEENS1_30default_config_static_selectorELNS0_4arch9wavefront6targetE0EEEvT1_
	.p2align	8
	.type	_ZN7rocprim17ROCPRIM_400000_NS6detail17trampoline_kernelINS0_14default_configENS1_35adjacent_difference_config_selectorILb0EfEEZNS1_24adjacent_difference_implIS3_Lb0ELb0EPfS7_N6thrust23THRUST_200600_302600_NS5minusIfEEEE10hipError_tPvRmT2_T3_mT4_P12ihipStream_tbEUlT_E_NS1_11comp_targetILNS1_3genE2ELNS1_11target_archE906ELNS1_3gpuE6ELNS1_3repE0EEENS1_30default_config_static_selectorELNS0_4arch9wavefront6targetE0EEEvT1_,@function
_ZN7rocprim17ROCPRIM_400000_NS6detail17trampoline_kernelINS0_14default_configENS1_35adjacent_difference_config_selectorILb0EfEEZNS1_24adjacent_difference_implIS3_Lb0ELb0EPfS7_N6thrust23THRUST_200600_302600_NS5minusIfEEEE10hipError_tPvRmT2_T3_mT4_P12ihipStream_tbEUlT_E_NS1_11comp_targetILNS1_3genE2ELNS1_11target_archE906ELNS1_3gpuE6ELNS1_3repE0EEENS1_30default_config_static_selectorELNS0_4arch9wavefront6targetE0EEEvT1_: ; @_ZN7rocprim17ROCPRIM_400000_NS6detail17trampoline_kernelINS0_14default_configENS1_35adjacent_difference_config_selectorILb0EfEEZNS1_24adjacent_difference_implIS3_Lb0ELb0EPfS7_N6thrust23THRUST_200600_302600_NS5minusIfEEEE10hipError_tPvRmT2_T3_mT4_P12ihipStream_tbEUlT_E_NS1_11comp_targetILNS1_3genE2ELNS1_11target_archE906ELNS1_3gpuE6ELNS1_3repE0EEENS1_30default_config_static_selectorELNS0_4arch9wavefront6targetE0EEEvT1_
; %bb.0:
	.section	.rodata,"a",@progbits
	.p2align	6, 0x0
	.amdhsa_kernel _ZN7rocprim17ROCPRIM_400000_NS6detail17trampoline_kernelINS0_14default_configENS1_35adjacent_difference_config_selectorILb0EfEEZNS1_24adjacent_difference_implIS3_Lb0ELb0EPfS7_N6thrust23THRUST_200600_302600_NS5minusIfEEEE10hipError_tPvRmT2_T3_mT4_P12ihipStream_tbEUlT_E_NS1_11comp_targetILNS1_3genE2ELNS1_11target_archE906ELNS1_3gpuE6ELNS1_3repE0EEENS1_30default_config_static_selectorELNS0_4arch9wavefront6targetE0EEEvT1_
		.amdhsa_group_segment_fixed_size 0
		.amdhsa_private_segment_fixed_size 0
		.amdhsa_kernarg_size 56
		.amdhsa_user_sgpr_count 15
		.amdhsa_user_sgpr_dispatch_ptr 0
		.amdhsa_user_sgpr_queue_ptr 0
		.amdhsa_user_sgpr_kernarg_segment_ptr 1
		.amdhsa_user_sgpr_dispatch_id 0
		.amdhsa_user_sgpr_private_segment_size 0
		.amdhsa_wavefront_size32 1
		.amdhsa_uses_dynamic_stack 0
		.amdhsa_enable_private_segment 0
		.amdhsa_system_sgpr_workgroup_id_x 1
		.amdhsa_system_sgpr_workgroup_id_y 0
		.amdhsa_system_sgpr_workgroup_id_z 0
		.amdhsa_system_sgpr_workgroup_info 0
		.amdhsa_system_vgpr_workitem_id 0
		.amdhsa_next_free_vgpr 1
		.amdhsa_next_free_sgpr 1
		.amdhsa_reserve_vcc 0
		.amdhsa_float_round_mode_32 0
		.amdhsa_float_round_mode_16_64 0
		.amdhsa_float_denorm_mode_32 3
		.amdhsa_float_denorm_mode_16_64 3
		.amdhsa_dx10_clamp 1
		.amdhsa_ieee_mode 1
		.amdhsa_fp16_overflow 0
		.amdhsa_workgroup_processor_mode 1
		.amdhsa_memory_ordered 1
		.amdhsa_forward_progress 0
		.amdhsa_shared_vgpr_count 0
		.amdhsa_exception_fp_ieee_invalid_op 0
		.amdhsa_exception_fp_denorm_src 0
		.amdhsa_exception_fp_ieee_div_zero 0
		.amdhsa_exception_fp_ieee_overflow 0
		.amdhsa_exception_fp_ieee_underflow 0
		.amdhsa_exception_fp_ieee_inexact 0
		.amdhsa_exception_int_div_zero 0
	.end_amdhsa_kernel
	.section	.text._ZN7rocprim17ROCPRIM_400000_NS6detail17trampoline_kernelINS0_14default_configENS1_35adjacent_difference_config_selectorILb0EfEEZNS1_24adjacent_difference_implIS3_Lb0ELb0EPfS7_N6thrust23THRUST_200600_302600_NS5minusIfEEEE10hipError_tPvRmT2_T3_mT4_P12ihipStream_tbEUlT_E_NS1_11comp_targetILNS1_3genE2ELNS1_11target_archE906ELNS1_3gpuE6ELNS1_3repE0EEENS1_30default_config_static_selectorELNS0_4arch9wavefront6targetE0EEEvT1_,"axG",@progbits,_ZN7rocprim17ROCPRIM_400000_NS6detail17trampoline_kernelINS0_14default_configENS1_35adjacent_difference_config_selectorILb0EfEEZNS1_24adjacent_difference_implIS3_Lb0ELb0EPfS7_N6thrust23THRUST_200600_302600_NS5minusIfEEEE10hipError_tPvRmT2_T3_mT4_P12ihipStream_tbEUlT_E_NS1_11comp_targetILNS1_3genE2ELNS1_11target_archE906ELNS1_3gpuE6ELNS1_3repE0EEENS1_30default_config_static_selectorELNS0_4arch9wavefront6targetE0EEEvT1_,comdat
.Lfunc_end58:
	.size	_ZN7rocprim17ROCPRIM_400000_NS6detail17trampoline_kernelINS0_14default_configENS1_35adjacent_difference_config_selectorILb0EfEEZNS1_24adjacent_difference_implIS3_Lb0ELb0EPfS7_N6thrust23THRUST_200600_302600_NS5minusIfEEEE10hipError_tPvRmT2_T3_mT4_P12ihipStream_tbEUlT_E_NS1_11comp_targetILNS1_3genE2ELNS1_11target_archE906ELNS1_3gpuE6ELNS1_3repE0EEENS1_30default_config_static_selectorELNS0_4arch9wavefront6targetE0EEEvT1_, .Lfunc_end58-_ZN7rocprim17ROCPRIM_400000_NS6detail17trampoline_kernelINS0_14default_configENS1_35adjacent_difference_config_selectorILb0EfEEZNS1_24adjacent_difference_implIS3_Lb0ELb0EPfS7_N6thrust23THRUST_200600_302600_NS5minusIfEEEE10hipError_tPvRmT2_T3_mT4_P12ihipStream_tbEUlT_E_NS1_11comp_targetILNS1_3genE2ELNS1_11target_archE906ELNS1_3gpuE6ELNS1_3repE0EEENS1_30default_config_static_selectorELNS0_4arch9wavefront6targetE0EEEvT1_
                                        ; -- End function
	.section	.AMDGPU.csdata,"",@progbits
; Kernel info:
; codeLenInByte = 0
; NumSgprs: 0
; NumVgprs: 0
; ScratchSize: 0
; MemoryBound: 0
; FloatMode: 240
; IeeeMode: 1
; LDSByteSize: 0 bytes/workgroup (compile time only)
; SGPRBlocks: 0
; VGPRBlocks: 0
; NumSGPRsForWavesPerEU: 1
; NumVGPRsForWavesPerEU: 1
; Occupancy: 16
; WaveLimiterHint : 0
; COMPUTE_PGM_RSRC2:SCRATCH_EN: 0
; COMPUTE_PGM_RSRC2:USER_SGPR: 15
; COMPUTE_PGM_RSRC2:TRAP_HANDLER: 0
; COMPUTE_PGM_RSRC2:TGID_X_EN: 1
; COMPUTE_PGM_RSRC2:TGID_Y_EN: 0
; COMPUTE_PGM_RSRC2:TGID_Z_EN: 0
; COMPUTE_PGM_RSRC2:TIDIG_COMP_CNT: 0
	.section	.text._ZN7rocprim17ROCPRIM_400000_NS6detail17trampoline_kernelINS0_14default_configENS1_35adjacent_difference_config_selectorILb0EfEEZNS1_24adjacent_difference_implIS3_Lb0ELb0EPfS7_N6thrust23THRUST_200600_302600_NS5minusIfEEEE10hipError_tPvRmT2_T3_mT4_P12ihipStream_tbEUlT_E_NS1_11comp_targetILNS1_3genE9ELNS1_11target_archE1100ELNS1_3gpuE3ELNS1_3repE0EEENS1_30default_config_static_selectorELNS0_4arch9wavefront6targetE0EEEvT1_,"axG",@progbits,_ZN7rocprim17ROCPRIM_400000_NS6detail17trampoline_kernelINS0_14default_configENS1_35adjacent_difference_config_selectorILb0EfEEZNS1_24adjacent_difference_implIS3_Lb0ELb0EPfS7_N6thrust23THRUST_200600_302600_NS5minusIfEEEE10hipError_tPvRmT2_T3_mT4_P12ihipStream_tbEUlT_E_NS1_11comp_targetILNS1_3genE9ELNS1_11target_archE1100ELNS1_3gpuE3ELNS1_3repE0EEENS1_30default_config_static_selectorELNS0_4arch9wavefront6targetE0EEEvT1_,comdat
	.protected	_ZN7rocprim17ROCPRIM_400000_NS6detail17trampoline_kernelINS0_14default_configENS1_35adjacent_difference_config_selectorILb0EfEEZNS1_24adjacent_difference_implIS3_Lb0ELb0EPfS7_N6thrust23THRUST_200600_302600_NS5minusIfEEEE10hipError_tPvRmT2_T3_mT4_P12ihipStream_tbEUlT_E_NS1_11comp_targetILNS1_3genE9ELNS1_11target_archE1100ELNS1_3gpuE3ELNS1_3repE0EEENS1_30default_config_static_selectorELNS0_4arch9wavefront6targetE0EEEvT1_ ; -- Begin function _ZN7rocprim17ROCPRIM_400000_NS6detail17trampoline_kernelINS0_14default_configENS1_35adjacent_difference_config_selectorILb0EfEEZNS1_24adjacent_difference_implIS3_Lb0ELb0EPfS7_N6thrust23THRUST_200600_302600_NS5minusIfEEEE10hipError_tPvRmT2_T3_mT4_P12ihipStream_tbEUlT_E_NS1_11comp_targetILNS1_3genE9ELNS1_11target_archE1100ELNS1_3gpuE3ELNS1_3repE0EEENS1_30default_config_static_selectorELNS0_4arch9wavefront6targetE0EEEvT1_
	.globl	_ZN7rocprim17ROCPRIM_400000_NS6detail17trampoline_kernelINS0_14default_configENS1_35adjacent_difference_config_selectorILb0EfEEZNS1_24adjacent_difference_implIS3_Lb0ELb0EPfS7_N6thrust23THRUST_200600_302600_NS5minusIfEEEE10hipError_tPvRmT2_T3_mT4_P12ihipStream_tbEUlT_E_NS1_11comp_targetILNS1_3genE9ELNS1_11target_archE1100ELNS1_3gpuE3ELNS1_3repE0EEENS1_30default_config_static_selectorELNS0_4arch9wavefront6targetE0EEEvT1_
	.p2align	8
	.type	_ZN7rocprim17ROCPRIM_400000_NS6detail17trampoline_kernelINS0_14default_configENS1_35adjacent_difference_config_selectorILb0EfEEZNS1_24adjacent_difference_implIS3_Lb0ELb0EPfS7_N6thrust23THRUST_200600_302600_NS5minusIfEEEE10hipError_tPvRmT2_T3_mT4_P12ihipStream_tbEUlT_E_NS1_11comp_targetILNS1_3genE9ELNS1_11target_archE1100ELNS1_3gpuE3ELNS1_3repE0EEENS1_30default_config_static_selectorELNS0_4arch9wavefront6targetE0EEEvT1_,@function
_ZN7rocprim17ROCPRIM_400000_NS6detail17trampoline_kernelINS0_14default_configENS1_35adjacent_difference_config_selectorILb0EfEEZNS1_24adjacent_difference_implIS3_Lb0ELb0EPfS7_N6thrust23THRUST_200600_302600_NS5minusIfEEEE10hipError_tPvRmT2_T3_mT4_P12ihipStream_tbEUlT_E_NS1_11comp_targetILNS1_3genE9ELNS1_11target_archE1100ELNS1_3gpuE3ELNS1_3repE0EEENS1_30default_config_static_selectorELNS0_4arch9wavefront6targetE0EEEvT1_: ; @_ZN7rocprim17ROCPRIM_400000_NS6detail17trampoline_kernelINS0_14default_configENS1_35adjacent_difference_config_selectorILb0EfEEZNS1_24adjacent_difference_implIS3_Lb0ELb0EPfS7_N6thrust23THRUST_200600_302600_NS5minusIfEEEE10hipError_tPvRmT2_T3_mT4_P12ihipStream_tbEUlT_E_NS1_11comp_targetILNS1_3genE9ELNS1_11target_archE1100ELNS1_3gpuE3ELNS1_3repE0EEENS1_30default_config_static_selectorELNS0_4arch9wavefront6targetE0EEEvT1_
; %bb.0:
	s_load_b256 s[4:11], s[0:1], 0x0
	s_mov_b32 s2, 0x2cccca00
	s_waitcnt lgkmcnt(0)
	s_lshl_b64 s[12:13], s[6:7], 2
	s_delay_alu instid0(SALU_CYCLE_1) | instskip(SKIP_4) | instid1(VALU_DEP_1)
	s_add_u32 s17, s4, s12
	s_addc_u32 s18, s5, s13
	s_add_u32 s2, 0x230, s2
	s_addc_u32 s3, 0, 0
	v_add_co_u32 v1, s2, 0xa0000000, s2
	s_cmp_lg_u32 s2, 0
	s_addc_u32 s3, s3, 0xccccc
	s_delay_alu instid0(VALU_DEP_1) | instskip(SKIP_1) | instid1(VALU_DEP_1)
	v_readfirstlane_b32 s2, v1
	s_mul_i32 s4, s3, 0xffffec00
	s_mul_hi_u32 s5, s2, 0xffffec00
	s_mul_i32 s6, s2, 0xffffec00
	s_sub_i32 s5, s5, s2
	s_mul_hi_u32 s7, s2, s6
	s_add_i32 s5, s5, s4
	s_mul_hi_u32 s14, s3, s6
	s_mul_i32 s4, s3, s6
	s_mul_hi_u32 s6, s2, s5
	s_mul_i32 s2, s2, s5
	s_mul_hi_u32 s16, s3, s5
	s_add_u32 s2, s7, s2
	s_addc_u32 s6, 0, s6
	s_add_u32 s2, s2, s4
	s_mul_i32 s5, s3, s5
	s_addc_u32 s2, s6, s14
	s_addc_u32 s4, s16, 0
	s_add_u32 s2, s2, s5
	s_addc_u32 s4, 0, s4
	v_add_co_u32 v1, s2, v1, s2
	s_delay_alu instid0(VALU_DEP_1) | instskip(SKIP_1) | instid1(VALU_DEP_1)
	s_cmp_lg_u32 s2, 0
	s_addc_u32 s2, s3, s4
	v_readfirstlane_b32 s3, v1
	s_mul_i32 s5, s10, s2
	s_mul_hi_u32 s4, s10, s2
	s_mul_hi_u32 s6, s11, s2
	s_mul_i32 s2, s11, s2
	s_mul_hi_u32 s7, s10, s3
	s_mul_hi_u32 s14, s11, s3
	s_mul_i32 s3, s11, s3
	s_add_u32 s5, s7, s5
	s_addc_u32 s4, 0, s4
	s_add_u32 s3, s5, s3
	s_addc_u32 s3, s4, s14
	s_addc_u32 s4, s6, 0
	s_add_u32 s5, s3, s2
	s_addc_u32 s4, 0, s4
	s_mul_i32 s3, s5, 0x1400
	s_add_u32 s2, s5, 1
	v_sub_co_u32 v1, s3, s10, s3
	s_mul_hi_u32 s6, s5, 0x1400
	s_addc_u32 s7, s4, 0
	s_mul_i32 s14, s4, 0x1400
	s_delay_alu instid0(VALU_DEP_1)
	v_subrev_co_u32 v2, s16, 0x1400, v1
	s_add_u32 s19, s5, 2
	s_addc_u32 s20, s4, 0
	s_add_i32 s6, s6, s14
	s_cmp_lg_u32 s3, 0
	v_readfirstlane_b32 s3, v2
	s_subb_u32 s6, s11, s6
	s_cmp_lg_u32 s16, 0
	s_subb_u32 s14, s6, 0
	s_delay_alu instid0(VALU_DEP_1) | instskip(SKIP_4) | instid1(SALU_CYCLE_1)
	s_cmpk_gt_u32 s3, 0x13ff
	s_cselect_b32 s3, -1, 0
	s_cmp_eq_u32 s14, 0
	v_readfirstlane_b32 s14, v1
	s_cselect_b32 s3, s3, -1
	s_cmp_lg_u32 s3, 0
	s_cselect_b32 s16, s19, s2
	s_cselect_b32 s7, s20, s7
	s_cmpk_gt_u32 s14, 0x13ff
	s_mov_b32 s14, -1
	s_cselect_b32 s2, -1, 0
	s_cmp_eq_u32 s6, 0
	s_cselect_b32 s2, s2, -1
	s_delay_alu instid0(SALU_CYCLE_1)
	s_cmp_lg_u32 s2, 0
	s_load_b64 s[2:3], s[0:1], 0x30
	s_cselect_b32 s4, s7, s4
	s_cselect_b32 s5, s16, s5
	s_mul_i32 s0, s4, 0x1400
	s_mul_hi_u32 s1, s5, 0x1400
	s_mul_i32 s6, s5, 0x1400
	s_add_i32 s1, s1, s0
	s_sub_u32 s0, s10, s6
	s_subb_u32 s1, s11, s1
	s_mul_i32 s6, s15, 0x1400
	s_cmp_lg_u64 s[0:1], 0
	s_mov_b32 s7, 0
	s_cselect_b32 s0, -1, 0
	s_delay_alu instid0(SALU_CYCLE_1) | instskip(NEXT) | instid1(VALU_DEP_1)
	v_cndmask_b32_e64 v1, 0, 1, s0
	v_readfirstlane_b32 s0, v1
	s_delay_alu instid0(VALU_DEP_1)
	s_add_u32 s0, s5, s0
	s_addc_u32 s1, s4, 0
	s_waitcnt lgkmcnt(0)
	s_add_u32 s2, s2, s15
	s_addc_u32 s3, s3, 0
	s_add_u32 s4, s0, -1
	s_addc_u32 s5, s1, -1
	s_mul_i32 s11, s4, 0xffffec00
	v_cmp_ge_u64_e64 s16, s[2:3], s[4:5]
	s_delay_alu instid0(VALU_DEP_1)
	s_and_b32 vcc_lo, exec_lo, s16
	s_cbranch_vccz .LBB59_12
; %bb.1:
	s_lshl_b64 s[14:15], s[6:7], 2
	s_add_i32 s19, s11, s10
	s_add_u32 s14, s17, s14
	s_addc_u32 s15, s18, s15
	s_mov_b32 s7, exec_lo
                                        ; implicit-def: $vgpr1_vgpr2_vgpr3_vgpr4_vgpr5
	v_cmpx_gt_u32_e64 s19, v0
	s_cbranch_execz .LBB59_3
; %bb.2:
	v_lshlrev_b32_e32 v1, 2, v0
	global_load_b32 v1, v1, s[14:15]
.LBB59_3:
	s_or_b32 exec_lo, exec_lo, s7
	v_or_b32_e32 v6, 0x400, v0
	s_mov_b32 s7, exec_lo
	s_delay_alu instid0(VALU_DEP_1)
	v_cmpx_gt_u32_e64 s19, v6
	s_cbranch_execz .LBB59_5
; %bb.4:
	v_lshlrev_b32_e32 v2, 2, v6
	global_load_b32 v2, v2, s[14:15]
.LBB59_5:
	s_or_b32 exec_lo, exec_lo, s7
	v_or_b32_e32 v6, 0x800, v0
	s_mov_b32 s7, exec_lo
	s_delay_alu instid0(VALU_DEP_1)
	;; [unrolled: 10-line block ×4, first 2 shown]
	v_cmpx_gt_u32_e64 s19, v6
	s_cbranch_execz .LBB59_11
; %bb.10:
	v_lshlrev_b32_e32 v5, 2, v6
	global_load_b32 v5, v5, s[14:15]
.LBB59_11:
	s_or_b32 exec_lo, exec_lo, s7
	v_lshlrev_b32_e32 v6, 2, v0
	s_mov_b32 s14, 0
	s_waitcnt vmcnt(0)
	ds_store_2addr_stride64_b32 v6, v1, v2 offset1:16
	ds_store_2addr_stride64_b32 v6, v3, v4 offset0:32 offset1:48
	ds_store_b32 v6, v5 offset:16384
	s_waitcnt lgkmcnt(0)
	s_barrier
.LBB59_12:
	v_lshlrev_b32_e32 v7, 2, v0
	s_and_b32 vcc_lo, exec_lo, s14
	s_cbranch_vccz .LBB59_14
; %bb.13:
	s_mov_b32 s7, 0
	s_delay_alu instid0(SALU_CYCLE_1) | instskip(NEXT) | instid1(SALU_CYCLE_1)
	s_lshl_b64 s[14:15], s[6:7], 2
	s_add_u32 s14, s17, s14
	s_addc_u32 s15, s18, s15
	v_add_co_u32 v3, s7, s14, v7
	s_delay_alu instid0(VALU_DEP_1) | instskip(NEXT) | instid1(VALU_DEP_2)
	v_add_co_ci_u32_e64 v4, null, s15, 0, s7
	v_add_co_u32 v1, vcc_lo, v3, 0x2000
	s_delay_alu instid0(VALU_DEP_2)
	v_add_co_ci_u32_e32 v2, vcc_lo, 0, v4, vcc_lo
	v_add_co_u32 v3, vcc_lo, v3, 0x4000
	v_add_co_ci_u32_e32 v4, vcc_lo, 0, v4, vcc_lo
	s_clause 0x4
	global_load_b32 v5, v7, s[14:15]
	global_load_b32 v6, v[1:2], off offset:-4096
	global_load_b32 v1, v[1:2], off
	global_load_b32 v2, v[3:4], off offset:-4096
	global_load_b32 v3, v[3:4], off
	s_waitcnt vmcnt(3)
	ds_store_2addr_stride64_b32 v7, v5, v6 offset1:16
	s_waitcnt vmcnt(1)
	ds_store_2addr_stride64_b32 v7, v1, v2 offset0:32 offset1:48
	s_waitcnt vmcnt(0)
	ds_store_b32 v7, v3 offset:16384
	s_waitcnt lgkmcnt(0)
	s_barrier
.LBB59_14:
	v_mul_u32_u24_e32 v1, 5, v0
	buffer_gl0_inv
	s_cmp_eq_u64 s[2:3], 0
	v_lshlrev_b32_e32 v5, 2, v1
	ds_load_2addr_b32 v[1:2], v5 offset1:1
	ds_load_2addr_b32 v[3:4], v5 offset0:2 offset1:3
	ds_load_b32 v5, v5 offset:16
	s_waitcnt lgkmcnt(0)
	s_barrier
	buffer_gl0_inv
	s_cbranch_scc1 .LBB59_19
; %bb.15:
	s_mov_b32 s7, 0
	s_delay_alu instid0(SALU_CYCLE_1) | instskip(NEXT) | instid1(SALU_CYCLE_1)
	s_lshl_b64 s[14:15], s[6:7], 2
	s_add_u32 s7, s17, s14
	s_addc_u32 s15, s18, s15
	s_add_u32 s14, s7, -4
	s_addc_u32 s15, s15, -1
	s_cmp_eq_u64 s[2:3], s[4:5]
	s_load_b32 s7, s[14:15], 0x0
	s_cbranch_scc1 .LBB59_20
; %bb.16:
	s_waitcnt lgkmcnt(0)
	v_mov_b32_e32 v6, s7
	s_mov_b32 s3, exec_lo
	ds_store_b32 v7, v5
	s_waitcnt lgkmcnt(0)
	s_barrier
	buffer_gl0_inv
	v_cmpx_ne_u32_e32 0, v0
	s_cbranch_execz .LBB59_18
; %bb.17:
	v_add_nc_u32_e32 v6, -4, v7
	ds_load_b32 v6, v6
.LBB59_18:
	s_or_b32 exec_lo, exec_lo, s3
	v_dual_sub_f32 v8, v5, v4 :: v_dual_sub_f32 v9, v4, v3
	v_dual_sub_f32 v10, v3, v2 :: v_dual_sub_f32 v11, v2, v1
	s_waitcnt lgkmcnt(0)
	v_sub_f32_e32 v12, v1, v6
	s_branch .LBB59_24
.LBB59_19:
                                        ; implicit-def: $vgpr8
                                        ; implicit-def: $vgpr9
                                        ; implicit-def: $vgpr10
                                        ; implicit-def: $vgpr11
                                        ; implicit-def: $vgpr12
	s_branch .LBB59_25
.LBB59_20:
                                        ; implicit-def: $vgpr8
                                        ; implicit-def: $vgpr9
                                        ; implicit-def: $vgpr10
                                        ; implicit-def: $vgpr11
                                        ; implicit-def: $vgpr12
	s_cbranch_execz .LBB59_24
; %bb.21:
	v_mul_u32_u24_e32 v6, 5, v0
	s_waitcnt lgkmcnt(0)
	v_mov_b32_e32 v10, s7
	s_mov_b32 s3, exec_lo
	ds_store_b32 v7, v5
	s_waitcnt lgkmcnt(0)
	s_barrier
	buffer_gl0_inv
	v_cmpx_ne_u32_e32 0, v0
	s_cbranch_execz .LBB59_23
; %bb.22:
	v_add_nc_u32_e32 v8, -4, v7
	ds_load_b32 v10, v8
.LBB59_23:
	s_or_b32 exec_lo, exec_lo, s3
	v_dual_sub_f32 v9, v5, v4 :: v_dual_add_nc_u32 v8, 4, v6
	s_mulk_i32 s2, 0xec00
	v_dual_sub_f32 v12, v4, v3 :: v_dual_add_nc_u32 v11, 3, v6
	s_add_i32 s2, s2, s10
	s_waitcnt lgkmcnt(0)
	v_sub_f32_e32 v15, v1, v10
	v_cmp_gt_u32_e32 vcc_lo, s2, v8
	v_sub_f32_e32 v14, v2, v1
	v_cndmask_b32_e32 v8, v5, v9, vcc_lo
	v_cmp_gt_u32_e32 vcc_lo, s2, v11
	v_add_nc_u32_e32 v11, 2, v6
	v_dual_cndmask_b32 v9, v4, v12 :: v_dual_sub_f32 v12, v3, v2
	s_delay_alu instid0(VALU_DEP_2) | instskip(NEXT) | instid1(VALU_DEP_2)
	v_cmp_gt_u32_e32 vcc_lo, s2, v11
	v_dual_cndmask_b32 v10, v3, v12 :: v_dual_add_nc_u32 v13, 1, v6
	s_delay_alu instid0(VALU_DEP_1)
	v_cmp_gt_u32_e32 vcc_lo, s2, v13
	v_cndmask_b32_e32 v11, v2, v14, vcc_lo
	v_cmp_gt_u32_e32 vcc_lo, s2, v6
	v_cndmask_b32_e32 v12, v1, v15, vcc_lo
.LBB59_24:
	s_cbranch_execnz .LBB59_33
.LBB59_25:
	v_dual_sub_f32 v8, v5, v4 :: v_dual_sub_f32 v9, v4, v3
	v_dual_sub_f32 v10, v3, v2 :: v_dual_sub_f32 v11, v2, v1
	v_cmp_ne_u32_e32 vcc_lo, 0, v0
	s_cmp_eq_u64 s[0:1], 1
	s_cbranch_scc1 .LBB59_29
; %bb.26:
	v_mov_b32_e32 v12, v1
	s_mov_b32 s0, 0
	ds_store_b32 v7, v5
	s_waitcnt lgkmcnt(0)
	s_barrier
	buffer_gl0_inv
	s_and_saveexec_b32 s1, vcc_lo
	s_cbranch_execz .LBB59_28
; %bb.27:
	v_add_nc_u32_e32 v6, -4, v7
	ds_load_b32 v6, v6
	s_waitcnt lgkmcnt(0)
	v_sub_f32_e32 v12, v1, v6
.LBB59_28:
	s_or_b32 exec_lo, exec_lo, s1
	s_delay_alu instid0(SALU_CYCLE_1)
	s_and_not1_b32 vcc_lo, exec_lo, s0
	s_cbranch_vccz .LBB59_30
	s_branch .LBB59_33
.LBB59_29:
                                        ; implicit-def: $vgpr12
.LBB59_30:
	v_mad_u32_u24 v6, v0, 5, 4
	v_mul_u32_u24_e32 v13, 5, v0
	v_mad_u32_u24 v12, v0, 5, 3
	v_mad_u32_u24 v14, v0, 5, 2
	v_cmp_ne_u32_e64 s3, 0, v0
	v_cmp_gt_u32_e32 vcc_lo, s10, v6
	v_mad_u32_u24 v6, v0, 5, 1
	v_cmp_gt_u32_e64 s4, s10, v13
	v_cmp_gt_u32_e64 s0, s10, v12
	;; [unrolled: 1-line block ×3, first 2 shown]
	ds_store_b32 v7, v5
	v_cmp_gt_u32_e64 s2, s10, v6
	s_and_b32 s4, s3, s4
	s_waitcnt lgkmcnt(0)
	s_barrier
	buffer_gl0_inv
	s_and_saveexec_b32 s3, s4
	s_cbranch_execz .LBB59_32
; %bb.31:
	v_add_nc_u32_e32 v6, -4, v7
	ds_load_b32 v6, v6
	s_waitcnt lgkmcnt(0)
	v_sub_f32_e32 v1, v1, v6
.LBB59_32:
	s_or_b32 exec_lo, exec_lo, s3
	v_cndmask_b32_e32 v8, v5, v8, vcc_lo
	v_cndmask_b32_e64 v9, v4, v9, s0
	v_cndmask_b32_e64 v10, v3, v10, s1
	;; [unrolled: 1-line block ×3, first 2 shown]
	v_mov_b32_e32 v12, v1
.LBB59_33:
	v_mul_u32_u24_e32 v13, 20, v0
	v_lshlrev_b32_e32 v14, 4, v0
	s_add_u32 s1, s8, s12
	s_addc_u32 s0, s9, s13
	s_and_b32 vcc_lo, exec_lo, s16
	s_waitcnt lgkmcnt(0)
	s_barrier
	buffer_gl0_inv
	s_cbranch_vccz .LBB59_43
; %bb.34:
	v_sub_nc_u32_e32 v1, v13, v14
	ds_store_2addr_b32 v13, v12, v11 offset1:1
	ds_store_2addr_b32 v13, v10, v9 offset0:2 offset1:3
	ds_store_b32 v13, v8 offset:16
	s_waitcnt lgkmcnt(0)
	s_barrier
	buffer_gl0_inv
	ds_load_2addr_stride64_b32 v[5:6], v1 offset0:16 offset1:32
	ds_load_2addr_stride64_b32 v[1:2], v1 offset0:48 offset1:64
	s_mov_b32 s7, 0
	s_add_i32 s11, s11, s10
	s_lshl_b64 s[2:3], s[6:7], 2
	s_delay_alu instid0(SALU_CYCLE_1) | instskip(SKIP_2) | instid1(VALU_DEP_1)
	s_add_u32 s2, s1, s2
	s_addc_u32 s3, s0, s3
	v_add_co_u32 v3, s2, s2, v7
	v_add_co_ci_u32_e64 v4, null, s3, 0, s2
	s_mov_b32 s2, exec_lo
	v_cmpx_gt_u32_e64 s11, v0
	s_cbranch_execz .LBB59_36
; %bb.35:
	v_sub_nc_u32_e32 v15, 0, v14
	s_delay_alu instid0(VALU_DEP_1)
	v_add_nc_u32_e32 v15, v13, v15
	ds_load_b32 v15, v15
	s_waitcnt lgkmcnt(0)
	global_store_b32 v[3:4], v15, off
.LBB59_36:
	s_or_b32 exec_lo, exec_lo, s2
	v_or_b32_e32 v15, 0x400, v0
	s_mov_b32 s2, exec_lo
	s_delay_alu instid0(VALU_DEP_1)
	v_cmpx_gt_u32_e64 s11, v15
	s_cbranch_execz .LBB59_38
; %bb.37:
	v_add_co_u32 v15, vcc_lo, 0x1000, v3
	v_add_co_ci_u32_e32 v16, vcc_lo, 0, v4, vcc_lo
	s_waitcnt lgkmcnt(1)
	global_store_b32 v[15:16], v5, off
.LBB59_38:
	s_or_b32 exec_lo, exec_lo, s2
	s_waitcnt lgkmcnt(1)
	v_or_b32_e32 v5, 0x800, v0
	s_mov_b32 s2, exec_lo
	s_delay_alu instid0(VALU_DEP_1)
	v_cmpx_gt_u32_e64 s11, v5
	s_cbranch_execz .LBB59_40
; %bb.39:
	v_add_co_u32 v15, vcc_lo, 0x2000, v3
	v_add_co_ci_u32_e32 v16, vcc_lo, 0, v4, vcc_lo
	global_store_b32 v[15:16], v6, off
.LBB59_40:
	s_or_b32 exec_lo, exec_lo, s2
	v_or_b32_e32 v5, 0xc00, v0
	s_mov_b32 s2, exec_lo
	s_delay_alu instid0(VALU_DEP_1)
	v_cmpx_gt_u32_e64 s11, v5
	s_cbranch_execz .LBB59_42
; %bb.41:
	v_add_co_u32 v5, vcc_lo, 0x3000, v3
	v_add_co_ci_u32_e32 v6, vcc_lo, 0, v4, vcc_lo
	s_waitcnt lgkmcnt(0)
	global_store_b32 v[5:6], v1, off
.LBB59_42:
	s_or_b32 exec_lo, exec_lo, s2
	v_or_b32_e32 v0, 0x1000, v0
	s_delay_alu instid0(VALU_DEP_1)
	v_cmp_gt_u32_e64 s2, s11, v0
	s_branch .LBB59_45
.LBB59_43:
	s_mov_b32 s2, 0
                                        ; implicit-def: $vgpr2
                                        ; implicit-def: $vgpr3_vgpr4
	s_cbranch_execz .LBB59_45
; %bb.44:
	s_waitcnt lgkmcnt(0)
	v_sub_nc_u32_e32 v2, v13, v14
	s_mov_b32 s7, 0
	ds_store_2addr_b32 v13, v12, v11 offset1:1
	ds_store_2addr_b32 v13, v10, v9 offset0:2 offset1:3
	ds_store_b32 v13, v8 offset:16
	s_waitcnt lgkmcnt(0)
	s_waitcnt_vscnt null, 0x0
	s_barrier
	buffer_gl0_inv
	ds_load_2addr_stride64_b32 v[0:1], v2 offset1:16
	ds_load_2addr_stride64_b32 v[5:6], v2 offset0:32 offset1:48
	ds_load_b32 v2, v2 offset:16384
	s_lshl_b64 s[4:5], s[6:7], 2
	s_delay_alu instid0(SALU_CYCLE_1) | instskip(SKIP_2) | instid1(VALU_DEP_1)
	s_add_u32 s4, s1, s4
	s_addc_u32 s5, s0, s5
	v_add_co_u32 v3, s0, s4, v7
	v_add_co_ci_u32_e64 v4, null, s5, 0, s0
	s_or_b32 s2, s2, exec_lo
	s_delay_alu instid0(VALU_DEP_2) | instskip(NEXT) | instid1(VALU_DEP_2)
	v_add_co_u32 v8, vcc_lo, v3, 0x2000
	v_add_co_ci_u32_e32 v9, vcc_lo, 0, v4, vcc_lo
	v_add_co_u32 v10, vcc_lo, 0x3000, v3
	v_add_co_ci_u32_e32 v11, vcc_lo, 0, v4, vcc_lo
	s_waitcnt lgkmcnt(2)
	s_clause 0x1
	global_store_b32 v[8:9], v1, off offset:-4096
	global_store_b32 v7, v0, s[4:5]
	s_waitcnt lgkmcnt(1)
	s_clause 0x1
	global_store_b32 v[8:9], v5, off
	global_store_b32 v[10:11], v6, off
.LBB59_45:
	s_delay_alu instid0(VALU_DEP_1)
	s_and_saveexec_b32 s0, s2
	s_cbranch_execnz .LBB59_47
; %bb.46:
	s_nop 0
	s_sendmsg sendmsg(MSG_DEALLOC_VGPRS)
	s_endpgm
.LBB59_47:
	v_add_co_u32 v0, vcc_lo, 0x4000, v3
	s_waitcnt lgkmcnt(0)
	v_add_co_ci_u32_e32 v1, vcc_lo, 0, v4, vcc_lo
	global_store_b32 v[0:1], v2, off
	s_nop 0
	s_sendmsg sendmsg(MSG_DEALLOC_VGPRS)
	s_endpgm
	.section	.rodata,"a",@progbits
	.p2align	6, 0x0
	.amdhsa_kernel _ZN7rocprim17ROCPRIM_400000_NS6detail17trampoline_kernelINS0_14default_configENS1_35adjacent_difference_config_selectorILb0EfEEZNS1_24adjacent_difference_implIS3_Lb0ELb0EPfS7_N6thrust23THRUST_200600_302600_NS5minusIfEEEE10hipError_tPvRmT2_T3_mT4_P12ihipStream_tbEUlT_E_NS1_11comp_targetILNS1_3genE9ELNS1_11target_archE1100ELNS1_3gpuE3ELNS1_3repE0EEENS1_30default_config_static_selectorELNS0_4arch9wavefront6targetE0EEEvT1_
		.amdhsa_group_segment_fixed_size 20480
		.amdhsa_private_segment_fixed_size 0
		.amdhsa_kernarg_size 56
		.amdhsa_user_sgpr_count 15
		.amdhsa_user_sgpr_dispatch_ptr 0
		.amdhsa_user_sgpr_queue_ptr 0
		.amdhsa_user_sgpr_kernarg_segment_ptr 1
		.amdhsa_user_sgpr_dispatch_id 0
		.amdhsa_user_sgpr_private_segment_size 0
		.amdhsa_wavefront_size32 1
		.amdhsa_uses_dynamic_stack 0
		.amdhsa_enable_private_segment 0
		.amdhsa_system_sgpr_workgroup_id_x 1
		.amdhsa_system_sgpr_workgroup_id_y 0
		.amdhsa_system_sgpr_workgroup_id_z 0
		.amdhsa_system_sgpr_workgroup_info 0
		.amdhsa_system_vgpr_workitem_id 0
		.amdhsa_next_free_vgpr 17
		.amdhsa_next_free_sgpr 21
		.amdhsa_reserve_vcc 1
		.amdhsa_float_round_mode_32 0
		.amdhsa_float_round_mode_16_64 0
		.amdhsa_float_denorm_mode_32 3
		.amdhsa_float_denorm_mode_16_64 3
		.amdhsa_dx10_clamp 1
		.amdhsa_ieee_mode 1
		.amdhsa_fp16_overflow 0
		.amdhsa_workgroup_processor_mode 1
		.amdhsa_memory_ordered 1
		.amdhsa_forward_progress 0
		.amdhsa_shared_vgpr_count 0
		.amdhsa_exception_fp_ieee_invalid_op 0
		.amdhsa_exception_fp_denorm_src 0
		.amdhsa_exception_fp_ieee_div_zero 0
		.amdhsa_exception_fp_ieee_overflow 0
		.amdhsa_exception_fp_ieee_underflow 0
		.amdhsa_exception_fp_ieee_inexact 0
		.amdhsa_exception_int_div_zero 0
	.end_amdhsa_kernel
	.section	.text._ZN7rocprim17ROCPRIM_400000_NS6detail17trampoline_kernelINS0_14default_configENS1_35adjacent_difference_config_selectorILb0EfEEZNS1_24adjacent_difference_implIS3_Lb0ELb0EPfS7_N6thrust23THRUST_200600_302600_NS5minusIfEEEE10hipError_tPvRmT2_T3_mT4_P12ihipStream_tbEUlT_E_NS1_11comp_targetILNS1_3genE9ELNS1_11target_archE1100ELNS1_3gpuE3ELNS1_3repE0EEENS1_30default_config_static_selectorELNS0_4arch9wavefront6targetE0EEEvT1_,"axG",@progbits,_ZN7rocprim17ROCPRIM_400000_NS6detail17trampoline_kernelINS0_14default_configENS1_35adjacent_difference_config_selectorILb0EfEEZNS1_24adjacent_difference_implIS3_Lb0ELb0EPfS7_N6thrust23THRUST_200600_302600_NS5minusIfEEEE10hipError_tPvRmT2_T3_mT4_P12ihipStream_tbEUlT_E_NS1_11comp_targetILNS1_3genE9ELNS1_11target_archE1100ELNS1_3gpuE3ELNS1_3repE0EEENS1_30default_config_static_selectorELNS0_4arch9wavefront6targetE0EEEvT1_,comdat
.Lfunc_end59:
	.size	_ZN7rocprim17ROCPRIM_400000_NS6detail17trampoline_kernelINS0_14default_configENS1_35adjacent_difference_config_selectorILb0EfEEZNS1_24adjacent_difference_implIS3_Lb0ELb0EPfS7_N6thrust23THRUST_200600_302600_NS5minusIfEEEE10hipError_tPvRmT2_T3_mT4_P12ihipStream_tbEUlT_E_NS1_11comp_targetILNS1_3genE9ELNS1_11target_archE1100ELNS1_3gpuE3ELNS1_3repE0EEENS1_30default_config_static_selectorELNS0_4arch9wavefront6targetE0EEEvT1_, .Lfunc_end59-_ZN7rocprim17ROCPRIM_400000_NS6detail17trampoline_kernelINS0_14default_configENS1_35adjacent_difference_config_selectorILb0EfEEZNS1_24adjacent_difference_implIS3_Lb0ELb0EPfS7_N6thrust23THRUST_200600_302600_NS5minusIfEEEE10hipError_tPvRmT2_T3_mT4_P12ihipStream_tbEUlT_E_NS1_11comp_targetILNS1_3genE9ELNS1_11target_archE1100ELNS1_3gpuE3ELNS1_3repE0EEENS1_30default_config_static_selectorELNS0_4arch9wavefront6targetE0EEEvT1_
                                        ; -- End function
	.section	.AMDGPU.csdata,"",@progbits
; Kernel info:
; codeLenInByte = 2308
; NumSgprs: 23
; NumVgprs: 17
; ScratchSize: 0
; MemoryBound: 0
; FloatMode: 240
; IeeeMode: 1
; LDSByteSize: 20480 bytes/workgroup (compile time only)
; SGPRBlocks: 2
; VGPRBlocks: 2
; NumSGPRsForWavesPerEU: 23
; NumVGPRsForWavesPerEU: 17
; Occupancy: 16
; WaveLimiterHint : 1
; COMPUTE_PGM_RSRC2:SCRATCH_EN: 0
; COMPUTE_PGM_RSRC2:USER_SGPR: 15
; COMPUTE_PGM_RSRC2:TRAP_HANDLER: 0
; COMPUTE_PGM_RSRC2:TGID_X_EN: 1
; COMPUTE_PGM_RSRC2:TGID_Y_EN: 0
; COMPUTE_PGM_RSRC2:TGID_Z_EN: 0
; COMPUTE_PGM_RSRC2:TIDIG_COMP_CNT: 0
	.section	.text._ZN7rocprim17ROCPRIM_400000_NS6detail17trampoline_kernelINS0_14default_configENS1_35adjacent_difference_config_selectorILb0EfEEZNS1_24adjacent_difference_implIS3_Lb0ELb0EPfS7_N6thrust23THRUST_200600_302600_NS5minusIfEEEE10hipError_tPvRmT2_T3_mT4_P12ihipStream_tbEUlT_E_NS1_11comp_targetILNS1_3genE8ELNS1_11target_archE1030ELNS1_3gpuE2ELNS1_3repE0EEENS1_30default_config_static_selectorELNS0_4arch9wavefront6targetE0EEEvT1_,"axG",@progbits,_ZN7rocprim17ROCPRIM_400000_NS6detail17trampoline_kernelINS0_14default_configENS1_35adjacent_difference_config_selectorILb0EfEEZNS1_24adjacent_difference_implIS3_Lb0ELb0EPfS7_N6thrust23THRUST_200600_302600_NS5minusIfEEEE10hipError_tPvRmT2_T3_mT4_P12ihipStream_tbEUlT_E_NS1_11comp_targetILNS1_3genE8ELNS1_11target_archE1030ELNS1_3gpuE2ELNS1_3repE0EEENS1_30default_config_static_selectorELNS0_4arch9wavefront6targetE0EEEvT1_,comdat
	.protected	_ZN7rocprim17ROCPRIM_400000_NS6detail17trampoline_kernelINS0_14default_configENS1_35adjacent_difference_config_selectorILb0EfEEZNS1_24adjacent_difference_implIS3_Lb0ELb0EPfS7_N6thrust23THRUST_200600_302600_NS5minusIfEEEE10hipError_tPvRmT2_T3_mT4_P12ihipStream_tbEUlT_E_NS1_11comp_targetILNS1_3genE8ELNS1_11target_archE1030ELNS1_3gpuE2ELNS1_3repE0EEENS1_30default_config_static_selectorELNS0_4arch9wavefront6targetE0EEEvT1_ ; -- Begin function _ZN7rocprim17ROCPRIM_400000_NS6detail17trampoline_kernelINS0_14default_configENS1_35adjacent_difference_config_selectorILb0EfEEZNS1_24adjacent_difference_implIS3_Lb0ELb0EPfS7_N6thrust23THRUST_200600_302600_NS5minusIfEEEE10hipError_tPvRmT2_T3_mT4_P12ihipStream_tbEUlT_E_NS1_11comp_targetILNS1_3genE8ELNS1_11target_archE1030ELNS1_3gpuE2ELNS1_3repE0EEENS1_30default_config_static_selectorELNS0_4arch9wavefront6targetE0EEEvT1_
	.globl	_ZN7rocprim17ROCPRIM_400000_NS6detail17trampoline_kernelINS0_14default_configENS1_35adjacent_difference_config_selectorILb0EfEEZNS1_24adjacent_difference_implIS3_Lb0ELb0EPfS7_N6thrust23THRUST_200600_302600_NS5minusIfEEEE10hipError_tPvRmT2_T3_mT4_P12ihipStream_tbEUlT_E_NS1_11comp_targetILNS1_3genE8ELNS1_11target_archE1030ELNS1_3gpuE2ELNS1_3repE0EEENS1_30default_config_static_selectorELNS0_4arch9wavefront6targetE0EEEvT1_
	.p2align	8
	.type	_ZN7rocprim17ROCPRIM_400000_NS6detail17trampoline_kernelINS0_14default_configENS1_35adjacent_difference_config_selectorILb0EfEEZNS1_24adjacent_difference_implIS3_Lb0ELb0EPfS7_N6thrust23THRUST_200600_302600_NS5minusIfEEEE10hipError_tPvRmT2_T3_mT4_P12ihipStream_tbEUlT_E_NS1_11comp_targetILNS1_3genE8ELNS1_11target_archE1030ELNS1_3gpuE2ELNS1_3repE0EEENS1_30default_config_static_selectorELNS0_4arch9wavefront6targetE0EEEvT1_,@function
_ZN7rocprim17ROCPRIM_400000_NS6detail17trampoline_kernelINS0_14default_configENS1_35adjacent_difference_config_selectorILb0EfEEZNS1_24adjacent_difference_implIS3_Lb0ELb0EPfS7_N6thrust23THRUST_200600_302600_NS5minusIfEEEE10hipError_tPvRmT2_T3_mT4_P12ihipStream_tbEUlT_E_NS1_11comp_targetILNS1_3genE8ELNS1_11target_archE1030ELNS1_3gpuE2ELNS1_3repE0EEENS1_30default_config_static_selectorELNS0_4arch9wavefront6targetE0EEEvT1_: ; @_ZN7rocprim17ROCPRIM_400000_NS6detail17trampoline_kernelINS0_14default_configENS1_35adjacent_difference_config_selectorILb0EfEEZNS1_24adjacent_difference_implIS3_Lb0ELb0EPfS7_N6thrust23THRUST_200600_302600_NS5minusIfEEEE10hipError_tPvRmT2_T3_mT4_P12ihipStream_tbEUlT_E_NS1_11comp_targetILNS1_3genE8ELNS1_11target_archE1030ELNS1_3gpuE2ELNS1_3repE0EEENS1_30default_config_static_selectorELNS0_4arch9wavefront6targetE0EEEvT1_
; %bb.0:
	.section	.rodata,"a",@progbits
	.p2align	6, 0x0
	.amdhsa_kernel _ZN7rocprim17ROCPRIM_400000_NS6detail17trampoline_kernelINS0_14default_configENS1_35adjacent_difference_config_selectorILb0EfEEZNS1_24adjacent_difference_implIS3_Lb0ELb0EPfS7_N6thrust23THRUST_200600_302600_NS5minusIfEEEE10hipError_tPvRmT2_T3_mT4_P12ihipStream_tbEUlT_E_NS1_11comp_targetILNS1_3genE8ELNS1_11target_archE1030ELNS1_3gpuE2ELNS1_3repE0EEENS1_30default_config_static_selectorELNS0_4arch9wavefront6targetE0EEEvT1_
		.amdhsa_group_segment_fixed_size 0
		.amdhsa_private_segment_fixed_size 0
		.amdhsa_kernarg_size 56
		.amdhsa_user_sgpr_count 15
		.amdhsa_user_sgpr_dispatch_ptr 0
		.amdhsa_user_sgpr_queue_ptr 0
		.amdhsa_user_sgpr_kernarg_segment_ptr 1
		.amdhsa_user_sgpr_dispatch_id 0
		.amdhsa_user_sgpr_private_segment_size 0
		.amdhsa_wavefront_size32 1
		.amdhsa_uses_dynamic_stack 0
		.amdhsa_enable_private_segment 0
		.amdhsa_system_sgpr_workgroup_id_x 1
		.amdhsa_system_sgpr_workgroup_id_y 0
		.amdhsa_system_sgpr_workgroup_id_z 0
		.amdhsa_system_sgpr_workgroup_info 0
		.amdhsa_system_vgpr_workitem_id 0
		.amdhsa_next_free_vgpr 1
		.amdhsa_next_free_sgpr 1
		.amdhsa_reserve_vcc 0
		.amdhsa_float_round_mode_32 0
		.amdhsa_float_round_mode_16_64 0
		.amdhsa_float_denorm_mode_32 3
		.amdhsa_float_denorm_mode_16_64 3
		.amdhsa_dx10_clamp 1
		.amdhsa_ieee_mode 1
		.amdhsa_fp16_overflow 0
		.amdhsa_workgroup_processor_mode 1
		.amdhsa_memory_ordered 1
		.amdhsa_forward_progress 0
		.amdhsa_shared_vgpr_count 0
		.amdhsa_exception_fp_ieee_invalid_op 0
		.amdhsa_exception_fp_denorm_src 0
		.amdhsa_exception_fp_ieee_div_zero 0
		.amdhsa_exception_fp_ieee_overflow 0
		.amdhsa_exception_fp_ieee_underflow 0
		.amdhsa_exception_fp_ieee_inexact 0
		.amdhsa_exception_int_div_zero 0
	.end_amdhsa_kernel
	.section	.text._ZN7rocprim17ROCPRIM_400000_NS6detail17trampoline_kernelINS0_14default_configENS1_35adjacent_difference_config_selectorILb0EfEEZNS1_24adjacent_difference_implIS3_Lb0ELb0EPfS7_N6thrust23THRUST_200600_302600_NS5minusIfEEEE10hipError_tPvRmT2_T3_mT4_P12ihipStream_tbEUlT_E_NS1_11comp_targetILNS1_3genE8ELNS1_11target_archE1030ELNS1_3gpuE2ELNS1_3repE0EEENS1_30default_config_static_selectorELNS0_4arch9wavefront6targetE0EEEvT1_,"axG",@progbits,_ZN7rocprim17ROCPRIM_400000_NS6detail17trampoline_kernelINS0_14default_configENS1_35adjacent_difference_config_selectorILb0EfEEZNS1_24adjacent_difference_implIS3_Lb0ELb0EPfS7_N6thrust23THRUST_200600_302600_NS5minusIfEEEE10hipError_tPvRmT2_T3_mT4_P12ihipStream_tbEUlT_E_NS1_11comp_targetILNS1_3genE8ELNS1_11target_archE1030ELNS1_3gpuE2ELNS1_3repE0EEENS1_30default_config_static_selectorELNS0_4arch9wavefront6targetE0EEEvT1_,comdat
.Lfunc_end60:
	.size	_ZN7rocprim17ROCPRIM_400000_NS6detail17trampoline_kernelINS0_14default_configENS1_35adjacent_difference_config_selectorILb0EfEEZNS1_24adjacent_difference_implIS3_Lb0ELb0EPfS7_N6thrust23THRUST_200600_302600_NS5minusIfEEEE10hipError_tPvRmT2_T3_mT4_P12ihipStream_tbEUlT_E_NS1_11comp_targetILNS1_3genE8ELNS1_11target_archE1030ELNS1_3gpuE2ELNS1_3repE0EEENS1_30default_config_static_selectorELNS0_4arch9wavefront6targetE0EEEvT1_, .Lfunc_end60-_ZN7rocprim17ROCPRIM_400000_NS6detail17trampoline_kernelINS0_14default_configENS1_35adjacent_difference_config_selectorILb0EfEEZNS1_24adjacent_difference_implIS3_Lb0ELb0EPfS7_N6thrust23THRUST_200600_302600_NS5minusIfEEEE10hipError_tPvRmT2_T3_mT4_P12ihipStream_tbEUlT_E_NS1_11comp_targetILNS1_3genE8ELNS1_11target_archE1030ELNS1_3gpuE2ELNS1_3repE0EEENS1_30default_config_static_selectorELNS0_4arch9wavefront6targetE0EEEvT1_
                                        ; -- End function
	.section	.AMDGPU.csdata,"",@progbits
; Kernel info:
; codeLenInByte = 0
; NumSgprs: 0
; NumVgprs: 0
; ScratchSize: 0
; MemoryBound: 0
; FloatMode: 240
; IeeeMode: 1
; LDSByteSize: 0 bytes/workgroup (compile time only)
; SGPRBlocks: 0
; VGPRBlocks: 0
; NumSGPRsForWavesPerEU: 1
; NumVGPRsForWavesPerEU: 1
; Occupancy: 16
; WaveLimiterHint : 0
; COMPUTE_PGM_RSRC2:SCRATCH_EN: 0
; COMPUTE_PGM_RSRC2:USER_SGPR: 15
; COMPUTE_PGM_RSRC2:TRAP_HANDLER: 0
; COMPUTE_PGM_RSRC2:TGID_X_EN: 1
; COMPUTE_PGM_RSRC2:TGID_Y_EN: 0
; COMPUTE_PGM_RSRC2:TGID_Z_EN: 0
; COMPUTE_PGM_RSRC2:TIDIG_COMP_CNT: 0
	.section	.text._ZN7rocprim17ROCPRIM_400000_NS6detail17trampoline_kernelINS0_14default_configENS1_25transform_config_selectorIfLb0EEEZNS1_14transform_implILb0ES3_S5_NS0_18transform_iteratorINS0_17counting_iteratorImlEEZNS1_24adjacent_difference_implIS3_Lb1ELb0EPfSB_N6thrust23THRUST_200600_302600_NS5minusIfEEEE10hipError_tPvRmT2_T3_mT4_P12ihipStream_tbEUlmE_fEESB_NS0_8identityIvEEEESG_SJ_SK_mSL_SN_bEUlT_E_NS1_11comp_targetILNS1_3genE0ELNS1_11target_archE4294967295ELNS1_3gpuE0ELNS1_3repE0EEENS1_30default_config_static_selectorELNS0_4arch9wavefront6targetE0EEEvT1_,"axG",@progbits,_ZN7rocprim17ROCPRIM_400000_NS6detail17trampoline_kernelINS0_14default_configENS1_25transform_config_selectorIfLb0EEEZNS1_14transform_implILb0ES3_S5_NS0_18transform_iteratorINS0_17counting_iteratorImlEEZNS1_24adjacent_difference_implIS3_Lb1ELb0EPfSB_N6thrust23THRUST_200600_302600_NS5minusIfEEEE10hipError_tPvRmT2_T3_mT4_P12ihipStream_tbEUlmE_fEESB_NS0_8identityIvEEEESG_SJ_SK_mSL_SN_bEUlT_E_NS1_11comp_targetILNS1_3genE0ELNS1_11target_archE4294967295ELNS1_3gpuE0ELNS1_3repE0EEENS1_30default_config_static_selectorELNS0_4arch9wavefront6targetE0EEEvT1_,comdat
	.protected	_ZN7rocprim17ROCPRIM_400000_NS6detail17trampoline_kernelINS0_14default_configENS1_25transform_config_selectorIfLb0EEEZNS1_14transform_implILb0ES3_S5_NS0_18transform_iteratorINS0_17counting_iteratorImlEEZNS1_24adjacent_difference_implIS3_Lb1ELb0EPfSB_N6thrust23THRUST_200600_302600_NS5minusIfEEEE10hipError_tPvRmT2_T3_mT4_P12ihipStream_tbEUlmE_fEESB_NS0_8identityIvEEEESG_SJ_SK_mSL_SN_bEUlT_E_NS1_11comp_targetILNS1_3genE0ELNS1_11target_archE4294967295ELNS1_3gpuE0ELNS1_3repE0EEENS1_30default_config_static_selectorELNS0_4arch9wavefront6targetE0EEEvT1_ ; -- Begin function _ZN7rocprim17ROCPRIM_400000_NS6detail17trampoline_kernelINS0_14default_configENS1_25transform_config_selectorIfLb0EEEZNS1_14transform_implILb0ES3_S5_NS0_18transform_iteratorINS0_17counting_iteratorImlEEZNS1_24adjacent_difference_implIS3_Lb1ELb0EPfSB_N6thrust23THRUST_200600_302600_NS5minusIfEEEE10hipError_tPvRmT2_T3_mT4_P12ihipStream_tbEUlmE_fEESB_NS0_8identityIvEEEESG_SJ_SK_mSL_SN_bEUlT_E_NS1_11comp_targetILNS1_3genE0ELNS1_11target_archE4294967295ELNS1_3gpuE0ELNS1_3repE0EEENS1_30default_config_static_selectorELNS0_4arch9wavefront6targetE0EEEvT1_
	.globl	_ZN7rocprim17ROCPRIM_400000_NS6detail17trampoline_kernelINS0_14default_configENS1_25transform_config_selectorIfLb0EEEZNS1_14transform_implILb0ES3_S5_NS0_18transform_iteratorINS0_17counting_iteratorImlEEZNS1_24adjacent_difference_implIS3_Lb1ELb0EPfSB_N6thrust23THRUST_200600_302600_NS5minusIfEEEE10hipError_tPvRmT2_T3_mT4_P12ihipStream_tbEUlmE_fEESB_NS0_8identityIvEEEESG_SJ_SK_mSL_SN_bEUlT_E_NS1_11comp_targetILNS1_3genE0ELNS1_11target_archE4294967295ELNS1_3gpuE0ELNS1_3repE0EEENS1_30default_config_static_selectorELNS0_4arch9wavefront6targetE0EEEvT1_
	.p2align	8
	.type	_ZN7rocprim17ROCPRIM_400000_NS6detail17trampoline_kernelINS0_14default_configENS1_25transform_config_selectorIfLb0EEEZNS1_14transform_implILb0ES3_S5_NS0_18transform_iteratorINS0_17counting_iteratorImlEEZNS1_24adjacent_difference_implIS3_Lb1ELb0EPfSB_N6thrust23THRUST_200600_302600_NS5minusIfEEEE10hipError_tPvRmT2_T3_mT4_P12ihipStream_tbEUlmE_fEESB_NS0_8identityIvEEEESG_SJ_SK_mSL_SN_bEUlT_E_NS1_11comp_targetILNS1_3genE0ELNS1_11target_archE4294967295ELNS1_3gpuE0ELNS1_3repE0EEENS1_30default_config_static_selectorELNS0_4arch9wavefront6targetE0EEEvT1_,@function
_ZN7rocprim17ROCPRIM_400000_NS6detail17trampoline_kernelINS0_14default_configENS1_25transform_config_selectorIfLb0EEEZNS1_14transform_implILb0ES3_S5_NS0_18transform_iteratorINS0_17counting_iteratorImlEEZNS1_24adjacent_difference_implIS3_Lb1ELb0EPfSB_N6thrust23THRUST_200600_302600_NS5minusIfEEEE10hipError_tPvRmT2_T3_mT4_P12ihipStream_tbEUlmE_fEESB_NS0_8identityIvEEEESG_SJ_SK_mSL_SN_bEUlT_E_NS1_11comp_targetILNS1_3genE0ELNS1_11target_archE4294967295ELNS1_3gpuE0ELNS1_3repE0EEENS1_30default_config_static_selectorELNS0_4arch9wavefront6targetE0EEEvT1_: ; @_ZN7rocprim17ROCPRIM_400000_NS6detail17trampoline_kernelINS0_14default_configENS1_25transform_config_selectorIfLb0EEEZNS1_14transform_implILb0ES3_S5_NS0_18transform_iteratorINS0_17counting_iteratorImlEEZNS1_24adjacent_difference_implIS3_Lb1ELb0EPfSB_N6thrust23THRUST_200600_302600_NS5minusIfEEEE10hipError_tPvRmT2_T3_mT4_P12ihipStream_tbEUlmE_fEESB_NS0_8identityIvEEEESG_SJ_SK_mSL_SN_bEUlT_E_NS1_11comp_targetILNS1_3genE0ELNS1_11target_archE4294967295ELNS1_3gpuE0ELNS1_3repE0EEENS1_30default_config_static_selectorELNS0_4arch9wavefront6targetE0EEEvT1_
; %bb.0:
	.section	.rodata,"a",@progbits
	.p2align	6, 0x0
	.amdhsa_kernel _ZN7rocprim17ROCPRIM_400000_NS6detail17trampoline_kernelINS0_14default_configENS1_25transform_config_selectorIfLb0EEEZNS1_14transform_implILb0ES3_S5_NS0_18transform_iteratorINS0_17counting_iteratorImlEEZNS1_24adjacent_difference_implIS3_Lb1ELb0EPfSB_N6thrust23THRUST_200600_302600_NS5minusIfEEEE10hipError_tPvRmT2_T3_mT4_P12ihipStream_tbEUlmE_fEESB_NS0_8identityIvEEEESG_SJ_SK_mSL_SN_bEUlT_E_NS1_11comp_targetILNS1_3genE0ELNS1_11target_archE4294967295ELNS1_3gpuE0ELNS1_3repE0EEENS1_30default_config_static_selectorELNS0_4arch9wavefront6targetE0EEEvT1_
		.amdhsa_group_segment_fixed_size 0
		.amdhsa_private_segment_fixed_size 0
		.amdhsa_kernarg_size 56
		.amdhsa_user_sgpr_count 15
		.amdhsa_user_sgpr_dispatch_ptr 0
		.amdhsa_user_sgpr_queue_ptr 0
		.amdhsa_user_sgpr_kernarg_segment_ptr 1
		.amdhsa_user_sgpr_dispatch_id 0
		.amdhsa_user_sgpr_private_segment_size 0
		.amdhsa_wavefront_size32 1
		.amdhsa_uses_dynamic_stack 0
		.amdhsa_enable_private_segment 0
		.amdhsa_system_sgpr_workgroup_id_x 1
		.amdhsa_system_sgpr_workgroup_id_y 0
		.amdhsa_system_sgpr_workgroup_id_z 0
		.amdhsa_system_sgpr_workgroup_info 0
		.amdhsa_system_vgpr_workitem_id 0
		.amdhsa_next_free_vgpr 1
		.amdhsa_next_free_sgpr 1
		.amdhsa_reserve_vcc 0
		.amdhsa_float_round_mode_32 0
		.amdhsa_float_round_mode_16_64 0
		.amdhsa_float_denorm_mode_32 3
		.amdhsa_float_denorm_mode_16_64 3
		.amdhsa_dx10_clamp 1
		.amdhsa_ieee_mode 1
		.amdhsa_fp16_overflow 0
		.amdhsa_workgroup_processor_mode 1
		.amdhsa_memory_ordered 1
		.amdhsa_forward_progress 0
		.amdhsa_shared_vgpr_count 0
		.amdhsa_exception_fp_ieee_invalid_op 0
		.amdhsa_exception_fp_denorm_src 0
		.amdhsa_exception_fp_ieee_div_zero 0
		.amdhsa_exception_fp_ieee_overflow 0
		.amdhsa_exception_fp_ieee_underflow 0
		.amdhsa_exception_fp_ieee_inexact 0
		.amdhsa_exception_int_div_zero 0
	.end_amdhsa_kernel
	.section	.text._ZN7rocprim17ROCPRIM_400000_NS6detail17trampoline_kernelINS0_14default_configENS1_25transform_config_selectorIfLb0EEEZNS1_14transform_implILb0ES3_S5_NS0_18transform_iteratorINS0_17counting_iteratorImlEEZNS1_24adjacent_difference_implIS3_Lb1ELb0EPfSB_N6thrust23THRUST_200600_302600_NS5minusIfEEEE10hipError_tPvRmT2_T3_mT4_P12ihipStream_tbEUlmE_fEESB_NS0_8identityIvEEEESG_SJ_SK_mSL_SN_bEUlT_E_NS1_11comp_targetILNS1_3genE0ELNS1_11target_archE4294967295ELNS1_3gpuE0ELNS1_3repE0EEENS1_30default_config_static_selectorELNS0_4arch9wavefront6targetE0EEEvT1_,"axG",@progbits,_ZN7rocprim17ROCPRIM_400000_NS6detail17trampoline_kernelINS0_14default_configENS1_25transform_config_selectorIfLb0EEEZNS1_14transform_implILb0ES3_S5_NS0_18transform_iteratorINS0_17counting_iteratorImlEEZNS1_24adjacent_difference_implIS3_Lb1ELb0EPfSB_N6thrust23THRUST_200600_302600_NS5minusIfEEEE10hipError_tPvRmT2_T3_mT4_P12ihipStream_tbEUlmE_fEESB_NS0_8identityIvEEEESG_SJ_SK_mSL_SN_bEUlT_E_NS1_11comp_targetILNS1_3genE0ELNS1_11target_archE4294967295ELNS1_3gpuE0ELNS1_3repE0EEENS1_30default_config_static_selectorELNS0_4arch9wavefront6targetE0EEEvT1_,comdat
.Lfunc_end61:
	.size	_ZN7rocprim17ROCPRIM_400000_NS6detail17trampoline_kernelINS0_14default_configENS1_25transform_config_selectorIfLb0EEEZNS1_14transform_implILb0ES3_S5_NS0_18transform_iteratorINS0_17counting_iteratorImlEEZNS1_24adjacent_difference_implIS3_Lb1ELb0EPfSB_N6thrust23THRUST_200600_302600_NS5minusIfEEEE10hipError_tPvRmT2_T3_mT4_P12ihipStream_tbEUlmE_fEESB_NS0_8identityIvEEEESG_SJ_SK_mSL_SN_bEUlT_E_NS1_11comp_targetILNS1_3genE0ELNS1_11target_archE4294967295ELNS1_3gpuE0ELNS1_3repE0EEENS1_30default_config_static_selectorELNS0_4arch9wavefront6targetE0EEEvT1_, .Lfunc_end61-_ZN7rocprim17ROCPRIM_400000_NS6detail17trampoline_kernelINS0_14default_configENS1_25transform_config_selectorIfLb0EEEZNS1_14transform_implILb0ES3_S5_NS0_18transform_iteratorINS0_17counting_iteratorImlEEZNS1_24adjacent_difference_implIS3_Lb1ELb0EPfSB_N6thrust23THRUST_200600_302600_NS5minusIfEEEE10hipError_tPvRmT2_T3_mT4_P12ihipStream_tbEUlmE_fEESB_NS0_8identityIvEEEESG_SJ_SK_mSL_SN_bEUlT_E_NS1_11comp_targetILNS1_3genE0ELNS1_11target_archE4294967295ELNS1_3gpuE0ELNS1_3repE0EEENS1_30default_config_static_selectorELNS0_4arch9wavefront6targetE0EEEvT1_
                                        ; -- End function
	.section	.AMDGPU.csdata,"",@progbits
; Kernel info:
; codeLenInByte = 0
; NumSgprs: 0
; NumVgprs: 0
; ScratchSize: 0
; MemoryBound: 0
; FloatMode: 240
; IeeeMode: 1
; LDSByteSize: 0 bytes/workgroup (compile time only)
; SGPRBlocks: 0
; VGPRBlocks: 0
; NumSGPRsForWavesPerEU: 1
; NumVGPRsForWavesPerEU: 1
; Occupancy: 16
; WaveLimiterHint : 0
; COMPUTE_PGM_RSRC2:SCRATCH_EN: 0
; COMPUTE_PGM_RSRC2:USER_SGPR: 15
; COMPUTE_PGM_RSRC2:TRAP_HANDLER: 0
; COMPUTE_PGM_RSRC2:TGID_X_EN: 1
; COMPUTE_PGM_RSRC2:TGID_Y_EN: 0
; COMPUTE_PGM_RSRC2:TGID_Z_EN: 0
; COMPUTE_PGM_RSRC2:TIDIG_COMP_CNT: 0
	.section	.text._ZN7rocprim17ROCPRIM_400000_NS6detail17trampoline_kernelINS0_14default_configENS1_25transform_config_selectorIfLb0EEEZNS1_14transform_implILb0ES3_S5_NS0_18transform_iteratorINS0_17counting_iteratorImlEEZNS1_24adjacent_difference_implIS3_Lb1ELb0EPfSB_N6thrust23THRUST_200600_302600_NS5minusIfEEEE10hipError_tPvRmT2_T3_mT4_P12ihipStream_tbEUlmE_fEESB_NS0_8identityIvEEEESG_SJ_SK_mSL_SN_bEUlT_E_NS1_11comp_targetILNS1_3genE5ELNS1_11target_archE942ELNS1_3gpuE9ELNS1_3repE0EEENS1_30default_config_static_selectorELNS0_4arch9wavefront6targetE0EEEvT1_,"axG",@progbits,_ZN7rocprim17ROCPRIM_400000_NS6detail17trampoline_kernelINS0_14default_configENS1_25transform_config_selectorIfLb0EEEZNS1_14transform_implILb0ES3_S5_NS0_18transform_iteratorINS0_17counting_iteratorImlEEZNS1_24adjacent_difference_implIS3_Lb1ELb0EPfSB_N6thrust23THRUST_200600_302600_NS5minusIfEEEE10hipError_tPvRmT2_T3_mT4_P12ihipStream_tbEUlmE_fEESB_NS0_8identityIvEEEESG_SJ_SK_mSL_SN_bEUlT_E_NS1_11comp_targetILNS1_3genE5ELNS1_11target_archE942ELNS1_3gpuE9ELNS1_3repE0EEENS1_30default_config_static_selectorELNS0_4arch9wavefront6targetE0EEEvT1_,comdat
	.protected	_ZN7rocprim17ROCPRIM_400000_NS6detail17trampoline_kernelINS0_14default_configENS1_25transform_config_selectorIfLb0EEEZNS1_14transform_implILb0ES3_S5_NS0_18transform_iteratorINS0_17counting_iteratorImlEEZNS1_24adjacent_difference_implIS3_Lb1ELb0EPfSB_N6thrust23THRUST_200600_302600_NS5minusIfEEEE10hipError_tPvRmT2_T3_mT4_P12ihipStream_tbEUlmE_fEESB_NS0_8identityIvEEEESG_SJ_SK_mSL_SN_bEUlT_E_NS1_11comp_targetILNS1_3genE5ELNS1_11target_archE942ELNS1_3gpuE9ELNS1_3repE0EEENS1_30default_config_static_selectorELNS0_4arch9wavefront6targetE0EEEvT1_ ; -- Begin function _ZN7rocprim17ROCPRIM_400000_NS6detail17trampoline_kernelINS0_14default_configENS1_25transform_config_selectorIfLb0EEEZNS1_14transform_implILb0ES3_S5_NS0_18transform_iteratorINS0_17counting_iteratorImlEEZNS1_24adjacent_difference_implIS3_Lb1ELb0EPfSB_N6thrust23THRUST_200600_302600_NS5minusIfEEEE10hipError_tPvRmT2_T3_mT4_P12ihipStream_tbEUlmE_fEESB_NS0_8identityIvEEEESG_SJ_SK_mSL_SN_bEUlT_E_NS1_11comp_targetILNS1_3genE5ELNS1_11target_archE942ELNS1_3gpuE9ELNS1_3repE0EEENS1_30default_config_static_selectorELNS0_4arch9wavefront6targetE0EEEvT1_
	.globl	_ZN7rocprim17ROCPRIM_400000_NS6detail17trampoline_kernelINS0_14default_configENS1_25transform_config_selectorIfLb0EEEZNS1_14transform_implILb0ES3_S5_NS0_18transform_iteratorINS0_17counting_iteratorImlEEZNS1_24adjacent_difference_implIS3_Lb1ELb0EPfSB_N6thrust23THRUST_200600_302600_NS5minusIfEEEE10hipError_tPvRmT2_T3_mT4_P12ihipStream_tbEUlmE_fEESB_NS0_8identityIvEEEESG_SJ_SK_mSL_SN_bEUlT_E_NS1_11comp_targetILNS1_3genE5ELNS1_11target_archE942ELNS1_3gpuE9ELNS1_3repE0EEENS1_30default_config_static_selectorELNS0_4arch9wavefront6targetE0EEEvT1_
	.p2align	8
	.type	_ZN7rocprim17ROCPRIM_400000_NS6detail17trampoline_kernelINS0_14default_configENS1_25transform_config_selectorIfLb0EEEZNS1_14transform_implILb0ES3_S5_NS0_18transform_iteratorINS0_17counting_iteratorImlEEZNS1_24adjacent_difference_implIS3_Lb1ELb0EPfSB_N6thrust23THRUST_200600_302600_NS5minusIfEEEE10hipError_tPvRmT2_T3_mT4_P12ihipStream_tbEUlmE_fEESB_NS0_8identityIvEEEESG_SJ_SK_mSL_SN_bEUlT_E_NS1_11comp_targetILNS1_3genE5ELNS1_11target_archE942ELNS1_3gpuE9ELNS1_3repE0EEENS1_30default_config_static_selectorELNS0_4arch9wavefront6targetE0EEEvT1_,@function
_ZN7rocprim17ROCPRIM_400000_NS6detail17trampoline_kernelINS0_14default_configENS1_25transform_config_selectorIfLb0EEEZNS1_14transform_implILb0ES3_S5_NS0_18transform_iteratorINS0_17counting_iteratorImlEEZNS1_24adjacent_difference_implIS3_Lb1ELb0EPfSB_N6thrust23THRUST_200600_302600_NS5minusIfEEEE10hipError_tPvRmT2_T3_mT4_P12ihipStream_tbEUlmE_fEESB_NS0_8identityIvEEEESG_SJ_SK_mSL_SN_bEUlT_E_NS1_11comp_targetILNS1_3genE5ELNS1_11target_archE942ELNS1_3gpuE9ELNS1_3repE0EEENS1_30default_config_static_selectorELNS0_4arch9wavefront6targetE0EEEvT1_: ; @_ZN7rocprim17ROCPRIM_400000_NS6detail17trampoline_kernelINS0_14default_configENS1_25transform_config_selectorIfLb0EEEZNS1_14transform_implILb0ES3_S5_NS0_18transform_iteratorINS0_17counting_iteratorImlEEZNS1_24adjacent_difference_implIS3_Lb1ELb0EPfSB_N6thrust23THRUST_200600_302600_NS5minusIfEEEE10hipError_tPvRmT2_T3_mT4_P12ihipStream_tbEUlmE_fEESB_NS0_8identityIvEEEESG_SJ_SK_mSL_SN_bEUlT_E_NS1_11comp_targetILNS1_3genE5ELNS1_11target_archE942ELNS1_3gpuE9ELNS1_3repE0EEENS1_30default_config_static_selectorELNS0_4arch9wavefront6targetE0EEEvT1_
; %bb.0:
	.section	.rodata,"a",@progbits
	.p2align	6, 0x0
	.amdhsa_kernel _ZN7rocprim17ROCPRIM_400000_NS6detail17trampoline_kernelINS0_14default_configENS1_25transform_config_selectorIfLb0EEEZNS1_14transform_implILb0ES3_S5_NS0_18transform_iteratorINS0_17counting_iteratorImlEEZNS1_24adjacent_difference_implIS3_Lb1ELb0EPfSB_N6thrust23THRUST_200600_302600_NS5minusIfEEEE10hipError_tPvRmT2_T3_mT4_P12ihipStream_tbEUlmE_fEESB_NS0_8identityIvEEEESG_SJ_SK_mSL_SN_bEUlT_E_NS1_11comp_targetILNS1_3genE5ELNS1_11target_archE942ELNS1_3gpuE9ELNS1_3repE0EEENS1_30default_config_static_selectorELNS0_4arch9wavefront6targetE0EEEvT1_
		.amdhsa_group_segment_fixed_size 0
		.amdhsa_private_segment_fixed_size 0
		.amdhsa_kernarg_size 56
		.amdhsa_user_sgpr_count 15
		.amdhsa_user_sgpr_dispatch_ptr 0
		.amdhsa_user_sgpr_queue_ptr 0
		.amdhsa_user_sgpr_kernarg_segment_ptr 1
		.amdhsa_user_sgpr_dispatch_id 0
		.amdhsa_user_sgpr_private_segment_size 0
		.amdhsa_wavefront_size32 1
		.amdhsa_uses_dynamic_stack 0
		.amdhsa_enable_private_segment 0
		.amdhsa_system_sgpr_workgroup_id_x 1
		.amdhsa_system_sgpr_workgroup_id_y 0
		.amdhsa_system_sgpr_workgroup_id_z 0
		.amdhsa_system_sgpr_workgroup_info 0
		.amdhsa_system_vgpr_workitem_id 0
		.amdhsa_next_free_vgpr 1
		.amdhsa_next_free_sgpr 1
		.amdhsa_reserve_vcc 0
		.amdhsa_float_round_mode_32 0
		.amdhsa_float_round_mode_16_64 0
		.amdhsa_float_denorm_mode_32 3
		.amdhsa_float_denorm_mode_16_64 3
		.amdhsa_dx10_clamp 1
		.amdhsa_ieee_mode 1
		.amdhsa_fp16_overflow 0
		.amdhsa_workgroup_processor_mode 1
		.amdhsa_memory_ordered 1
		.amdhsa_forward_progress 0
		.amdhsa_shared_vgpr_count 0
		.amdhsa_exception_fp_ieee_invalid_op 0
		.amdhsa_exception_fp_denorm_src 0
		.amdhsa_exception_fp_ieee_div_zero 0
		.amdhsa_exception_fp_ieee_overflow 0
		.amdhsa_exception_fp_ieee_underflow 0
		.amdhsa_exception_fp_ieee_inexact 0
		.amdhsa_exception_int_div_zero 0
	.end_amdhsa_kernel
	.section	.text._ZN7rocprim17ROCPRIM_400000_NS6detail17trampoline_kernelINS0_14default_configENS1_25transform_config_selectorIfLb0EEEZNS1_14transform_implILb0ES3_S5_NS0_18transform_iteratorINS0_17counting_iteratorImlEEZNS1_24adjacent_difference_implIS3_Lb1ELb0EPfSB_N6thrust23THRUST_200600_302600_NS5minusIfEEEE10hipError_tPvRmT2_T3_mT4_P12ihipStream_tbEUlmE_fEESB_NS0_8identityIvEEEESG_SJ_SK_mSL_SN_bEUlT_E_NS1_11comp_targetILNS1_3genE5ELNS1_11target_archE942ELNS1_3gpuE9ELNS1_3repE0EEENS1_30default_config_static_selectorELNS0_4arch9wavefront6targetE0EEEvT1_,"axG",@progbits,_ZN7rocprim17ROCPRIM_400000_NS6detail17trampoline_kernelINS0_14default_configENS1_25transform_config_selectorIfLb0EEEZNS1_14transform_implILb0ES3_S5_NS0_18transform_iteratorINS0_17counting_iteratorImlEEZNS1_24adjacent_difference_implIS3_Lb1ELb0EPfSB_N6thrust23THRUST_200600_302600_NS5minusIfEEEE10hipError_tPvRmT2_T3_mT4_P12ihipStream_tbEUlmE_fEESB_NS0_8identityIvEEEESG_SJ_SK_mSL_SN_bEUlT_E_NS1_11comp_targetILNS1_3genE5ELNS1_11target_archE942ELNS1_3gpuE9ELNS1_3repE0EEENS1_30default_config_static_selectorELNS0_4arch9wavefront6targetE0EEEvT1_,comdat
.Lfunc_end62:
	.size	_ZN7rocprim17ROCPRIM_400000_NS6detail17trampoline_kernelINS0_14default_configENS1_25transform_config_selectorIfLb0EEEZNS1_14transform_implILb0ES3_S5_NS0_18transform_iteratorINS0_17counting_iteratorImlEEZNS1_24adjacent_difference_implIS3_Lb1ELb0EPfSB_N6thrust23THRUST_200600_302600_NS5minusIfEEEE10hipError_tPvRmT2_T3_mT4_P12ihipStream_tbEUlmE_fEESB_NS0_8identityIvEEEESG_SJ_SK_mSL_SN_bEUlT_E_NS1_11comp_targetILNS1_3genE5ELNS1_11target_archE942ELNS1_3gpuE9ELNS1_3repE0EEENS1_30default_config_static_selectorELNS0_4arch9wavefront6targetE0EEEvT1_, .Lfunc_end62-_ZN7rocprim17ROCPRIM_400000_NS6detail17trampoline_kernelINS0_14default_configENS1_25transform_config_selectorIfLb0EEEZNS1_14transform_implILb0ES3_S5_NS0_18transform_iteratorINS0_17counting_iteratorImlEEZNS1_24adjacent_difference_implIS3_Lb1ELb0EPfSB_N6thrust23THRUST_200600_302600_NS5minusIfEEEE10hipError_tPvRmT2_T3_mT4_P12ihipStream_tbEUlmE_fEESB_NS0_8identityIvEEEESG_SJ_SK_mSL_SN_bEUlT_E_NS1_11comp_targetILNS1_3genE5ELNS1_11target_archE942ELNS1_3gpuE9ELNS1_3repE0EEENS1_30default_config_static_selectorELNS0_4arch9wavefront6targetE0EEEvT1_
                                        ; -- End function
	.section	.AMDGPU.csdata,"",@progbits
; Kernel info:
; codeLenInByte = 0
; NumSgprs: 0
; NumVgprs: 0
; ScratchSize: 0
; MemoryBound: 0
; FloatMode: 240
; IeeeMode: 1
; LDSByteSize: 0 bytes/workgroup (compile time only)
; SGPRBlocks: 0
; VGPRBlocks: 0
; NumSGPRsForWavesPerEU: 1
; NumVGPRsForWavesPerEU: 1
; Occupancy: 16
; WaveLimiterHint : 0
; COMPUTE_PGM_RSRC2:SCRATCH_EN: 0
; COMPUTE_PGM_RSRC2:USER_SGPR: 15
; COMPUTE_PGM_RSRC2:TRAP_HANDLER: 0
; COMPUTE_PGM_RSRC2:TGID_X_EN: 1
; COMPUTE_PGM_RSRC2:TGID_Y_EN: 0
; COMPUTE_PGM_RSRC2:TGID_Z_EN: 0
; COMPUTE_PGM_RSRC2:TIDIG_COMP_CNT: 0
	.section	.text._ZN7rocprim17ROCPRIM_400000_NS6detail17trampoline_kernelINS0_14default_configENS1_25transform_config_selectorIfLb0EEEZNS1_14transform_implILb0ES3_S5_NS0_18transform_iteratorINS0_17counting_iteratorImlEEZNS1_24adjacent_difference_implIS3_Lb1ELb0EPfSB_N6thrust23THRUST_200600_302600_NS5minusIfEEEE10hipError_tPvRmT2_T3_mT4_P12ihipStream_tbEUlmE_fEESB_NS0_8identityIvEEEESG_SJ_SK_mSL_SN_bEUlT_E_NS1_11comp_targetILNS1_3genE4ELNS1_11target_archE910ELNS1_3gpuE8ELNS1_3repE0EEENS1_30default_config_static_selectorELNS0_4arch9wavefront6targetE0EEEvT1_,"axG",@progbits,_ZN7rocprim17ROCPRIM_400000_NS6detail17trampoline_kernelINS0_14default_configENS1_25transform_config_selectorIfLb0EEEZNS1_14transform_implILb0ES3_S5_NS0_18transform_iteratorINS0_17counting_iteratorImlEEZNS1_24adjacent_difference_implIS3_Lb1ELb0EPfSB_N6thrust23THRUST_200600_302600_NS5minusIfEEEE10hipError_tPvRmT2_T3_mT4_P12ihipStream_tbEUlmE_fEESB_NS0_8identityIvEEEESG_SJ_SK_mSL_SN_bEUlT_E_NS1_11comp_targetILNS1_3genE4ELNS1_11target_archE910ELNS1_3gpuE8ELNS1_3repE0EEENS1_30default_config_static_selectorELNS0_4arch9wavefront6targetE0EEEvT1_,comdat
	.protected	_ZN7rocprim17ROCPRIM_400000_NS6detail17trampoline_kernelINS0_14default_configENS1_25transform_config_selectorIfLb0EEEZNS1_14transform_implILb0ES3_S5_NS0_18transform_iteratorINS0_17counting_iteratorImlEEZNS1_24adjacent_difference_implIS3_Lb1ELb0EPfSB_N6thrust23THRUST_200600_302600_NS5minusIfEEEE10hipError_tPvRmT2_T3_mT4_P12ihipStream_tbEUlmE_fEESB_NS0_8identityIvEEEESG_SJ_SK_mSL_SN_bEUlT_E_NS1_11comp_targetILNS1_3genE4ELNS1_11target_archE910ELNS1_3gpuE8ELNS1_3repE0EEENS1_30default_config_static_selectorELNS0_4arch9wavefront6targetE0EEEvT1_ ; -- Begin function _ZN7rocprim17ROCPRIM_400000_NS6detail17trampoline_kernelINS0_14default_configENS1_25transform_config_selectorIfLb0EEEZNS1_14transform_implILb0ES3_S5_NS0_18transform_iteratorINS0_17counting_iteratorImlEEZNS1_24adjacent_difference_implIS3_Lb1ELb0EPfSB_N6thrust23THRUST_200600_302600_NS5minusIfEEEE10hipError_tPvRmT2_T3_mT4_P12ihipStream_tbEUlmE_fEESB_NS0_8identityIvEEEESG_SJ_SK_mSL_SN_bEUlT_E_NS1_11comp_targetILNS1_3genE4ELNS1_11target_archE910ELNS1_3gpuE8ELNS1_3repE0EEENS1_30default_config_static_selectorELNS0_4arch9wavefront6targetE0EEEvT1_
	.globl	_ZN7rocprim17ROCPRIM_400000_NS6detail17trampoline_kernelINS0_14default_configENS1_25transform_config_selectorIfLb0EEEZNS1_14transform_implILb0ES3_S5_NS0_18transform_iteratorINS0_17counting_iteratorImlEEZNS1_24adjacent_difference_implIS3_Lb1ELb0EPfSB_N6thrust23THRUST_200600_302600_NS5minusIfEEEE10hipError_tPvRmT2_T3_mT4_P12ihipStream_tbEUlmE_fEESB_NS0_8identityIvEEEESG_SJ_SK_mSL_SN_bEUlT_E_NS1_11comp_targetILNS1_3genE4ELNS1_11target_archE910ELNS1_3gpuE8ELNS1_3repE0EEENS1_30default_config_static_selectorELNS0_4arch9wavefront6targetE0EEEvT1_
	.p2align	8
	.type	_ZN7rocprim17ROCPRIM_400000_NS6detail17trampoline_kernelINS0_14default_configENS1_25transform_config_selectorIfLb0EEEZNS1_14transform_implILb0ES3_S5_NS0_18transform_iteratorINS0_17counting_iteratorImlEEZNS1_24adjacent_difference_implIS3_Lb1ELb0EPfSB_N6thrust23THRUST_200600_302600_NS5minusIfEEEE10hipError_tPvRmT2_T3_mT4_P12ihipStream_tbEUlmE_fEESB_NS0_8identityIvEEEESG_SJ_SK_mSL_SN_bEUlT_E_NS1_11comp_targetILNS1_3genE4ELNS1_11target_archE910ELNS1_3gpuE8ELNS1_3repE0EEENS1_30default_config_static_selectorELNS0_4arch9wavefront6targetE0EEEvT1_,@function
_ZN7rocprim17ROCPRIM_400000_NS6detail17trampoline_kernelINS0_14default_configENS1_25transform_config_selectorIfLb0EEEZNS1_14transform_implILb0ES3_S5_NS0_18transform_iteratorINS0_17counting_iteratorImlEEZNS1_24adjacent_difference_implIS3_Lb1ELb0EPfSB_N6thrust23THRUST_200600_302600_NS5minusIfEEEE10hipError_tPvRmT2_T3_mT4_P12ihipStream_tbEUlmE_fEESB_NS0_8identityIvEEEESG_SJ_SK_mSL_SN_bEUlT_E_NS1_11comp_targetILNS1_3genE4ELNS1_11target_archE910ELNS1_3gpuE8ELNS1_3repE0EEENS1_30default_config_static_selectorELNS0_4arch9wavefront6targetE0EEEvT1_: ; @_ZN7rocprim17ROCPRIM_400000_NS6detail17trampoline_kernelINS0_14default_configENS1_25transform_config_selectorIfLb0EEEZNS1_14transform_implILb0ES3_S5_NS0_18transform_iteratorINS0_17counting_iteratorImlEEZNS1_24adjacent_difference_implIS3_Lb1ELb0EPfSB_N6thrust23THRUST_200600_302600_NS5minusIfEEEE10hipError_tPvRmT2_T3_mT4_P12ihipStream_tbEUlmE_fEESB_NS0_8identityIvEEEESG_SJ_SK_mSL_SN_bEUlT_E_NS1_11comp_targetILNS1_3genE4ELNS1_11target_archE910ELNS1_3gpuE8ELNS1_3repE0EEENS1_30default_config_static_selectorELNS0_4arch9wavefront6targetE0EEEvT1_
; %bb.0:
	.section	.rodata,"a",@progbits
	.p2align	6, 0x0
	.amdhsa_kernel _ZN7rocprim17ROCPRIM_400000_NS6detail17trampoline_kernelINS0_14default_configENS1_25transform_config_selectorIfLb0EEEZNS1_14transform_implILb0ES3_S5_NS0_18transform_iteratorINS0_17counting_iteratorImlEEZNS1_24adjacent_difference_implIS3_Lb1ELb0EPfSB_N6thrust23THRUST_200600_302600_NS5minusIfEEEE10hipError_tPvRmT2_T3_mT4_P12ihipStream_tbEUlmE_fEESB_NS0_8identityIvEEEESG_SJ_SK_mSL_SN_bEUlT_E_NS1_11comp_targetILNS1_3genE4ELNS1_11target_archE910ELNS1_3gpuE8ELNS1_3repE0EEENS1_30default_config_static_selectorELNS0_4arch9wavefront6targetE0EEEvT1_
		.amdhsa_group_segment_fixed_size 0
		.amdhsa_private_segment_fixed_size 0
		.amdhsa_kernarg_size 56
		.amdhsa_user_sgpr_count 15
		.amdhsa_user_sgpr_dispatch_ptr 0
		.amdhsa_user_sgpr_queue_ptr 0
		.amdhsa_user_sgpr_kernarg_segment_ptr 1
		.amdhsa_user_sgpr_dispatch_id 0
		.amdhsa_user_sgpr_private_segment_size 0
		.amdhsa_wavefront_size32 1
		.amdhsa_uses_dynamic_stack 0
		.amdhsa_enable_private_segment 0
		.amdhsa_system_sgpr_workgroup_id_x 1
		.amdhsa_system_sgpr_workgroup_id_y 0
		.amdhsa_system_sgpr_workgroup_id_z 0
		.amdhsa_system_sgpr_workgroup_info 0
		.amdhsa_system_vgpr_workitem_id 0
		.amdhsa_next_free_vgpr 1
		.amdhsa_next_free_sgpr 1
		.amdhsa_reserve_vcc 0
		.amdhsa_float_round_mode_32 0
		.amdhsa_float_round_mode_16_64 0
		.amdhsa_float_denorm_mode_32 3
		.amdhsa_float_denorm_mode_16_64 3
		.amdhsa_dx10_clamp 1
		.amdhsa_ieee_mode 1
		.amdhsa_fp16_overflow 0
		.amdhsa_workgroup_processor_mode 1
		.amdhsa_memory_ordered 1
		.amdhsa_forward_progress 0
		.amdhsa_shared_vgpr_count 0
		.amdhsa_exception_fp_ieee_invalid_op 0
		.amdhsa_exception_fp_denorm_src 0
		.amdhsa_exception_fp_ieee_div_zero 0
		.amdhsa_exception_fp_ieee_overflow 0
		.amdhsa_exception_fp_ieee_underflow 0
		.amdhsa_exception_fp_ieee_inexact 0
		.amdhsa_exception_int_div_zero 0
	.end_amdhsa_kernel
	.section	.text._ZN7rocprim17ROCPRIM_400000_NS6detail17trampoline_kernelINS0_14default_configENS1_25transform_config_selectorIfLb0EEEZNS1_14transform_implILb0ES3_S5_NS0_18transform_iteratorINS0_17counting_iteratorImlEEZNS1_24adjacent_difference_implIS3_Lb1ELb0EPfSB_N6thrust23THRUST_200600_302600_NS5minusIfEEEE10hipError_tPvRmT2_T3_mT4_P12ihipStream_tbEUlmE_fEESB_NS0_8identityIvEEEESG_SJ_SK_mSL_SN_bEUlT_E_NS1_11comp_targetILNS1_3genE4ELNS1_11target_archE910ELNS1_3gpuE8ELNS1_3repE0EEENS1_30default_config_static_selectorELNS0_4arch9wavefront6targetE0EEEvT1_,"axG",@progbits,_ZN7rocprim17ROCPRIM_400000_NS6detail17trampoline_kernelINS0_14default_configENS1_25transform_config_selectorIfLb0EEEZNS1_14transform_implILb0ES3_S5_NS0_18transform_iteratorINS0_17counting_iteratorImlEEZNS1_24adjacent_difference_implIS3_Lb1ELb0EPfSB_N6thrust23THRUST_200600_302600_NS5minusIfEEEE10hipError_tPvRmT2_T3_mT4_P12ihipStream_tbEUlmE_fEESB_NS0_8identityIvEEEESG_SJ_SK_mSL_SN_bEUlT_E_NS1_11comp_targetILNS1_3genE4ELNS1_11target_archE910ELNS1_3gpuE8ELNS1_3repE0EEENS1_30default_config_static_selectorELNS0_4arch9wavefront6targetE0EEEvT1_,comdat
.Lfunc_end63:
	.size	_ZN7rocprim17ROCPRIM_400000_NS6detail17trampoline_kernelINS0_14default_configENS1_25transform_config_selectorIfLb0EEEZNS1_14transform_implILb0ES3_S5_NS0_18transform_iteratorINS0_17counting_iteratorImlEEZNS1_24adjacent_difference_implIS3_Lb1ELb0EPfSB_N6thrust23THRUST_200600_302600_NS5minusIfEEEE10hipError_tPvRmT2_T3_mT4_P12ihipStream_tbEUlmE_fEESB_NS0_8identityIvEEEESG_SJ_SK_mSL_SN_bEUlT_E_NS1_11comp_targetILNS1_3genE4ELNS1_11target_archE910ELNS1_3gpuE8ELNS1_3repE0EEENS1_30default_config_static_selectorELNS0_4arch9wavefront6targetE0EEEvT1_, .Lfunc_end63-_ZN7rocprim17ROCPRIM_400000_NS6detail17trampoline_kernelINS0_14default_configENS1_25transform_config_selectorIfLb0EEEZNS1_14transform_implILb0ES3_S5_NS0_18transform_iteratorINS0_17counting_iteratorImlEEZNS1_24adjacent_difference_implIS3_Lb1ELb0EPfSB_N6thrust23THRUST_200600_302600_NS5minusIfEEEE10hipError_tPvRmT2_T3_mT4_P12ihipStream_tbEUlmE_fEESB_NS0_8identityIvEEEESG_SJ_SK_mSL_SN_bEUlT_E_NS1_11comp_targetILNS1_3genE4ELNS1_11target_archE910ELNS1_3gpuE8ELNS1_3repE0EEENS1_30default_config_static_selectorELNS0_4arch9wavefront6targetE0EEEvT1_
                                        ; -- End function
	.section	.AMDGPU.csdata,"",@progbits
; Kernel info:
; codeLenInByte = 0
; NumSgprs: 0
; NumVgprs: 0
; ScratchSize: 0
; MemoryBound: 0
; FloatMode: 240
; IeeeMode: 1
; LDSByteSize: 0 bytes/workgroup (compile time only)
; SGPRBlocks: 0
; VGPRBlocks: 0
; NumSGPRsForWavesPerEU: 1
; NumVGPRsForWavesPerEU: 1
; Occupancy: 16
; WaveLimiterHint : 0
; COMPUTE_PGM_RSRC2:SCRATCH_EN: 0
; COMPUTE_PGM_RSRC2:USER_SGPR: 15
; COMPUTE_PGM_RSRC2:TRAP_HANDLER: 0
; COMPUTE_PGM_RSRC2:TGID_X_EN: 1
; COMPUTE_PGM_RSRC2:TGID_Y_EN: 0
; COMPUTE_PGM_RSRC2:TGID_Z_EN: 0
; COMPUTE_PGM_RSRC2:TIDIG_COMP_CNT: 0
	.section	.text._ZN7rocprim17ROCPRIM_400000_NS6detail17trampoline_kernelINS0_14default_configENS1_25transform_config_selectorIfLb0EEEZNS1_14transform_implILb0ES3_S5_NS0_18transform_iteratorINS0_17counting_iteratorImlEEZNS1_24adjacent_difference_implIS3_Lb1ELb0EPfSB_N6thrust23THRUST_200600_302600_NS5minusIfEEEE10hipError_tPvRmT2_T3_mT4_P12ihipStream_tbEUlmE_fEESB_NS0_8identityIvEEEESG_SJ_SK_mSL_SN_bEUlT_E_NS1_11comp_targetILNS1_3genE3ELNS1_11target_archE908ELNS1_3gpuE7ELNS1_3repE0EEENS1_30default_config_static_selectorELNS0_4arch9wavefront6targetE0EEEvT1_,"axG",@progbits,_ZN7rocprim17ROCPRIM_400000_NS6detail17trampoline_kernelINS0_14default_configENS1_25transform_config_selectorIfLb0EEEZNS1_14transform_implILb0ES3_S5_NS0_18transform_iteratorINS0_17counting_iteratorImlEEZNS1_24adjacent_difference_implIS3_Lb1ELb0EPfSB_N6thrust23THRUST_200600_302600_NS5minusIfEEEE10hipError_tPvRmT2_T3_mT4_P12ihipStream_tbEUlmE_fEESB_NS0_8identityIvEEEESG_SJ_SK_mSL_SN_bEUlT_E_NS1_11comp_targetILNS1_3genE3ELNS1_11target_archE908ELNS1_3gpuE7ELNS1_3repE0EEENS1_30default_config_static_selectorELNS0_4arch9wavefront6targetE0EEEvT1_,comdat
	.protected	_ZN7rocprim17ROCPRIM_400000_NS6detail17trampoline_kernelINS0_14default_configENS1_25transform_config_selectorIfLb0EEEZNS1_14transform_implILb0ES3_S5_NS0_18transform_iteratorINS0_17counting_iteratorImlEEZNS1_24adjacent_difference_implIS3_Lb1ELb0EPfSB_N6thrust23THRUST_200600_302600_NS5minusIfEEEE10hipError_tPvRmT2_T3_mT4_P12ihipStream_tbEUlmE_fEESB_NS0_8identityIvEEEESG_SJ_SK_mSL_SN_bEUlT_E_NS1_11comp_targetILNS1_3genE3ELNS1_11target_archE908ELNS1_3gpuE7ELNS1_3repE0EEENS1_30default_config_static_selectorELNS0_4arch9wavefront6targetE0EEEvT1_ ; -- Begin function _ZN7rocprim17ROCPRIM_400000_NS6detail17trampoline_kernelINS0_14default_configENS1_25transform_config_selectorIfLb0EEEZNS1_14transform_implILb0ES3_S5_NS0_18transform_iteratorINS0_17counting_iteratorImlEEZNS1_24adjacent_difference_implIS3_Lb1ELb0EPfSB_N6thrust23THRUST_200600_302600_NS5minusIfEEEE10hipError_tPvRmT2_T3_mT4_P12ihipStream_tbEUlmE_fEESB_NS0_8identityIvEEEESG_SJ_SK_mSL_SN_bEUlT_E_NS1_11comp_targetILNS1_3genE3ELNS1_11target_archE908ELNS1_3gpuE7ELNS1_3repE0EEENS1_30default_config_static_selectorELNS0_4arch9wavefront6targetE0EEEvT1_
	.globl	_ZN7rocprim17ROCPRIM_400000_NS6detail17trampoline_kernelINS0_14default_configENS1_25transform_config_selectorIfLb0EEEZNS1_14transform_implILb0ES3_S5_NS0_18transform_iteratorINS0_17counting_iteratorImlEEZNS1_24adjacent_difference_implIS3_Lb1ELb0EPfSB_N6thrust23THRUST_200600_302600_NS5minusIfEEEE10hipError_tPvRmT2_T3_mT4_P12ihipStream_tbEUlmE_fEESB_NS0_8identityIvEEEESG_SJ_SK_mSL_SN_bEUlT_E_NS1_11comp_targetILNS1_3genE3ELNS1_11target_archE908ELNS1_3gpuE7ELNS1_3repE0EEENS1_30default_config_static_selectorELNS0_4arch9wavefront6targetE0EEEvT1_
	.p2align	8
	.type	_ZN7rocprim17ROCPRIM_400000_NS6detail17trampoline_kernelINS0_14default_configENS1_25transform_config_selectorIfLb0EEEZNS1_14transform_implILb0ES3_S5_NS0_18transform_iteratorINS0_17counting_iteratorImlEEZNS1_24adjacent_difference_implIS3_Lb1ELb0EPfSB_N6thrust23THRUST_200600_302600_NS5minusIfEEEE10hipError_tPvRmT2_T3_mT4_P12ihipStream_tbEUlmE_fEESB_NS0_8identityIvEEEESG_SJ_SK_mSL_SN_bEUlT_E_NS1_11comp_targetILNS1_3genE3ELNS1_11target_archE908ELNS1_3gpuE7ELNS1_3repE0EEENS1_30default_config_static_selectorELNS0_4arch9wavefront6targetE0EEEvT1_,@function
_ZN7rocprim17ROCPRIM_400000_NS6detail17trampoline_kernelINS0_14default_configENS1_25transform_config_selectorIfLb0EEEZNS1_14transform_implILb0ES3_S5_NS0_18transform_iteratorINS0_17counting_iteratorImlEEZNS1_24adjacent_difference_implIS3_Lb1ELb0EPfSB_N6thrust23THRUST_200600_302600_NS5minusIfEEEE10hipError_tPvRmT2_T3_mT4_P12ihipStream_tbEUlmE_fEESB_NS0_8identityIvEEEESG_SJ_SK_mSL_SN_bEUlT_E_NS1_11comp_targetILNS1_3genE3ELNS1_11target_archE908ELNS1_3gpuE7ELNS1_3repE0EEENS1_30default_config_static_selectorELNS0_4arch9wavefront6targetE0EEEvT1_: ; @_ZN7rocprim17ROCPRIM_400000_NS6detail17trampoline_kernelINS0_14default_configENS1_25transform_config_selectorIfLb0EEEZNS1_14transform_implILb0ES3_S5_NS0_18transform_iteratorINS0_17counting_iteratorImlEEZNS1_24adjacent_difference_implIS3_Lb1ELb0EPfSB_N6thrust23THRUST_200600_302600_NS5minusIfEEEE10hipError_tPvRmT2_T3_mT4_P12ihipStream_tbEUlmE_fEESB_NS0_8identityIvEEEESG_SJ_SK_mSL_SN_bEUlT_E_NS1_11comp_targetILNS1_3genE3ELNS1_11target_archE908ELNS1_3gpuE7ELNS1_3repE0EEENS1_30default_config_static_selectorELNS0_4arch9wavefront6targetE0EEEvT1_
; %bb.0:
	.section	.rodata,"a",@progbits
	.p2align	6, 0x0
	.amdhsa_kernel _ZN7rocprim17ROCPRIM_400000_NS6detail17trampoline_kernelINS0_14default_configENS1_25transform_config_selectorIfLb0EEEZNS1_14transform_implILb0ES3_S5_NS0_18transform_iteratorINS0_17counting_iteratorImlEEZNS1_24adjacent_difference_implIS3_Lb1ELb0EPfSB_N6thrust23THRUST_200600_302600_NS5minusIfEEEE10hipError_tPvRmT2_T3_mT4_P12ihipStream_tbEUlmE_fEESB_NS0_8identityIvEEEESG_SJ_SK_mSL_SN_bEUlT_E_NS1_11comp_targetILNS1_3genE3ELNS1_11target_archE908ELNS1_3gpuE7ELNS1_3repE0EEENS1_30default_config_static_selectorELNS0_4arch9wavefront6targetE0EEEvT1_
		.amdhsa_group_segment_fixed_size 0
		.amdhsa_private_segment_fixed_size 0
		.amdhsa_kernarg_size 56
		.amdhsa_user_sgpr_count 15
		.amdhsa_user_sgpr_dispatch_ptr 0
		.amdhsa_user_sgpr_queue_ptr 0
		.amdhsa_user_sgpr_kernarg_segment_ptr 1
		.amdhsa_user_sgpr_dispatch_id 0
		.amdhsa_user_sgpr_private_segment_size 0
		.amdhsa_wavefront_size32 1
		.amdhsa_uses_dynamic_stack 0
		.amdhsa_enable_private_segment 0
		.amdhsa_system_sgpr_workgroup_id_x 1
		.amdhsa_system_sgpr_workgroup_id_y 0
		.amdhsa_system_sgpr_workgroup_id_z 0
		.amdhsa_system_sgpr_workgroup_info 0
		.amdhsa_system_vgpr_workitem_id 0
		.amdhsa_next_free_vgpr 1
		.amdhsa_next_free_sgpr 1
		.amdhsa_reserve_vcc 0
		.amdhsa_float_round_mode_32 0
		.amdhsa_float_round_mode_16_64 0
		.amdhsa_float_denorm_mode_32 3
		.amdhsa_float_denorm_mode_16_64 3
		.amdhsa_dx10_clamp 1
		.amdhsa_ieee_mode 1
		.amdhsa_fp16_overflow 0
		.amdhsa_workgroup_processor_mode 1
		.amdhsa_memory_ordered 1
		.amdhsa_forward_progress 0
		.amdhsa_shared_vgpr_count 0
		.amdhsa_exception_fp_ieee_invalid_op 0
		.amdhsa_exception_fp_denorm_src 0
		.amdhsa_exception_fp_ieee_div_zero 0
		.amdhsa_exception_fp_ieee_overflow 0
		.amdhsa_exception_fp_ieee_underflow 0
		.amdhsa_exception_fp_ieee_inexact 0
		.amdhsa_exception_int_div_zero 0
	.end_amdhsa_kernel
	.section	.text._ZN7rocprim17ROCPRIM_400000_NS6detail17trampoline_kernelINS0_14default_configENS1_25transform_config_selectorIfLb0EEEZNS1_14transform_implILb0ES3_S5_NS0_18transform_iteratorINS0_17counting_iteratorImlEEZNS1_24adjacent_difference_implIS3_Lb1ELb0EPfSB_N6thrust23THRUST_200600_302600_NS5minusIfEEEE10hipError_tPvRmT2_T3_mT4_P12ihipStream_tbEUlmE_fEESB_NS0_8identityIvEEEESG_SJ_SK_mSL_SN_bEUlT_E_NS1_11comp_targetILNS1_3genE3ELNS1_11target_archE908ELNS1_3gpuE7ELNS1_3repE0EEENS1_30default_config_static_selectorELNS0_4arch9wavefront6targetE0EEEvT1_,"axG",@progbits,_ZN7rocprim17ROCPRIM_400000_NS6detail17trampoline_kernelINS0_14default_configENS1_25transform_config_selectorIfLb0EEEZNS1_14transform_implILb0ES3_S5_NS0_18transform_iteratorINS0_17counting_iteratorImlEEZNS1_24adjacent_difference_implIS3_Lb1ELb0EPfSB_N6thrust23THRUST_200600_302600_NS5minusIfEEEE10hipError_tPvRmT2_T3_mT4_P12ihipStream_tbEUlmE_fEESB_NS0_8identityIvEEEESG_SJ_SK_mSL_SN_bEUlT_E_NS1_11comp_targetILNS1_3genE3ELNS1_11target_archE908ELNS1_3gpuE7ELNS1_3repE0EEENS1_30default_config_static_selectorELNS0_4arch9wavefront6targetE0EEEvT1_,comdat
.Lfunc_end64:
	.size	_ZN7rocprim17ROCPRIM_400000_NS6detail17trampoline_kernelINS0_14default_configENS1_25transform_config_selectorIfLb0EEEZNS1_14transform_implILb0ES3_S5_NS0_18transform_iteratorINS0_17counting_iteratorImlEEZNS1_24adjacent_difference_implIS3_Lb1ELb0EPfSB_N6thrust23THRUST_200600_302600_NS5minusIfEEEE10hipError_tPvRmT2_T3_mT4_P12ihipStream_tbEUlmE_fEESB_NS0_8identityIvEEEESG_SJ_SK_mSL_SN_bEUlT_E_NS1_11comp_targetILNS1_3genE3ELNS1_11target_archE908ELNS1_3gpuE7ELNS1_3repE0EEENS1_30default_config_static_selectorELNS0_4arch9wavefront6targetE0EEEvT1_, .Lfunc_end64-_ZN7rocprim17ROCPRIM_400000_NS6detail17trampoline_kernelINS0_14default_configENS1_25transform_config_selectorIfLb0EEEZNS1_14transform_implILb0ES3_S5_NS0_18transform_iteratorINS0_17counting_iteratorImlEEZNS1_24adjacent_difference_implIS3_Lb1ELb0EPfSB_N6thrust23THRUST_200600_302600_NS5minusIfEEEE10hipError_tPvRmT2_T3_mT4_P12ihipStream_tbEUlmE_fEESB_NS0_8identityIvEEEESG_SJ_SK_mSL_SN_bEUlT_E_NS1_11comp_targetILNS1_3genE3ELNS1_11target_archE908ELNS1_3gpuE7ELNS1_3repE0EEENS1_30default_config_static_selectorELNS0_4arch9wavefront6targetE0EEEvT1_
                                        ; -- End function
	.section	.AMDGPU.csdata,"",@progbits
; Kernel info:
; codeLenInByte = 0
; NumSgprs: 0
; NumVgprs: 0
; ScratchSize: 0
; MemoryBound: 0
; FloatMode: 240
; IeeeMode: 1
; LDSByteSize: 0 bytes/workgroup (compile time only)
; SGPRBlocks: 0
; VGPRBlocks: 0
; NumSGPRsForWavesPerEU: 1
; NumVGPRsForWavesPerEU: 1
; Occupancy: 16
; WaveLimiterHint : 0
; COMPUTE_PGM_RSRC2:SCRATCH_EN: 0
; COMPUTE_PGM_RSRC2:USER_SGPR: 15
; COMPUTE_PGM_RSRC2:TRAP_HANDLER: 0
; COMPUTE_PGM_RSRC2:TGID_X_EN: 1
; COMPUTE_PGM_RSRC2:TGID_Y_EN: 0
; COMPUTE_PGM_RSRC2:TGID_Z_EN: 0
; COMPUTE_PGM_RSRC2:TIDIG_COMP_CNT: 0
	.section	.text._ZN7rocprim17ROCPRIM_400000_NS6detail17trampoline_kernelINS0_14default_configENS1_25transform_config_selectorIfLb0EEEZNS1_14transform_implILb0ES3_S5_NS0_18transform_iteratorINS0_17counting_iteratorImlEEZNS1_24adjacent_difference_implIS3_Lb1ELb0EPfSB_N6thrust23THRUST_200600_302600_NS5minusIfEEEE10hipError_tPvRmT2_T3_mT4_P12ihipStream_tbEUlmE_fEESB_NS0_8identityIvEEEESG_SJ_SK_mSL_SN_bEUlT_E_NS1_11comp_targetILNS1_3genE2ELNS1_11target_archE906ELNS1_3gpuE6ELNS1_3repE0EEENS1_30default_config_static_selectorELNS0_4arch9wavefront6targetE0EEEvT1_,"axG",@progbits,_ZN7rocprim17ROCPRIM_400000_NS6detail17trampoline_kernelINS0_14default_configENS1_25transform_config_selectorIfLb0EEEZNS1_14transform_implILb0ES3_S5_NS0_18transform_iteratorINS0_17counting_iteratorImlEEZNS1_24adjacent_difference_implIS3_Lb1ELb0EPfSB_N6thrust23THRUST_200600_302600_NS5minusIfEEEE10hipError_tPvRmT2_T3_mT4_P12ihipStream_tbEUlmE_fEESB_NS0_8identityIvEEEESG_SJ_SK_mSL_SN_bEUlT_E_NS1_11comp_targetILNS1_3genE2ELNS1_11target_archE906ELNS1_3gpuE6ELNS1_3repE0EEENS1_30default_config_static_selectorELNS0_4arch9wavefront6targetE0EEEvT1_,comdat
	.protected	_ZN7rocprim17ROCPRIM_400000_NS6detail17trampoline_kernelINS0_14default_configENS1_25transform_config_selectorIfLb0EEEZNS1_14transform_implILb0ES3_S5_NS0_18transform_iteratorINS0_17counting_iteratorImlEEZNS1_24adjacent_difference_implIS3_Lb1ELb0EPfSB_N6thrust23THRUST_200600_302600_NS5minusIfEEEE10hipError_tPvRmT2_T3_mT4_P12ihipStream_tbEUlmE_fEESB_NS0_8identityIvEEEESG_SJ_SK_mSL_SN_bEUlT_E_NS1_11comp_targetILNS1_3genE2ELNS1_11target_archE906ELNS1_3gpuE6ELNS1_3repE0EEENS1_30default_config_static_selectorELNS0_4arch9wavefront6targetE0EEEvT1_ ; -- Begin function _ZN7rocprim17ROCPRIM_400000_NS6detail17trampoline_kernelINS0_14default_configENS1_25transform_config_selectorIfLb0EEEZNS1_14transform_implILb0ES3_S5_NS0_18transform_iteratorINS0_17counting_iteratorImlEEZNS1_24adjacent_difference_implIS3_Lb1ELb0EPfSB_N6thrust23THRUST_200600_302600_NS5minusIfEEEE10hipError_tPvRmT2_T3_mT4_P12ihipStream_tbEUlmE_fEESB_NS0_8identityIvEEEESG_SJ_SK_mSL_SN_bEUlT_E_NS1_11comp_targetILNS1_3genE2ELNS1_11target_archE906ELNS1_3gpuE6ELNS1_3repE0EEENS1_30default_config_static_selectorELNS0_4arch9wavefront6targetE0EEEvT1_
	.globl	_ZN7rocprim17ROCPRIM_400000_NS6detail17trampoline_kernelINS0_14default_configENS1_25transform_config_selectorIfLb0EEEZNS1_14transform_implILb0ES3_S5_NS0_18transform_iteratorINS0_17counting_iteratorImlEEZNS1_24adjacent_difference_implIS3_Lb1ELb0EPfSB_N6thrust23THRUST_200600_302600_NS5minusIfEEEE10hipError_tPvRmT2_T3_mT4_P12ihipStream_tbEUlmE_fEESB_NS0_8identityIvEEEESG_SJ_SK_mSL_SN_bEUlT_E_NS1_11comp_targetILNS1_3genE2ELNS1_11target_archE906ELNS1_3gpuE6ELNS1_3repE0EEENS1_30default_config_static_selectorELNS0_4arch9wavefront6targetE0EEEvT1_
	.p2align	8
	.type	_ZN7rocprim17ROCPRIM_400000_NS6detail17trampoline_kernelINS0_14default_configENS1_25transform_config_selectorIfLb0EEEZNS1_14transform_implILb0ES3_S5_NS0_18transform_iteratorINS0_17counting_iteratorImlEEZNS1_24adjacent_difference_implIS3_Lb1ELb0EPfSB_N6thrust23THRUST_200600_302600_NS5minusIfEEEE10hipError_tPvRmT2_T3_mT4_P12ihipStream_tbEUlmE_fEESB_NS0_8identityIvEEEESG_SJ_SK_mSL_SN_bEUlT_E_NS1_11comp_targetILNS1_3genE2ELNS1_11target_archE906ELNS1_3gpuE6ELNS1_3repE0EEENS1_30default_config_static_selectorELNS0_4arch9wavefront6targetE0EEEvT1_,@function
_ZN7rocprim17ROCPRIM_400000_NS6detail17trampoline_kernelINS0_14default_configENS1_25transform_config_selectorIfLb0EEEZNS1_14transform_implILb0ES3_S5_NS0_18transform_iteratorINS0_17counting_iteratorImlEEZNS1_24adjacent_difference_implIS3_Lb1ELb0EPfSB_N6thrust23THRUST_200600_302600_NS5minusIfEEEE10hipError_tPvRmT2_T3_mT4_P12ihipStream_tbEUlmE_fEESB_NS0_8identityIvEEEESG_SJ_SK_mSL_SN_bEUlT_E_NS1_11comp_targetILNS1_3genE2ELNS1_11target_archE906ELNS1_3gpuE6ELNS1_3repE0EEENS1_30default_config_static_selectorELNS0_4arch9wavefront6targetE0EEEvT1_: ; @_ZN7rocprim17ROCPRIM_400000_NS6detail17trampoline_kernelINS0_14default_configENS1_25transform_config_selectorIfLb0EEEZNS1_14transform_implILb0ES3_S5_NS0_18transform_iteratorINS0_17counting_iteratorImlEEZNS1_24adjacent_difference_implIS3_Lb1ELb0EPfSB_N6thrust23THRUST_200600_302600_NS5minusIfEEEE10hipError_tPvRmT2_T3_mT4_P12ihipStream_tbEUlmE_fEESB_NS0_8identityIvEEEESG_SJ_SK_mSL_SN_bEUlT_E_NS1_11comp_targetILNS1_3genE2ELNS1_11target_archE906ELNS1_3gpuE6ELNS1_3repE0EEENS1_30default_config_static_selectorELNS0_4arch9wavefront6targetE0EEEvT1_
; %bb.0:
	.section	.rodata,"a",@progbits
	.p2align	6, 0x0
	.amdhsa_kernel _ZN7rocprim17ROCPRIM_400000_NS6detail17trampoline_kernelINS0_14default_configENS1_25transform_config_selectorIfLb0EEEZNS1_14transform_implILb0ES3_S5_NS0_18transform_iteratorINS0_17counting_iteratorImlEEZNS1_24adjacent_difference_implIS3_Lb1ELb0EPfSB_N6thrust23THRUST_200600_302600_NS5minusIfEEEE10hipError_tPvRmT2_T3_mT4_P12ihipStream_tbEUlmE_fEESB_NS0_8identityIvEEEESG_SJ_SK_mSL_SN_bEUlT_E_NS1_11comp_targetILNS1_3genE2ELNS1_11target_archE906ELNS1_3gpuE6ELNS1_3repE0EEENS1_30default_config_static_selectorELNS0_4arch9wavefront6targetE0EEEvT1_
		.amdhsa_group_segment_fixed_size 0
		.amdhsa_private_segment_fixed_size 0
		.amdhsa_kernarg_size 56
		.amdhsa_user_sgpr_count 15
		.amdhsa_user_sgpr_dispatch_ptr 0
		.amdhsa_user_sgpr_queue_ptr 0
		.amdhsa_user_sgpr_kernarg_segment_ptr 1
		.amdhsa_user_sgpr_dispatch_id 0
		.amdhsa_user_sgpr_private_segment_size 0
		.amdhsa_wavefront_size32 1
		.amdhsa_uses_dynamic_stack 0
		.amdhsa_enable_private_segment 0
		.amdhsa_system_sgpr_workgroup_id_x 1
		.amdhsa_system_sgpr_workgroup_id_y 0
		.amdhsa_system_sgpr_workgroup_id_z 0
		.amdhsa_system_sgpr_workgroup_info 0
		.amdhsa_system_vgpr_workitem_id 0
		.amdhsa_next_free_vgpr 1
		.amdhsa_next_free_sgpr 1
		.amdhsa_reserve_vcc 0
		.amdhsa_float_round_mode_32 0
		.amdhsa_float_round_mode_16_64 0
		.amdhsa_float_denorm_mode_32 3
		.amdhsa_float_denorm_mode_16_64 3
		.amdhsa_dx10_clamp 1
		.amdhsa_ieee_mode 1
		.amdhsa_fp16_overflow 0
		.amdhsa_workgroup_processor_mode 1
		.amdhsa_memory_ordered 1
		.amdhsa_forward_progress 0
		.amdhsa_shared_vgpr_count 0
		.amdhsa_exception_fp_ieee_invalid_op 0
		.amdhsa_exception_fp_denorm_src 0
		.amdhsa_exception_fp_ieee_div_zero 0
		.amdhsa_exception_fp_ieee_overflow 0
		.amdhsa_exception_fp_ieee_underflow 0
		.amdhsa_exception_fp_ieee_inexact 0
		.amdhsa_exception_int_div_zero 0
	.end_amdhsa_kernel
	.section	.text._ZN7rocprim17ROCPRIM_400000_NS6detail17trampoline_kernelINS0_14default_configENS1_25transform_config_selectorIfLb0EEEZNS1_14transform_implILb0ES3_S5_NS0_18transform_iteratorINS0_17counting_iteratorImlEEZNS1_24adjacent_difference_implIS3_Lb1ELb0EPfSB_N6thrust23THRUST_200600_302600_NS5minusIfEEEE10hipError_tPvRmT2_T3_mT4_P12ihipStream_tbEUlmE_fEESB_NS0_8identityIvEEEESG_SJ_SK_mSL_SN_bEUlT_E_NS1_11comp_targetILNS1_3genE2ELNS1_11target_archE906ELNS1_3gpuE6ELNS1_3repE0EEENS1_30default_config_static_selectorELNS0_4arch9wavefront6targetE0EEEvT1_,"axG",@progbits,_ZN7rocprim17ROCPRIM_400000_NS6detail17trampoline_kernelINS0_14default_configENS1_25transform_config_selectorIfLb0EEEZNS1_14transform_implILb0ES3_S5_NS0_18transform_iteratorINS0_17counting_iteratorImlEEZNS1_24adjacent_difference_implIS3_Lb1ELb0EPfSB_N6thrust23THRUST_200600_302600_NS5minusIfEEEE10hipError_tPvRmT2_T3_mT4_P12ihipStream_tbEUlmE_fEESB_NS0_8identityIvEEEESG_SJ_SK_mSL_SN_bEUlT_E_NS1_11comp_targetILNS1_3genE2ELNS1_11target_archE906ELNS1_3gpuE6ELNS1_3repE0EEENS1_30default_config_static_selectorELNS0_4arch9wavefront6targetE0EEEvT1_,comdat
.Lfunc_end65:
	.size	_ZN7rocprim17ROCPRIM_400000_NS6detail17trampoline_kernelINS0_14default_configENS1_25transform_config_selectorIfLb0EEEZNS1_14transform_implILb0ES3_S5_NS0_18transform_iteratorINS0_17counting_iteratorImlEEZNS1_24adjacent_difference_implIS3_Lb1ELb0EPfSB_N6thrust23THRUST_200600_302600_NS5minusIfEEEE10hipError_tPvRmT2_T3_mT4_P12ihipStream_tbEUlmE_fEESB_NS0_8identityIvEEEESG_SJ_SK_mSL_SN_bEUlT_E_NS1_11comp_targetILNS1_3genE2ELNS1_11target_archE906ELNS1_3gpuE6ELNS1_3repE0EEENS1_30default_config_static_selectorELNS0_4arch9wavefront6targetE0EEEvT1_, .Lfunc_end65-_ZN7rocprim17ROCPRIM_400000_NS6detail17trampoline_kernelINS0_14default_configENS1_25transform_config_selectorIfLb0EEEZNS1_14transform_implILb0ES3_S5_NS0_18transform_iteratorINS0_17counting_iteratorImlEEZNS1_24adjacent_difference_implIS3_Lb1ELb0EPfSB_N6thrust23THRUST_200600_302600_NS5minusIfEEEE10hipError_tPvRmT2_T3_mT4_P12ihipStream_tbEUlmE_fEESB_NS0_8identityIvEEEESG_SJ_SK_mSL_SN_bEUlT_E_NS1_11comp_targetILNS1_3genE2ELNS1_11target_archE906ELNS1_3gpuE6ELNS1_3repE0EEENS1_30default_config_static_selectorELNS0_4arch9wavefront6targetE0EEEvT1_
                                        ; -- End function
	.section	.AMDGPU.csdata,"",@progbits
; Kernel info:
; codeLenInByte = 0
; NumSgprs: 0
; NumVgprs: 0
; ScratchSize: 0
; MemoryBound: 0
; FloatMode: 240
; IeeeMode: 1
; LDSByteSize: 0 bytes/workgroup (compile time only)
; SGPRBlocks: 0
; VGPRBlocks: 0
; NumSGPRsForWavesPerEU: 1
; NumVGPRsForWavesPerEU: 1
; Occupancy: 16
; WaveLimiterHint : 0
; COMPUTE_PGM_RSRC2:SCRATCH_EN: 0
; COMPUTE_PGM_RSRC2:USER_SGPR: 15
; COMPUTE_PGM_RSRC2:TRAP_HANDLER: 0
; COMPUTE_PGM_RSRC2:TGID_X_EN: 1
; COMPUTE_PGM_RSRC2:TGID_Y_EN: 0
; COMPUTE_PGM_RSRC2:TGID_Z_EN: 0
; COMPUTE_PGM_RSRC2:TIDIG_COMP_CNT: 0
	.section	.text._ZN7rocprim17ROCPRIM_400000_NS6detail17trampoline_kernelINS0_14default_configENS1_25transform_config_selectorIfLb0EEEZNS1_14transform_implILb0ES3_S5_NS0_18transform_iteratorINS0_17counting_iteratorImlEEZNS1_24adjacent_difference_implIS3_Lb1ELb0EPfSB_N6thrust23THRUST_200600_302600_NS5minusIfEEEE10hipError_tPvRmT2_T3_mT4_P12ihipStream_tbEUlmE_fEESB_NS0_8identityIvEEEESG_SJ_SK_mSL_SN_bEUlT_E_NS1_11comp_targetILNS1_3genE10ELNS1_11target_archE1201ELNS1_3gpuE5ELNS1_3repE0EEENS1_30default_config_static_selectorELNS0_4arch9wavefront6targetE0EEEvT1_,"axG",@progbits,_ZN7rocprim17ROCPRIM_400000_NS6detail17trampoline_kernelINS0_14default_configENS1_25transform_config_selectorIfLb0EEEZNS1_14transform_implILb0ES3_S5_NS0_18transform_iteratorINS0_17counting_iteratorImlEEZNS1_24adjacent_difference_implIS3_Lb1ELb0EPfSB_N6thrust23THRUST_200600_302600_NS5minusIfEEEE10hipError_tPvRmT2_T3_mT4_P12ihipStream_tbEUlmE_fEESB_NS0_8identityIvEEEESG_SJ_SK_mSL_SN_bEUlT_E_NS1_11comp_targetILNS1_3genE10ELNS1_11target_archE1201ELNS1_3gpuE5ELNS1_3repE0EEENS1_30default_config_static_selectorELNS0_4arch9wavefront6targetE0EEEvT1_,comdat
	.protected	_ZN7rocprim17ROCPRIM_400000_NS6detail17trampoline_kernelINS0_14default_configENS1_25transform_config_selectorIfLb0EEEZNS1_14transform_implILb0ES3_S5_NS0_18transform_iteratorINS0_17counting_iteratorImlEEZNS1_24adjacent_difference_implIS3_Lb1ELb0EPfSB_N6thrust23THRUST_200600_302600_NS5minusIfEEEE10hipError_tPvRmT2_T3_mT4_P12ihipStream_tbEUlmE_fEESB_NS0_8identityIvEEEESG_SJ_SK_mSL_SN_bEUlT_E_NS1_11comp_targetILNS1_3genE10ELNS1_11target_archE1201ELNS1_3gpuE5ELNS1_3repE0EEENS1_30default_config_static_selectorELNS0_4arch9wavefront6targetE0EEEvT1_ ; -- Begin function _ZN7rocprim17ROCPRIM_400000_NS6detail17trampoline_kernelINS0_14default_configENS1_25transform_config_selectorIfLb0EEEZNS1_14transform_implILb0ES3_S5_NS0_18transform_iteratorINS0_17counting_iteratorImlEEZNS1_24adjacent_difference_implIS3_Lb1ELb0EPfSB_N6thrust23THRUST_200600_302600_NS5minusIfEEEE10hipError_tPvRmT2_T3_mT4_P12ihipStream_tbEUlmE_fEESB_NS0_8identityIvEEEESG_SJ_SK_mSL_SN_bEUlT_E_NS1_11comp_targetILNS1_3genE10ELNS1_11target_archE1201ELNS1_3gpuE5ELNS1_3repE0EEENS1_30default_config_static_selectorELNS0_4arch9wavefront6targetE0EEEvT1_
	.globl	_ZN7rocprim17ROCPRIM_400000_NS6detail17trampoline_kernelINS0_14default_configENS1_25transform_config_selectorIfLb0EEEZNS1_14transform_implILb0ES3_S5_NS0_18transform_iteratorINS0_17counting_iteratorImlEEZNS1_24adjacent_difference_implIS3_Lb1ELb0EPfSB_N6thrust23THRUST_200600_302600_NS5minusIfEEEE10hipError_tPvRmT2_T3_mT4_P12ihipStream_tbEUlmE_fEESB_NS0_8identityIvEEEESG_SJ_SK_mSL_SN_bEUlT_E_NS1_11comp_targetILNS1_3genE10ELNS1_11target_archE1201ELNS1_3gpuE5ELNS1_3repE0EEENS1_30default_config_static_selectorELNS0_4arch9wavefront6targetE0EEEvT1_
	.p2align	8
	.type	_ZN7rocprim17ROCPRIM_400000_NS6detail17trampoline_kernelINS0_14default_configENS1_25transform_config_selectorIfLb0EEEZNS1_14transform_implILb0ES3_S5_NS0_18transform_iteratorINS0_17counting_iteratorImlEEZNS1_24adjacent_difference_implIS3_Lb1ELb0EPfSB_N6thrust23THRUST_200600_302600_NS5minusIfEEEE10hipError_tPvRmT2_T3_mT4_P12ihipStream_tbEUlmE_fEESB_NS0_8identityIvEEEESG_SJ_SK_mSL_SN_bEUlT_E_NS1_11comp_targetILNS1_3genE10ELNS1_11target_archE1201ELNS1_3gpuE5ELNS1_3repE0EEENS1_30default_config_static_selectorELNS0_4arch9wavefront6targetE0EEEvT1_,@function
_ZN7rocprim17ROCPRIM_400000_NS6detail17trampoline_kernelINS0_14default_configENS1_25transform_config_selectorIfLb0EEEZNS1_14transform_implILb0ES3_S5_NS0_18transform_iteratorINS0_17counting_iteratorImlEEZNS1_24adjacent_difference_implIS3_Lb1ELb0EPfSB_N6thrust23THRUST_200600_302600_NS5minusIfEEEE10hipError_tPvRmT2_T3_mT4_P12ihipStream_tbEUlmE_fEESB_NS0_8identityIvEEEESG_SJ_SK_mSL_SN_bEUlT_E_NS1_11comp_targetILNS1_3genE10ELNS1_11target_archE1201ELNS1_3gpuE5ELNS1_3repE0EEENS1_30default_config_static_selectorELNS0_4arch9wavefront6targetE0EEEvT1_: ; @_ZN7rocprim17ROCPRIM_400000_NS6detail17trampoline_kernelINS0_14default_configENS1_25transform_config_selectorIfLb0EEEZNS1_14transform_implILb0ES3_S5_NS0_18transform_iteratorINS0_17counting_iteratorImlEEZNS1_24adjacent_difference_implIS3_Lb1ELb0EPfSB_N6thrust23THRUST_200600_302600_NS5minusIfEEEE10hipError_tPvRmT2_T3_mT4_P12ihipStream_tbEUlmE_fEESB_NS0_8identityIvEEEESG_SJ_SK_mSL_SN_bEUlT_E_NS1_11comp_targetILNS1_3genE10ELNS1_11target_archE1201ELNS1_3gpuE5ELNS1_3repE0EEENS1_30default_config_static_selectorELNS0_4arch9wavefront6targetE0EEEvT1_
; %bb.0:
	.section	.rodata,"a",@progbits
	.p2align	6, 0x0
	.amdhsa_kernel _ZN7rocprim17ROCPRIM_400000_NS6detail17trampoline_kernelINS0_14default_configENS1_25transform_config_selectorIfLb0EEEZNS1_14transform_implILb0ES3_S5_NS0_18transform_iteratorINS0_17counting_iteratorImlEEZNS1_24adjacent_difference_implIS3_Lb1ELb0EPfSB_N6thrust23THRUST_200600_302600_NS5minusIfEEEE10hipError_tPvRmT2_T3_mT4_P12ihipStream_tbEUlmE_fEESB_NS0_8identityIvEEEESG_SJ_SK_mSL_SN_bEUlT_E_NS1_11comp_targetILNS1_3genE10ELNS1_11target_archE1201ELNS1_3gpuE5ELNS1_3repE0EEENS1_30default_config_static_selectorELNS0_4arch9wavefront6targetE0EEEvT1_
		.amdhsa_group_segment_fixed_size 0
		.amdhsa_private_segment_fixed_size 0
		.amdhsa_kernarg_size 56
		.amdhsa_user_sgpr_count 15
		.amdhsa_user_sgpr_dispatch_ptr 0
		.amdhsa_user_sgpr_queue_ptr 0
		.amdhsa_user_sgpr_kernarg_segment_ptr 1
		.amdhsa_user_sgpr_dispatch_id 0
		.amdhsa_user_sgpr_private_segment_size 0
		.amdhsa_wavefront_size32 1
		.amdhsa_uses_dynamic_stack 0
		.amdhsa_enable_private_segment 0
		.amdhsa_system_sgpr_workgroup_id_x 1
		.amdhsa_system_sgpr_workgroup_id_y 0
		.amdhsa_system_sgpr_workgroup_id_z 0
		.amdhsa_system_sgpr_workgroup_info 0
		.amdhsa_system_vgpr_workitem_id 0
		.amdhsa_next_free_vgpr 1
		.amdhsa_next_free_sgpr 1
		.amdhsa_reserve_vcc 0
		.amdhsa_float_round_mode_32 0
		.amdhsa_float_round_mode_16_64 0
		.amdhsa_float_denorm_mode_32 3
		.amdhsa_float_denorm_mode_16_64 3
		.amdhsa_dx10_clamp 1
		.amdhsa_ieee_mode 1
		.amdhsa_fp16_overflow 0
		.amdhsa_workgroup_processor_mode 1
		.amdhsa_memory_ordered 1
		.amdhsa_forward_progress 0
		.amdhsa_shared_vgpr_count 0
		.amdhsa_exception_fp_ieee_invalid_op 0
		.amdhsa_exception_fp_denorm_src 0
		.amdhsa_exception_fp_ieee_div_zero 0
		.amdhsa_exception_fp_ieee_overflow 0
		.amdhsa_exception_fp_ieee_underflow 0
		.amdhsa_exception_fp_ieee_inexact 0
		.amdhsa_exception_int_div_zero 0
	.end_amdhsa_kernel
	.section	.text._ZN7rocprim17ROCPRIM_400000_NS6detail17trampoline_kernelINS0_14default_configENS1_25transform_config_selectorIfLb0EEEZNS1_14transform_implILb0ES3_S5_NS0_18transform_iteratorINS0_17counting_iteratorImlEEZNS1_24adjacent_difference_implIS3_Lb1ELb0EPfSB_N6thrust23THRUST_200600_302600_NS5minusIfEEEE10hipError_tPvRmT2_T3_mT4_P12ihipStream_tbEUlmE_fEESB_NS0_8identityIvEEEESG_SJ_SK_mSL_SN_bEUlT_E_NS1_11comp_targetILNS1_3genE10ELNS1_11target_archE1201ELNS1_3gpuE5ELNS1_3repE0EEENS1_30default_config_static_selectorELNS0_4arch9wavefront6targetE0EEEvT1_,"axG",@progbits,_ZN7rocprim17ROCPRIM_400000_NS6detail17trampoline_kernelINS0_14default_configENS1_25transform_config_selectorIfLb0EEEZNS1_14transform_implILb0ES3_S5_NS0_18transform_iteratorINS0_17counting_iteratorImlEEZNS1_24adjacent_difference_implIS3_Lb1ELb0EPfSB_N6thrust23THRUST_200600_302600_NS5minusIfEEEE10hipError_tPvRmT2_T3_mT4_P12ihipStream_tbEUlmE_fEESB_NS0_8identityIvEEEESG_SJ_SK_mSL_SN_bEUlT_E_NS1_11comp_targetILNS1_3genE10ELNS1_11target_archE1201ELNS1_3gpuE5ELNS1_3repE0EEENS1_30default_config_static_selectorELNS0_4arch9wavefront6targetE0EEEvT1_,comdat
.Lfunc_end66:
	.size	_ZN7rocprim17ROCPRIM_400000_NS6detail17trampoline_kernelINS0_14default_configENS1_25transform_config_selectorIfLb0EEEZNS1_14transform_implILb0ES3_S5_NS0_18transform_iteratorINS0_17counting_iteratorImlEEZNS1_24adjacent_difference_implIS3_Lb1ELb0EPfSB_N6thrust23THRUST_200600_302600_NS5minusIfEEEE10hipError_tPvRmT2_T3_mT4_P12ihipStream_tbEUlmE_fEESB_NS0_8identityIvEEEESG_SJ_SK_mSL_SN_bEUlT_E_NS1_11comp_targetILNS1_3genE10ELNS1_11target_archE1201ELNS1_3gpuE5ELNS1_3repE0EEENS1_30default_config_static_selectorELNS0_4arch9wavefront6targetE0EEEvT1_, .Lfunc_end66-_ZN7rocprim17ROCPRIM_400000_NS6detail17trampoline_kernelINS0_14default_configENS1_25transform_config_selectorIfLb0EEEZNS1_14transform_implILb0ES3_S5_NS0_18transform_iteratorINS0_17counting_iteratorImlEEZNS1_24adjacent_difference_implIS3_Lb1ELb0EPfSB_N6thrust23THRUST_200600_302600_NS5minusIfEEEE10hipError_tPvRmT2_T3_mT4_P12ihipStream_tbEUlmE_fEESB_NS0_8identityIvEEEESG_SJ_SK_mSL_SN_bEUlT_E_NS1_11comp_targetILNS1_3genE10ELNS1_11target_archE1201ELNS1_3gpuE5ELNS1_3repE0EEENS1_30default_config_static_selectorELNS0_4arch9wavefront6targetE0EEEvT1_
                                        ; -- End function
	.section	.AMDGPU.csdata,"",@progbits
; Kernel info:
; codeLenInByte = 0
; NumSgprs: 0
; NumVgprs: 0
; ScratchSize: 0
; MemoryBound: 0
; FloatMode: 240
; IeeeMode: 1
; LDSByteSize: 0 bytes/workgroup (compile time only)
; SGPRBlocks: 0
; VGPRBlocks: 0
; NumSGPRsForWavesPerEU: 1
; NumVGPRsForWavesPerEU: 1
; Occupancy: 16
; WaveLimiterHint : 0
; COMPUTE_PGM_RSRC2:SCRATCH_EN: 0
; COMPUTE_PGM_RSRC2:USER_SGPR: 15
; COMPUTE_PGM_RSRC2:TRAP_HANDLER: 0
; COMPUTE_PGM_RSRC2:TGID_X_EN: 1
; COMPUTE_PGM_RSRC2:TGID_Y_EN: 0
; COMPUTE_PGM_RSRC2:TGID_Z_EN: 0
; COMPUTE_PGM_RSRC2:TIDIG_COMP_CNT: 0
	.section	.text._ZN7rocprim17ROCPRIM_400000_NS6detail17trampoline_kernelINS0_14default_configENS1_25transform_config_selectorIfLb0EEEZNS1_14transform_implILb0ES3_S5_NS0_18transform_iteratorINS0_17counting_iteratorImlEEZNS1_24adjacent_difference_implIS3_Lb1ELb0EPfSB_N6thrust23THRUST_200600_302600_NS5minusIfEEEE10hipError_tPvRmT2_T3_mT4_P12ihipStream_tbEUlmE_fEESB_NS0_8identityIvEEEESG_SJ_SK_mSL_SN_bEUlT_E_NS1_11comp_targetILNS1_3genE10ELNS1_11target_archE1200ELNS1_3gpuE4ELNS1_3repE0EEENS1_30default_config_static_selectorELNS0_4arch9wavefront6targetE0EEEvT1_,"axG",@progbits,_ZN7rocprim17ROCPRIM_400000_NS6detail17trampoline_kernelINS0_14default_configENS1_25transform_config_selectorIfLb0EEEZNS1_14transform_implILb0ES3_S5_NS0_18transform_iteratorINS0_17counting_iteratorImlEEZNS1_24adjacent_difference_implIS3_Lb1ELb0EPfSB_N6thrust23THRUST_200600_302600_NS5minusIfEEEE10hipError_tPvRmT2_T3_mT4_P12ihipStream_tbEUlmE_fEESB_NS0_8identityIvEEEESG_SJ_SK_mSL_SN_bEUlT_E_NS1_11comp_targetILNS1_3genE10ELNS1_11target_archE1200ELNS1_3gpuE4ELNS1_3repE0EEENS1_30default_config_static_selectorELNS0_4arch9wavefront6targetE0EEEvT1_,comdat
	.protected	_ZN7rocprim17ROCPRIM_400000_NS6detail17trampoline_kernelINS0_14default_configENS1_25transform_config_selectorIfLb0EEEZNS1_14transform_implILb0ES3_S5_NS0_18transform_iteratorINS0_17counting_iteratorImlEEZNS1_24adjacent_difference_implIS3_Lb1ELb0EPfSB_N6thrust23THRUST_200600_302600_NS5minusIfEEEE10hipError_tPvRmT2_T3_mT4_P12ihipStream_tbEUlmE_fEESB_NS0_8identityIvEEEESG_SJ_SK_mSL_SN_bEUlT_E_NS1_11comp_targetILNS1_3genE10ELNS1_11target_archE1200ELNS1_3gpuE4ELNS1_3repE0EEENS1_30default_config_static_selectorELNS0_4arch9wavefront6targetE0EEEvT1_ ; -- Begin function _ZN7rocprim17ROCPRIM_400000_NS6detail17trampoline_kernelINS0_14default_configENS1_25transform_config_selectorIfLb0EEEZNS1_14transform_implILb0ES3_S5_NS0_18transform_iteratorINS0_17counting_iteratorImlEEZNS1_24adjacent_difference_implIS3_Lb1ELb0EPfSB_N6thrust23THRUST_200600_302600_NS5minusIfEEEE10hipError_tPvRmT2_T3_mT4_P12ihipStream_tbEUlmE_fEESB_NS0_8identityIvEEEESG_SJ_SK_mSL_SN_bEUlT_E_NS1_11comp_targetILNS1_3genE10ELNS1_11target_archE1200ELNS1_3gpuE4ELNS1_3repE0EEENS1_30default_config_static_selectorELNS0_4arch9wavefront6targetE0EEEvT1_
	.globl	_ZN7rocprim17ROCPRIM_400000_NS6detail17trampoline_kernelINS0_14default_configENS1_25transform_config_selectorIfLb0EEEZNS1_14transform_implILb0ES3_S5_NS0_18transform_iteratorINS0_17counting_iteratorImlEEZNS1_24adjacent_difference_implIS3_Lb1ELb0EPfSB_N6thrust23THRUST_200600_302600_NS5minusIfEEEE10hipError_tPvRmT2_T3_mT4_P12ihipStream_tbEUlmE_fEESB_NS0_8identityIvEEEESG_SJ_SK_mSL_SN_bEUlT_E_NS1_11comp_targetILNS1_3genE10ELNS1_11target_archE1200ELNS1_3gpuE4ELNS1_3repE0EEENS1_30default_config_static_selectorELNS0_4arch9wavefront6targetE0EEEvT1_
	.p2align	8
	.type	_ZN7rocprim17ROCPRIM_400000_NS6detail17trampoline_kernelINS0_14default_configENS1_25transform_config_selectorIfLb0EEEZNS1_14transform_implILb0ES3_S5_NS0_18transform_iteratorINS0_17counting_iteratorImlEEZNS1_24adjacent_difference_implIS3_Lb1ELb0EPfSB_N6thrust23THRUST_200600_302600_NS5minusIfEEEE10hipError_tPvRmT2_T3_mT4_P12ihipStream_tbEUlmE_fEESB_NS0_8identityIvEEEESG_SJ_SK_mSL_SN_bEUlT_E_NS1_11comp_targetILNS1_3genE10ELNS1_11target_archE1200ELNS1_3gpuE4ELNS1_3repE0EEENS1_30default_config_static_selectorELNS0_4arch9wavefront6targetE0EEEvT1_,@function
_ZN7rocprim17ROCPRIM_400000_NS6detail17trampoline_kernelINS0_14default_configENS1_25transform_config_selectorIfLb0EEEZNS1_14transform_implILb0ES3_S5_NS0_18transform_iteratorINS0_17counting_iteratorImlEEZNS1_24adjacent_difference_implIS3_Lb1ELb0EPfSB_N6thrust23THRUST_200600_302600_NS5minusIfEEEE10hipError_tPvRmT2_T3_mT4_P12ihipStream_tbEUlmE_fEESB_NS0_8identityIvEEEESG_SJ_SK_mSL_SN_bEUlT_E_NS1_11comp_targetILNS1_3genE10ELNS1_11target_archE1200ELNS1_3gpuE4ELNS1_3repE0EEENS1_30default_config_static_selectorELNS0_4arch9wavefront6targetE0EEEvT1_: ; @_ZN7rocprim17ROCPRIM_400000_NS6detail17trampoline_kernelINS0_14default_configENS1_25transform_config_selectorIfLb0EEEZNS1_14transform_implILb0ES3_S5_NS0_18transform_iteratorINS0_17counting_iteratorImlEEZNS1_24adjacent_difference_implIS3_Lb1ELb0EPfSB_N6thrust23THRUST_200600_302600_NS5minusIfEEEE10hipError_tPvRmT2_T3_mT4_P12ihipStream_tbEUlmE_fEESB_NS0_8identityIvEEEESG_SJ_SK_mSL_SN_bEUlT_E_NS1_11comp_targetILNS1_3genE10ELNS1_11target_archE1200ELNS1_3gpuE4ELNS1_3repE0EEENS1_30default_config_static_selectorELNS0_4arch9wavefront6targetE0EEEvT1_
; %bb.0:
	.section	.rodata,"a",@progbits
	.p2align	6, 0x0
	.amdhsa_kernel _ZN7rocprim17ROCPRIM_400000_NS6detail17trampoline_kernelINS0_14default_configENS1_25transform_config_selectorIfLb0EEEZNS1_14transform_implILb0ES3_S5_NS0_18transform_iteratorINS0_17counting_iteratorImlEEZNS1_24adjacent_difference_implIS3_Lb1ELb0EPfSB_N6thrust23THRUST_200600_302600_NS5minusIfEEEE10hipError_tPvRmT2_T3_mT4_P12ihipStream_tbEUlmE_fEESB_NS0_8identityIvEEEESG_SJ_SK_mSL_SN_bEUlT_E_NS1_11comp_targetILNS1_3genE10ELNS1_11target_archE1200ELNS1_3gpuE4ELNS1_3repE0EEENS1_30default_config_static_selectorELNS0_4arch9wavefront6targetE0EEEvT1_
		.amdhsa_group_segment_fixed_size 0
		.amdhsa_private_segment_fixed_size 0
		.amdhsa_kernarg_size 56
		.amdhsa_user_sgpr_count 15
		.amdhsa_user_sgpr_dispatch_ptr 0
		.amdhsa_user_sgpr_queue_ptr 0
		.amdhsa_user_sgpr_kernarg_segment_ptr 1
		.amdhsa_user_sgpr_dispatch_id 0
		.amdhsa_user_sgpr_private_segment_size 0
		.amdhsa_wavefront_size32 1
		.amdhsa_uses_dynamic_stack 0
		.amdhsa_enable_private_segment 0
		.amdhsa_system_sgpr_workgroup_id_x 1
		.amdhsa_system_sgpr_workgroup_id_y 0
		.amdhsa_system_sgpr_workgroup_id_z 0
		.amdhsa_system_sgpr_workgroup_info 0
		.amdhsa_system_vgpr_workitem_id 0
		.amdhsa_next_free_vgpr 1
		.amdhsa_next_free_sgpr 1
		.amdhsa_reserve_vcc 0
		.amdhsa_float_round_mode_32 0
		.amdhsa_float_round_mode_16_64 0
		.amdhsa_float_denorm_mode_32 3
		.amdhsa_float_denorm_mode_16_64 3
		.amdhsa_dx10_clamp 1
		.amdhsa_ieee_mode 1
		.amdhsa_fp16_overflow 0
		.amdhsa_workgroup_processor_mode 1
		.amdhsa_memory_ordered 1
		.amdhsa_forward_progress 0
		.amdhsa_shared_vgpr_count 0
		.amdhsa_exception_fp_ieee_invalid_op 0
		.amdhsa_exception_fp_denorm_src 0
		.amdhsa_exception_fp_ieee_div_zero 0
		.amdhsa_exception_fp_ieee_overflow 0
		.amdhsa_exception_fp_ieee_underflow 0
		.amdhsa_exception_fp_ieee_inexact 0
		.amdhsa_exception_int_div_zero 0
	.end_amdhsa_kernel
	.section	.text._ZN7rocprim17ROCPRIM_400000_NS6detail17trampoline_kernelINS0_14default_configENS1_25transform_config_selectorIfLb0EEEZNS1_14transform_implILb0ES3_S5_NS0_18transform_iteratorINS0_17counting_iteratorImlEEZNS1_24adjacent_difference_implIS3_Lb1ELb0EPfSB_N6thrust23THRUST_200600_302600_NS5minusIfEEEE10hipError_tPvRmT2_T3_mT4_P12ihipStream_tbEUlmE_fEESB_NS0_8identityIvEEEESG_SJ_SK_mSL_SN_bEUlT_E_NS1_11comp_targetILNS1_3genE10ELNS1_11target_archE1200ELNS1_3gpuE4ELNS1_3repE0EEENS1_30default_config_static_selectorELNS0_4arch9wavefront6targetE0EEEvT1_,"axG",@progbits,_ZN7rocprim17ROCPRIM_400000_NS6detail17trampoline_kernelINS0_14default_configENS1_25transform_config_selectorIfLb0EEEZNS1_14transform_implILb0ES3_S5_NS0_18transform_iteratorINS0_17counting_iteratorImlEEZNS1_24adjacent_difference_implIS3_Lb1ELb0EPfSB_N6thrust23THRUST_200600_302600_NS5minusIfEEEE10hipError_tPvRmT2_T3_mT4_P12ihipStream_tbEUlmE_fEESB_NS0_8identityIvEEEESG_SJ_SK_mSL_SN_bEUlT_E_NS1_11comp_targetILNS1_3genE10ELNS1_11target_archE1200ELNS1_3gpuE4ELNS1_3repE0EEENS1_30default_config_static_selectorELNS0_4arch9wavefront6targetE0EEEvT1_,comdat
.Lfunc_end67:
	.size	_ZN7rocprim17ROCPRIM_400000_NS6detail17trampoline_kernelINS0_14default_configENS1_25transform_config_selectorIfLb0EEEZNS1_14transform_implILb0ES3_S5_NS0_18transform_iteratorINS0_17counting_iteratorImlEEZNS1_24adjacent_difference_implIS3_Lb1ELb0EPfSB_N6thrust23THRUST_200600_302600_NS5minusIfEEEE10hipError_tPvRmT2_T3_mT4_P12ihipStream_tbEUlmE_fEESB_NS0_8identityIvEEEESG_SJ_SK_mSL_SN_bEUlT_E_NS1_11comp_targetILNS1_3genE10ELNS1_11target_archE1200ELNS1_3gpuE4ELNS1_3repE0EEENS1_30default_config_static_selectorELNS0_4arch9wavefront6targetE0EEEvT1_, .Lfunc_end67-_ZN7rocprim17ROCPRIM_400000_NS6detail17trampoline_kernelINS0_14default_configENS1_25transform_config_selectorIfLb0EEEZNS1_14transform_implILb0ES3_S5_NS0_18transform_iteratorINS0_17counting_iteratorImlEEZNS1_24adjacent_difference_implIS3_Lb1ELb0EPfSB_N6thrust23THRUST_200600_302600_NS5minusIfEEEE10hipError_tPvRmT2_T3_mT4_P12ihipStream_tbEUlmE_fEESB_NS0_8identityIvEEEESG_SJ_SK_mSL_SN_bEUlT_E_NS1_11comp_targetILNS1_3genE10ELNS1_11target_archE1200ELNS1_3gpuE4ELNS1_3repE0EEENS1_30default_config_static_selectorELNS0_4arch9wavefront6targetE0EEEvT1_
                                        ; -- End function
	.section	.AMDGPU.csdata,"",@progbits
; Kernel info:
; codeLenInByte = 0
; NumSgprs: 0
; NumVgprs: 0
; ScratchSize: 0
; MemoryBound: 0
; FloatMode: 240
; IeeeMode: 1
; LDSByteSize: 0 bytes/workgroup (compile time only)
; SGPRBlocks: 0
; VGPRBlocks: 0
; NumSGPRsForWavesPerEU: 1
; NumVGPRsForWavesPerEU: 1
; Occupancy: 16
; WaveLimiterHint : 0
; COMPUTE_PGM_RSRC2:SCRATCH_EN: 0
; COMPUTE_PGM_RSRC2:USER_SGPR: 15
; COMPUTE_PGM_RSRC2:TRAP_HANDLER: 0
; COMPUTE_PGM_RSRC2:TGID_X_EN: 1
; COMPUTE_PGM_RSRC2:TGID_Y_EN: 0
; COMPUTE_PGM_RSRC2:TGID_Z_EN: 0
; COMPUTE_PGM_RSRC2:TIDIG_COMP_CNT: 0
	.section	.text._ZN7rocprim17ROCPRIM_400000_NS6detail17trampoline_kernelINS0_14default_configENS1_25transform_config_selectorIfLb0EEEZNS1_14transform_implILb0ES3_S5_NS0_18transform_iteratorINS0_17counting_iteratorImlEEZNS1_24adjacent_difference_implIS3_Lb1ELb0EPfSB_N6thrust23THRUST_200600_302600_NS5minusIfEEEE10hipError_tPvRmT2_T3_mT4_P12ihipStream_tbEUlmE_fEESB_NS0_8identityIvEEEESG_SJ_SK_mSL_SN_bEUlT_E_NS1_11comp_targetILNS1_3genE9ELNS1_11target_archE1100ELNS1_3gpuE3ELNS1_3repE0EEENS1_30default_config_static_selectorELNS0_4arch9wavefront6targetE0EEEvT1_,"axG",@progbits,_ZN7rocprim17ROCPRIM_400000_NS6detail17trampoline_kernelINS0_14default_configENS1_25transform_config_selectorIfLb0EEEZNS1_14transform_implILb0ES3_S5_NS0_18transform_iteratorINS0_17counting_iteratorImlEEZNS1_24adjacent_difference_implIS3_Lb1ELb0EPfSB_N6thrust23THRUST_200600_302600_NS5minusIfEEEE10hipError_tPvRmT2_T3_mT4_P12ihipStream_tbEUlmE_fEESB_NS0_8identityIvEEEESG_SJ_SK_mSL_SN_bEUlT_E_NS1_11comp_targetILNS1_3genE9ELNS1_11target_archE1100ELNS1_3gpuE3ELNS1_3repE0EEENS1_30default_config_static_selectorELNS0_4arch9wavefront6targetE0EEEvT1_,comdat
	.protected	_ZN7rocprim17ROCPRIM_400000_NS6detail17trampoline_kernelINS0_14default_configENS1_25transform_config_selectorIfLb0EEEZNS1_14transform_implILb0ES3_S5_NS0_18transform_iteratorINS0_17counting_iteratorImlEEZNS1_24adjacent_difference_implIS3_Lb1ELb0EPfSB_N6thrust23THRUST_200600_302600_NS5minusIfEEEE10hipError_tPvRmT2_T3_mT4_P12ihipStream_tbEUlmE_fEESB_NS0_8identityIvEEEESG_SJ_SK_mSL_SN_bEUlT_E_NS1_11comp_targetILNS1_3genE9ELNS1_11target_archE1100ELNS1_3gpuE3ELNS1_3repE0EEENS1_30default_config_static_selectorELNS0_4arch9wavefront6targetE0EEEvT1_ ; -- Begin function _ZN7rocprim17ROCPRIM_400000_NS6detail17trampoline_kernelINS0_14default_configENS1_25transform_config_selectorIfLb0EEEZNS1_14transform_implILb0ES3_S5_NS0_18transform_iteratorINS0_17counting_iteratorImlEEZNS1_24adjacent_difference_implIS3_Lb1ELb0EPfSB_N6thrust23THRUST_200600_302600_NS5minusIfEEEE10hipError_tPvRmT2_T3_mT4_P12ihipStream_tbEUlmE_fEESB_NS0_8identityIvEEEESG_SJ_SK_mSL_SN_bEUlT_E_NS1_11comp_targetILNS1_3genE9ELNS1_11target_archE1100ELNS1_3gpuE3ELNS1_3repE0EEENS1_30default_config_static_selectorELNS0_4arch9wavefront6targetE0EEEvT1_
	.globl	_ZN7rocprim17ROCPRIM_400000_NS6detail17trampoline_kernelINS0_14default_configENS1_25transform_config_selectorIfLb0EEEZNS1_14transform_implILb0ES3_S5_NS0_18transform_iteratorINS0_17counting_iteratorImlEEZNS1_24adjacent_difference_implIS3_Lb1ELb0EPfSB_N6thrust23THRUST_200600_302600_NS5minusIfEEEE10hipError_tPvRmT2_T3_mT4_P12ihipStream_tbEUlmE_fEESB_NS0_8identityIvEEEESG_SJ_SK_mSL_SN_bEUlT_E_NS1_11comp_targetILNS1_3genE9ELNS1_11target_archE1100ELNS1_3gpuE3ELNS1_3repE0EEENS1_30default_config_static_selectorELNS0_4arch9wavefront6targetE0EEEvT1_
	.p2align	8
	.type	_ZN7rocprim17ROCPRIM_400000_NS6detail17trampoline_kernelINS0_14default_configENS1_25transform_config_selectorIfLb0EEEZNS1_14transform_implILb0ES3_S5_NS0_18transform_iteratorINS0_17counting_iteratorImlEEZNS1_24adjacent_difference_implIS3_Lb1ELb0EPfSB_N6thrust23THRUST_200600_302600_NS5minusIfEEEE10hipError_tPvRmT2_T3_mT4_P12ihipStream_tbEUlmE_fEESB_NS0_8identityIvEEEESG_SJ_SK_mSL_SN_bEUlT_E_NS1_11comp_targetILNS1_3genE9ELNS1_11target_archE1100ELNS1_3gpuE3ELNS1_3repE0EEENS1_30default_config_static_selectorELNS0_4arch9wavefront6targetE0EEEvT1_,@function
_ZN7rocprim17ROCPRIM_400000_NS6detail17trampoline_kernelINS0_14default_configENS1_25transform_config_selectorIfLb0EEEZNS1_14transform_implILb0ES3_S5_NS0_18transform_iteratorINS0_17counting_iteratorImlEEZNS1_24adjacent_difference_implIS3_Lb1ELb0EPfSB_N6thrust23THRUST_200600_302600_NS5minusIfEEEE10hipError_tPvRmT2_T3_mT4_P12ihipStream_tbEUlmE_fEESB_NS0_8identityIvEEEESG_SJ_SK_mSL_SN_bEUlT_E_NS1_11comp_targetILNS1_3genE9ELNS1_11target_archE1100ELNS1_3gpuE3ELNS1_3repE0EEENS1_30default_config_static_selectorELNS0_4arch9wavefront6targetE0EEEvT1_: ; @_ZN7rocprim17ROCPRIM_400000_NS6detail17trampoline_kernelINS0_14default_configENS1_25transform_config_selectorIfLb0EEEZNS1_14transform_implILb0ES3_S5_NS0_18transform_iteratorINS0_17counting_iteratorImlEEZNS1_24adjacent_difference_implIS3_Lb1ELb0EPfSB_N6thrust23THRUST_200600_302600_NS5minusIfEEEE10hipError_tPvRmT2_T3_mT4_P12ihipStream_tbEUlmE_fEESB_NS0_8identityIvEEEESG_SJ_SK_mSL_SN_bEUlT_E_NS1_11comp_targetILNS1_3genE9ELNS1_11target_archE1100ELNS1_3gpuE3ELNS1_3repE0EEENS1_30default_config_static_selectorELNS0_4arch9wavefront6targetE0EEEvT1_
; %bb.0:
	s_clause 0x4
	s_load_b128 s[4:7], s[0:1], 0x0
	s_load_b64 s[2:3], s[0:1], 0x18
	s_load_b64 s[12:13], s[0:1], 0x28
	s_load_b32 s11, s[0:1], 0x38
	s_load_b32 s8, s[0:1], 0x10
	s_waitcnt lgkmcnt(0)
	s_add_u32 s9, s2, s4
	s_addc_u32 s10, s3, s5
	s_lshl_b64 s[2:3], s[2:3], 2
	s_delay_alu instid0(SALU_CYCLE_1)
	s_add_u32 s4, s12, s2
	s_addc_u32 s5, s13, s3
	s_add_i32 s11, s11, -1
	s_lshl_b32 s2, s15, 10
	s_mov_b32 s3, 0
	s_cmp_lg_u32 s15, s11
	s_mov_b32 s11, -1
	s_cbranch_scc0 .LBB68_2
; %bb.1:
	s_add_u32 s11, s9, s2
	s_addc_u32 s12, s10, 0
	v_add_co_u32 v3, s11, s11, v0
	s_delay_alu instid0(VALU_DEP_1) | instskip(SKIP_1) | instid1(VALU_DEP_2)
	v_add_co_ci_u32_e64 v5, null, s12, 0, s11
	s_lshl_b64 s[12:13], s[2:3], 2
	v_mad_u64_u32 v[1:2], null, v3, s8, 0
	s_add_u32 s12, s4, s12
	s_addc_u32 s13, s5, s13
	s_mov_b32 s11, s3
	s_delay_alu instid0(VALU_DEP_1) | instskip(NEXT) | instid1(VALU_DEP_1)
	v_mad_u64_u32 v[3:4], null, v5, s8, v[2:3]
	v_mov_b32_e32 v2, v3
	s_delay_alu instid0(VALU_DEP_1) | instskip(NEXT) | instid1(VALU_DEP_1)
	v_lshlrev_b64 v[1:2], 2, v[1:2]
	v_add_co_u32 v1, vcc_lo, s6, v1
	s_delay_alu instid0(VALU_DEP_2)
	v_add_co_ci_u32_e32 v2, vcc_lo, s7, v2, vcc_lo
	global_load_b32 v1, v[1:2], off
	v_lshlrev_b32_e32 v2, 2, v0
	s_waitcnt vmcnt(0)
	global_store_b32 v2, v1, s[12:13]
.LBB68_2:
	s_and_not1_b32 vcc_lo, exec_lo, s11
	s_cbranch_vccnz .LBB68_7
; %bb.3:
	s_load_b32 s0, s[0:1], 0x20
                                        ; implicit-def: $vgpr1
	s_waitcnt lgkmcnt(0)
	s_sub_i32 s0, s0, s2
	s_delay_alu instid0(SALU_CYCLE_1)
	v_cmp_gt_u32_e32 vcc_lo, s0, v0
	s_and_saveexec_b32 s1, vcc_lo
	s_cbranch_execz .LBB68_5
; %bb.4:
	s_add_u32 s0, s9, s2
	s_addc_u32 s9, s10, 0
	v_add_co_u32 v3, s0, s0, v0
	s_delay_alu instid0(VALU_DEP_1) | instskip(NEXT) | instid1(VALU_DEP_2)
	v_add_co_ci_u32_e64 v5, null, s9, 0, s0
	v_mad_u64_u32 v[1:2], null, v3, s8, 0
	s_delay_alu instid0(VALU_DEP_1) | instskip(NEXT) | instid1(VALU_DEP_1)
	v_mad_u64_u32 v[3:4], null, v5, s8, v[2:3]
	v_mov_b32_e32 v2, v3
	s_delay_alu instid0(VALU_DEP_1) | instskip(NEXT) | instid1(VALU_DEP_1)
	v_lshlrev_b64 v[1:2], 2, v[1:2]
	v_add_co_u32 v1, s0, s6, v1
	s_delay_alu instid0(VALU_DEP_1)
	v_add_co_ci_u32_e64 v2, s0, s7, v2, s0
	global_load_b32 v1, v[1:2], off
.LBB68_5:
	s_or_b32 exec_lo, exec_lo, s1
	s_and_saveexec_b32 s0, vcc_lo
	s_cbranch_execz .LBB68_7
; %bb.6:
	s_lshl_b64 s[0:1], s[2:3], 2
	v_lshlrev_b32_e32 v0, 2, v0
	s_add_u32 s0, s4, s0
	s_addc_u32 s1, s5, s1
	s_waitcnt vmcnt(0)
	global_store_b32 v0, v1, s[0:1]
.LBB68_7:
	s_nop 0
	s_sendmsg sendmsg(MSG_DEALLOC_VGPRS)
	s_endpgm
	.section	.rodata,"a",@progbits
	.p2align	6, 0x0
	.amdhsa_kernel _ZN7rocprim17ROCPRIM_400000_NS6detail17trampoline_kernelINS0_14default_configENS1_25transform_config_selectorIfLb0EEEZNS1_14transform_implILb0ES3_S5_NS0_18transform_iteratorINS0_17counting_iteratorImlEEZNS1_24adjacent_difference_implIS3_Lb1ELb0EPfSB_N6thrust23THRUST_200600_302600_NS5minusIfEEEE10hipError_tPvRmT2_T3_mT4_P12ihipStream_tbEUlmE_fEESB_NS0_8identityIvEEEESG_SJ_SK_mSL_SN_bEUlT_E_NS1_11comp_targetILNS1_3genE9ELNS1_11target_archE1100ELNS1_3gpuE3ELNS1_3repE0EEENS1_30default_config_static_selectorELNS0_4arch9wavefront6targetE0EEEvT1_
		.amdhsa_group_segment_fixed_size 0
		.amdhsa_private_segment_fixed_size 0
		.amdhsa_kernarg_size 312
		.amdhsa_user_sgpr_count 15
		.amdhsa_user_sgpr_dispatch_ptr 0
		.amdhsa_user_sgpr_queue_ptr 0
		.amdhsa_user_sgpr_kernarg_segment_ptr 1
		.amdhsa_user_sgpr_dispatch_id 0
		.amdhsa_user_sgpr_private_segment_size 0
		.amdhsa_wavefront_size32 1
		.amdhsa_uses_dynamic_stack 0
		.amdhsa_enable_private_segment 0
		.amdhsa_system_sgpr_workgroup_id_x 1
		.amdhsa_system_sgpr_workgroup_id_y 0
		.amdhsa_system_sgpr_workgroup_id_z 0
		.amdhsa_system_sgpr_workgroup_info 0
		.amdhsa_system_vgpr_workitem_id 0
		.amdhsa_next_free_vgpr 6
		.amdhsa_next_free_sgpr 16
		.amdhsa_reserve_vcc 1
		.amdhsa_float_round_mode_32 0
		.amdhsa_float_round_mode_16_64 0
		.amdhsa_float_denorm_mode_32 3
		.amdhsa_float_denorm_mode_16_64 3
		.amdhsa_dx10_clamp 1
		.amdhsa_ieee_mode 1
		.amdhsa_fp16_overflow 0
		.amdhsa_workgroup_processor_mode 1
		.amdhsa_memory_ordered 1
		.amdhsa_forward_progress 0
		.amdhsa_shared_vgpr_count 0
		.amdhsa_exception_fp_ieee_invalid_op 0
		.amdhsa_exception_fp_denorm_src 0
		.amdhsa_exception_fp_ieee_div_zero 0
		.amdhsa_exception_fp_ieee_overflow 0
		.amdhsa_exception_fp_ieee_underflow 0
		.amdhsa_exception_fp_ieee_inexact 0
		.amdhsa_exception_int_div_zero 0
	.end_amdhsa_kernel
	.section	.text._ZN7rocprim17ROCPRIM_400000_NS6detail17trampoline_kernelINS0_14default_configENS1_25transform_config_selectorIfLb0EEEZNS1_14transform_implILb0ES3_S5_NS0_18transform_iteratorINS0_17counting_iteratorImlEEZNS1_24adjacent_difference_implIS3_Lb1ELb0EPfSB_N6thrust23THRUST_200600_302600_NS5minusIfEEEE10hipError_tPvRmT2_T3_mT4_P12ihipStream_tbEUlmE_fEESB_NS0_8identityIvEEEESG_SJ_SK_mSL_SN_bEUlT_E_NS1_11comp_targetILNS1_3genE9ELNS1_11target_archE1100ELNS1_3gpuE3ELNS1_3repE0EEENS1_30default_config_static_selectorELNS0_4arch9wavefront6targetE0EEEvT1_,"axG",@progbits,_ZN7rocprim17ROCPRIM_400000_NS6detail17trampoline_kernelINS0_14default_configENS1_25transform_config_selectorIfLb0EEEZNS1_14transform_implILb0ES3_S5_NS0_18transform_iteratorINS0_17counting_iteratorImlEEZNS1_24adjacent_difference_implIS3_Lb1ELb0EPfSB_N6thrust23THRUST_200600_302600_NS5minusIfEEEE10hipError_tPvRmT2_T3_mT4_P12ihipStream_tbEUlmE_fEESB_NS0_8identityIvEEEESG_SJ_SK_mSL_SN_bEUlT_E_NS1_11comp_targetILNS1_3genE9ELNS1_11target_archE1100ELNS1_3gpuE3ELNS1_3repE0EEENS1_30default_config_static_selectorELNS0_4arch9wavefront6targetE0EEEvT1_,comdat
.Lfunc_end68:
	.size	_ZN7rocprim17ROCPRIM_400000_NS6detail17trampoline_kernelINS0_14default_configENS1_25transform_config_selectorIfLb0EEEZNS1_14transform_implILb0ES3_S5_NS0_18transform_iteratorINS0_17counting_iteratorImlEEZNS1_24adjacent_difference_implIS3_Lb1ELb0EPfSB_N6thrust23THRUST_200600_302600_NS5minusIfEEEE10hipError_tPvRmT2_T3_mT4_P12ihipStream_tbEUlmE_fEESB_NS0_8identityIvEEEESG_SJ_SK_mSL_SN_bEUlT_E_NS1_11comp_targetILNS1_3genE9ELNS1_11target_archE1100ELNS1_3gpuE3ELNS1_3repE0EEENS1_30default_config_static_selectorELNS0_4arch9wavefront6targetE0EEEvT1_, .Lfunc_end68-_ZN7rocprim17ROCPRIM_400000_NS6detail17trampoline_kernelINS0_14default_configENS1_25transform_config_selectorIfLb0EEEZNS1_14transform_implILb0ES3_S5_NS0_18transform_iteratorINS0_17counting_iteratorImlEEZNS1_24adjacent_difference_implIS3_Lb1ELb0EPfSB_N6thrust23THRUST_200600_302600_NS5minusIfEEEE10hipError_tPvRmT2_T3_mT4_P12ihipStream_tbEUlmE_fEESB_NS0_8identityIvEEEESG_SJ_SK_mSL_SN_bEUlT_E_NS1_11comp_targetILNS1_3genE9ELNS1_11target_archE1100ELNS1_3gpuE3ELNS1_3repE0EEENS1_30default_config_static_selectorELNS0_4arch9wavefront6targetE0EEEvT1_
                                        ; -- End function
	.section	.AMDGPU.csdata,"",@progbits
; Kernel info:
; codeLenInByte = 400
; NumSgprs: 18
; NumVgprs: 6
; ScratchSize: 0
; MemoryBound: 0
; FloatMode: 240
; IeeeMode: 1
; LDSByteSize: 0 bytes/workgroup (compile time only)
; SGPRBlocks: 2
; VGPRBlocks: 0
; NumSGPRsForWavesPerEU: 18
; NumVGPRsForWavesPerEU: 6
; Occupancy: 16
; WaveLimiterHint : 0
; COMPUTE_PGM_RSRC2:SCRATCH_EN: 0
; COMPUTE_PGM_RSRC2:USER_SGPR: 15
; COMPUTE_PGM_RSRC2:TRAP_HANDLER: 0
; COMPUTE_PGM_RSRC2:TGID_X_EN: 1
; COMPUTE_PGM_RSRC2:TGID_Y_EN: 0
; COMPUTE_PGM_RSRC2:TGID_Z_EN: 0
; COMPUTE_PGM_RSRC2:TIDIG_COMP_CNT: 0
	.section	.text._ZN7rocprim17ROCPRIM_400000_NS6detail17trampoline_kernelINS0_14default_configENS1_25transform_config_selectorIfLb0EEEZNS1_14transform_implILb0ES3_S5_NS0_18transform_iteratorINS0_17counting_iteratorImlEEZNS1_24adjacent_difference_implIS3_Lb1ELb0EPfSB_N6thrust23THRUST_200600_302600_NS5minusIfEEEE10hipError_tPvRmT2_T3_mT4_P12ihipStream_tbEUlmE_fEESB_NS0_8identityIvEEEESG_SJ_SK_mSL_SN_bEUlT_E_NS1_11comp_targetILNS1_3genE8ELNS1_11target_archE1030ELNS1_3gpuE2ELNS1_3repE0EEENS1_30default_config_static_selectorELNS0_4arch9wavefront6targetE0EEEvT1_,"axG",@progbits,_ZN7rocprim17ROCPRIM_400000_NS6detail17trampoline_kernelINS0_14default_configENS1_25transform_config_selectorIfLb0EEEZNS1_14transform_implILb0ES3_S5_NS0_18transform_iteratorINS0_17counting_iteratorImlEEZNS1_24adjacent_difference_implIS3_Lb1ELb0EPfSB_N6thrust23THRUST_200600_302600_NS5minusIfEEEE10hipError_tPvRmT2_T3_mT4_P12ihipStream_tbEUlmE_fEESB_NS0_8identityIvEEEESG_SJ_SK_mSL_SN_bEUlT_E_NS1_11comp_targetILNS1_3genE8ELNS1_11target_archE1030ELNS1_3gpuE2ELNS1_3repE0EEENS1_30default_config_static_selectorELNS0_4arch9wavefront6targetE0EEEvT1_,comdat
	.protected	_ZN7rocprim17ROCPRIM_400000_NS6detail17trampoline_kernelINS0_14default_configENS1_25transform_config_selectorIfLb0EEEZNS1_14transform_implILb0ES3_S5_NS0_18transform_iteratorINS0_17counting_iteratorImlEEZNS1_24adjacent_difference_implIS3_Lb1ELb0EPfSB_N6thrust23THRUST_200600_302600_NS5minusIfEEEE10hipError_tPvRmT2_T3_mT4_P12ihipStream_tbEUlmE_fEESB_NS0_8identityIvEEEESG_SJ_SK_mSL_SN_bEUlT_E_NS1_11comp_targetILNS1_3genE8ELNS1_11target_archE1030ELNS1_3gpuE2ELNS1_3repE0EEENS1_30default_config_static_selectorELNS0_4arch9wavefront6targetE0EEEvT1_ ; -- Begin function _ZN7rocprim17ROCPRIM_400000_NS6detail17trampoline_kernelINS0_14default_configENS1_25transform_config_selectorIfLb0EEEZNS1_14transform_implILb0ES3_S5_NS0_18transform_iteratorINS0_17counting_iteratorImlEEZNS1_24adjacent_difference_implIS3_Lb1ELb0EPfSB_N6thrust23THRUST_200600_302600_NS5minusIfEEEE10hipError_tPvRmT2_T3_mT4_P12ihipStream_tbEUlmE_fEESB_NS0_8identityIvEEEESG_SJ_SK_mSL_SN_bEUlT_E_NS1_11comp_targetILNS1_3genE8ELNS1_11target_archE1030ELNS1_3gpuE2ELNS1_3repE0EEENS1_30default_config_static_selectorELNS0_4arch9wavefront6targetE0EEEvT1_
	.globl	_ZN7rocprim17ROCPRIM_400000_NS6detail17trampoline_kernelINS0_14default_configENS1_25transform_config_selectorIfLb0EEEZNS1_14transform_implILb0ES3_S5_NS0_18transform_iteratorINS0_17counting_iteratorImlEEZNS1_24adjacent_difference_implIS3_Lb1ELb0EPfSB_N6thrust23THRUST_200600_302600_NS5minusIfEEEE10hipError_tPvRmT2_T3_mT4_P12ihipStream_tbEUlmE_fEESB_NS0_8identityIvEEEESG_SJ_SK_mSL_SN_bEUlT_E_NS1_11comp_targetILNS1_3genE8ELNS1_11target_archE1030ELNS1_3gpuE2ELNS1_3repE0EEENS1_30default_config_static_selectorELNS0_4arch9wavefront6targetE0EEEvT1_
	.p2align	8
	.type	_ZN7rocprim17ROCPRIM_400000_NS6detail17trampoline_kernelINS0_14default_configENS1_25transform_config_selectorIfLb0EEEZNS1_14transform_implILb0ES3_S5_NS0_18transform_iteratorINS0_17counting_iteratorImlEEZNS1_24adjacent_difference_implIS3_Lb1ELb0EPfSB_N6thrust23THRUST_200600_302600_NS5minusIfEEEE10hipError_tPvRmT2_T3_mT4_P12ihipStream_tbEUlmE_fEESB_NS0_8identityIvEEEESG_SJ_SK_mSL_SN_bEUlT_E_NS1_11comp_targetILNS1_3genE8ELNS1_11target_archE1030ELNS1_3gpuE2ELNS1_3repE0EEENS1_30default_config_static_selectorELNS0_4arch9wavefront6targetE0EEEvT1_,@function
_ZN7rocprim17ROCPRIM_400000_NS6detail17trampoline_kernelINS0_14default_configENS1_25transform_config_selectorIfLb0EEEZNS1_14transform_implILb0ES3_S5_NS0_18transform_iteratorINS0_17counting_iteratorImlEEZNS1_24adjacent_difference_implIS3_Lb1ELb0EPfSB_N6thrust23THRUST_200600_302600_NS5minusIfEEEE10hipError_tPvRmT2_T3_mT4_P12ihipStream_tbEUlmE_fEESB_NS0_8identityIvEEEESG_SJ_SK_mSL_SN_bEUlT_E_NS1_11comp_targetILNS1_3genE8ELNS1_11target_archE1030ELNS1_3gpuE2ELNS1_3repE0EEENS1_30default_config_static_selectorELNS0_4arch9wavefront6targetE0EEEvT1_: ; @_ZN7rocprim17ROCPRIM_400000_NS6detail17trampoline_kernelINS0_14default_configENS1_25transform_config_selectorIfLb0EEEZNS1_14transform_implILb0ES3_S5_NS0_18transform_iteratorINS0_17counting_iteratorImlEEZNS1_24adjacent_difference_implIS3_Lb1ELb0EPfSB_N6thrust23THRUST_200600_302600_NS5minusIfEEEE10hipError_tPvRmT2_T3_mT4_P12ihipStream_tbEUlmE_fEESB_NS0_8identityIvEEEESG_SJ_SK_mSL_SN_bEUlT_E_NS1_11comp_targetILNS1_3genE8ELNS1_11target_archE1030ELNS1_3gpuE2ELNS1_3repE0EEENS1_30default_config_static_selectorELNS0_4arch9wavefront6targetE0EEEvT1_
; %bb.0:
	.section	.rodata,"a",@progbits
	.p2align	6, 0x0
	.amdhsa_kernel _ZN7rocprim17ROCPRIM_400000_NS6detail17trampoline_kernelINS0_14default_configENS1_25transform_config_selectorIfLb0EEEZNS1_14transform_implILb0ES3_S5_NS0_18transform_iteratorINS0_17counting_iteratorImlEEZNS1_24adjacent_difference_implIS3_Lb1ELb0EPfSB_N6thrust23THRUST_200600_302600_NS5minusIfEEEE10hipError_tPvRmT2_T3_mT4_P12ihipStream_tbEUlmE_fEESB_NS0_8identityIvEEEESG_SJ_SK_mSL_SN_bEUlT_E_NS1_11comp_targetILNS1_3genE8ELNS1_11target_archE1030ELNS1_3gpuE2ELNS1_3repE0EEENS1_30default_config_static_selectorELNS0_4arch9wavefront6targetE0EEEvT1_
		.amdhsa_group_segment_fixed_size 0
		.amdhsa_private_segment_fixed_size 0
		.amdhsa_kernarg_size 56
		.amdhsa_user_sgpr_count 15
		.amdhsa_user_sgpr_dispatch_ptr 0
		.amdhsa_user_sgpr_queue_ptr 0
		.amdhsa_user_sgpr_kernarg_segment_ptr 1
		.amdhsa_user_sgpr_dispatch_id 0
		.amdhsa_user_sgpr_private_segment_size 0
		.amdhsa_wavefront_size32 1
		.amdhsa_uses_dynamic_stack 0
		.amdhsa_enable_private_segment 0
		.amdhsa_system_sgpr_workgroup_id_x 1
		.amdhsa_system_sgpr_workgroup_id_y 0
		.amdhsa_system_sgpr_workgroup_id_z 0
		.amdhsa_system_sgpr_workgroup_info 0
		.amdhsa_system_vgpr_workitem_id 0
		.amdhsa_next_free_vgpr 1
		.amdhsa_next_free_sgpr 1
		.amdhsa_reserve_vcc 0
		.amdhsa_float_round_mode_32 0
		.amdhsa_float_round_mode_16_64 0
		.amdhsa_float_denorm_mode_32 3
		.amdhsa_float_denorm_mode_16_64 3
		.amdhsa_dx10_clamp 1
		.amdhsa_ieee_mode 1
		.amdhsa_fp16_overflow 0
		.amdhsa_workgroup_processor_mode 1
		.amdhsa_memory_ordered 1
		.amdhsa_forward_progress 0
		.amdhsa_shared_vgpr_count 0
		.amdhsa_exception_fp_ieee_invalid_op 0
		.amdhsa_exception_fp_denorm_src 0
		.amdhsa_exception_fp_ieee_div_zero 0
		.amdhsa_exception_fp_ieee_overflow 0
		.amdhsa_exception_fp_ieee_underflow 0
		.amdhsa_exception_fp_ieee_inexact 0
		.amdhsa_exception_int_div_zero 0
	.end_amdhsa_kernel
	.section	.text._ZN7rocprim17ROCPRIM_400000_NS6detail17trampoline_kernelINS0_14default_configENS1_25transform_config_selectorIfLb0EEEZNS1_14transform_implILb0ES3_S5_NS0_18transform_iteratorINS0_17counting_iteratorImlEEZNS1_24adjacent_difference_implIS3_Lb1ELb0EPfSB_N6thrust23THRUST_200600_302600_NS5minusIfEEEE10hipError_tPvRmT2_T3_mT4_P12ihipStream_tbEUlmE_fEESB_NS0_8identityIvEEEESG_SJ_SK_mSL_SN_bEUlT_E_NS1_11comp_targetILNS1_3genE8ELNS1_11target_archE1030ELNS1_3gpuE2ELNS1_3repE0EEENS1_30default_config_static_selectorELNS0_4arch9wavefront6targetE0EEEvT1_,"axG",@progbits,_ZN7rocprim17ROCPRIM_400000_NS6detail17trampoline_kernelINS0_14default_configENS1_25transform_config_selectorIfLb0EEEZNS1_14transform_implILb0ES3_S5_NS0_18transform_iteratorINS0_17counting_iteratorImlEEZNS1_24adjacent_difference_implIS3_Lb1ELb0EPfSB_N6thrust23THRUST_200600_302600_NS5minusIfEEEE10hipError_tPvRmT2_T3_mT4_P12ihipStream_tbEUlmE_fEESB_NS0_8identityIvEEEESG_SJ_SK_mSL_SN_bEUlT_E_NS1_11comp_targetILNS1_3genE8ELNS1_11target_archE1030ELNS1_3gpuE2ELNS1_3repE0EEENS1_30default_config_static_selectorELNS0_4arch9wavefront6targetE0EEEvT1_,comdat
.Lfunc_end69:
	.size	_ZN7rocprim17ROCPRIM_400000_NS6detail17trampoline_kernelINS0_14default_configENS1_25transform_config_selectorIfLb0EEEZNS1_14transform_implILb0ES3_S5_NS0_18transform_iteratorINS0_17counting_iteratorImlEEZNS1_24adjacent_difference_implIS3_Lb1ELb0EPfSB_N6thrust23THRUST_200600_302600_NS5minusIfEEEE10hipError_tPvRmT2_T3_mT4_P12ihipStream_tbEUlmE_fEESB_NS0_8identityIvEEEESG_SJ_SK_mSL_SN_bEUlT_E_NS1_11comp_targetILNS1_3genE8ELNS1_11target_archE1030ELNS1_3gpuE2ELNS1_3repE0EEENS1_30default_config_static_selectorELNS0_4arch9wavefront6targetE0EEEvT1_, .Lfunc_end69-_ZN7rocprim17ROCPRIM_400000_NS6detail17trampoline_kernelINS0_14default_configENS1_25transform_config_selectorIfLb0EEEZNS1_14transform_implILb0ES3_S5_NS0_18transform_iteratorINS0_17counting_iteratorImlEEZNS1_24adjacent_difference_implIS3_Lb1ELb0EPfSB_N6thrust23THRUST_200600_302600_NS5minusIfEEEE10hipError_tPvRmT2_T3_mT4_P12ihipStream_tbEUlmE_fEESB_NS0_8identityIvEEEESG_SJ_SK_mSL_SN_bEUlT_E_NS1_11comp_targetILNS1_3genE8ELNS1_11target_archE1030ELNS1_3gpuE2ELNS1_3repE0EEENS1_30default_config_static_selectorELNS0_4arch9wavefront6targetE0EEEvT1_
                                        ; -- End function
	.section	.AMDGPU.csdata,"",@progbits
; Kernel info:
; codeLenInByte = 0
; NumSgprs: 0
; NumVgprs: 0
; ScratchSize: 0
; MemoryBound: 0
; FloatMode: 240
; IeeeMode: 1
; LDSByteSize: 0 bytes/workgroup (compile time only)
; SGPRBlocks: 0
; VGPRBlocks: 0
; NumSGPRsForWavesPerEU: 1
; NumVGPRsForWavesPerEU: 1
; Occupancy: 16
; WaveLimiterHint : 0
; COMPUTE_PGM_RSRC2:SCRATCH_EN: 0
; COMPUTE_PGM_RSRC2:USER_SGPR: 15
; COMPUTE_PGM_RSRC2:TRAP_HANDLER: 0
; COMPUTE_PGM_RSRC2:TGID_X_EN: 1
; COMPUTE_PGM_RSRC2:TGID_Y_EN: 0
; COMPUTE_PGM_RSRC2:TGID_Z_EN: 0
; COMPUTE_PGM_RSRC2:TIDIG_COMP_CNT: 0
	.section	.text._ZN7rocprim17ROCPRIM_400000_NS6detail17trampoline_kernelINS0_14default_configENS1_35adjacent_difference_config_selectorILb1EfEEZNS1_24adjacent_difference_implIS3_Lb1ELb0EPfS7_N6thrust23THRUST_200600_302600_NS5minusIfEEEE10hipError_tPvRmT2_T3_mT4_P12ihipStream_tbEUlT_E_NS1_11comp_targetILNS1_3genE0ELNS1_11target_archE4294967295ELNS1_3gpuE0ELNS1_3repE0EEENS1_30default_config_static_selectorELNS0_4arch9wavefront6targetE0EEEvT1_,"axG",@progbits,_ZN7rocprim17ROCPRIM_400000_NS6detail17trampoline_kernelINS0_14default_configENS1_35adjacent_difference_config_selectorILb1EfEEZNS1_24adjacent_difference_implIS3_Lb1ELb0EPfS7_N6thrust23THRUST_200600_302600_NS5minusIfEEEE10hipError_tPvRmT2_T3_mT4_P12ihipStream_tbEUlT_E_NS1_11comp_targetILNS1_3genE0ELNS1_11target_archE4294967295ELNS1_3gpuE0ELNS1_3repE0EEENS1_30default_config_static_selectorELNS0_4arch9wavefront6targetE0EEEvT1_,comdat
	.protected	_ZN7rocprim17ROCPRIM_400000_NS6detail17trampoline_kernelINS0_14default_configENS1_35adjacent_difference_config_selectorILb1EfEEZNS1_24adjacent_difference_implIS3_Lb1ELb0EPfS7_N6thrust23THRUST_200600_302600_NS5minusIfEEEE10hipError_tPvRmT2_T3_mT4_P12ihipStream_tbEUlT_E_NS1_11comp_targetILNS1_3genE0ELNS1_11target_archE4294967295ELNS1_3gpuE0ELNS1_3repE0EEENS1_30default_config_static_selectorELNS0_4arch9wavefront6targetE0EEEvT1_ ; -- Begin function _ZN7rocprim17ROCPRIM_400000_NS6detail17trampoline_kernelINS0_14default_configENS1_35adjacent_difference_config_selectorILb1EfEEZNS1_24adjacent_difference_implIS3_Lb1ELb0EPfS7_N6thrust23THRUST_200600_302600_NS5minusIfEEEE10hipError_tPvRmT2_T3_mT4_P12ihipStream_tbEUlT_E_NS1_11comp_targetILNS1_3genE0ELNS1_11target_archE4294967295ELNS1_3gpuE0ELNS1_3repE0EEENS1_30default_config_static_selectorELNS0_4arch9wavefront6targetE0EEEvT1_
	.globl	_ZN7rocprim17ROCPRIM_400000_NS6detail17trampoline_kernelINS0_14default_configENS1_35adjacent_difference_config_selectorILb1EfEEZNS1_24adjacent_difference_implIS3_Lb1ELb0EPfS7_N6thrust23THRUST_200600_302600_NS5minusIfEEEE10hipError_tPvRmT2_T3_mT4_P12ihipStream_tbEUlT_E_NS1_11comp_targetILNS1_3genE0ELNS1_11target_archE4294967295ELNS1_3gpuE0ELNS1_3repE0EEENS1_30default_config_static_selectorELNS0_4arch9wavefront6targetE0EEEvT1_
	.p2align	8
	.type	_ZN7rocprim17ROCPRIM_400000_NS6detail17trampoline_kernelINS0_14default_configENS1_35adjacent_difference_config_selectorILb1EfEEZNS1_24adjacent_difference_implIS3_Lb1ELb0EPfS7_N6thrust23THRUST_200600_302600_NS5minusIfEEEE10hipError_tPvRmT2_T3_mT4_P12ihipStream_tbEUlT_E_NS1_11comp_targetILNS1_3genE0ELNS1_11target_archE4294967295ELNS1_3gpuE0ELNS1_3repE0EEENS1_30default_config_static_selectorELNS0_4arch9wavefront6targetE0EEEvT1_,@function
_ZN7rocprim17ROCPRIM_400000_NS6detail17trampoline_kernelINS0_14default_configENS1_35adjacent_difference_config_selectorILb1EfEEZNS1_24adjacent_difference_implIS3_Lb1ELb0EPfS7_N6thrust23THRUST_200600_302600_NS5minusIfEEEE10hipError_tPvRmT2_T3_mT4_P12ihipStream_tbEUlT_E_NS1_11comp_targetILNS1_3genE0ELNS1_11target_archE4294967295ELNS1_3gpuE0ELNS1_3repE0EEENS1_30default_config_static_selectorELNS0_4arch9wavefront6targetE0EEEvT1_: ; @_ZN7rocprim17ROCPRIM_400000_NS6detail17trampoline_kernelINS0_14default_configENS1_35adjacent_difference_config_selectorILb1EfEEZNS1_24adjacent_difference_implIS3_Lb1ELb0EPfS7_N6thrust23THRUST_200600_302600_NS5minusIfEEEE10hipError_tPvRmT2_T3_mT4_P12ihipStream_tbEUlT_E_NS1_11comp_targetILNS1_3genE0ELNS1_11target_archE4294967295ELNS1_3gpuE0ELNS1_3repE0EEENS1_30default_config_static_selectorELNS0_4arch9wavefront6targetE0EEEvT1_
; %bb.0:
	.section	.rodata,"a",@progbits
	.p2align	6, 0x0
	.amdhsa_kernel _ZN7rocprim17ROCPRIM_400000_NS6detail17trampoline_kernelINS0_14default_configENS1_35adjacent_difference_config_selectorILb1EfEEZNS1_24adjacent_difference_implIS3_Lb1ELb0EPfS7_N6thrust23THRUST_200600_302600_NS5minusIfEEEE10hipError_tPvRmT2_T3_mT4_P12ihipStream_tbEUlT_E_NS1_11comp_targetILNS1_3genE0ELNS1_11target_archE4294967295ELNS1_3gpuE0ELNS1_3repE0EEENS1_30default_config_static_selectorELNS0_4arch9wavefront6targetE0EEEvT1_
		.amdhsa_group_segment_fixed_size 0
		.amdhsa_private_segment_fixed_size 0
		.amdhsa_kernarg_size 56
		.amdhsa_user_sgpr_count 15
		.amdhsa_user_sgpr_dispatch_ptr 0
		.amdhsa_user_sgpr_queue_ptr 0
		.amdhsa_user_sgpr_kernarg_segment_ptr 1
		.amdhsa_user_sgpr_dispatch_id 0
		.amdhsa_user_sgpr_private_segment_size 0
		.amdhsa_wavefront_size32 1
		.amdhsa_uses_dynamic_stack 0
		.amdhsa_enable_private_segment 0
		.amdhsa_system_sgpr_workgroup_id_x 1
		.amdhsa_system_sgpr_workgroup_id_y 0
		.amdhsa_system_sgpr_workgroup_id_z 0
		.amdhsa_system_sgpr_workgroup_info 0
		.amdhsa_system_vgpr_workitem_id 0
		.amdhsa_next_free_vgpr 1
		.amdhsa_next_free_sgpr 1
		.amdhsa_reserve_vcc 0
		.amdhsa_float_round_mode_32 0
		.amdhsa_float_round_mode_16_64 0
		.amdhsa_float_denorm_mode_32 3
		.amdhsa_float_denorm_mode_16_64 3
		.amdhsa_dx10_clamp 1
		.amdhsa_ieee_mode 1
		.amdhsa_fp16_overflow 0
		.amdhsa_workgroup_processor_mode 1
		.amdhsa_memory_ordered 1
		.amdhsa_forward_progress 0
		.amdhsa_shared_vgpr_count 0
		.amdhsa_exception_fp_ieee_invalid_op 0
		.amdhsa_exception_fp_denorm_src 0
		.amdhsa_exception_fp_ieee_div_zero 0
		.amdhsa_exception_fp_ieee_overflow 0
		.amdhsa_exception_fp_ieee_underflow 0
		.amdhsa_exception_fp_ieee_inexact 0
		.amdhsa_exception_int_div_zero 0
	.end_amdhsa_kernel
	.section	.text._ZN7rocprim17ROCPRIM_400000_NS6detail17trampoline_kernelINS0_14default_configENS1_35adjacent_difference_config_selectorILb1EfEEZNS1_24adjacent_difference_implIS3_Lb1ELb0EPfS7_N6thrust23THRUST_200600_302600_NS5minusIfEEEE10hipError_tPvRmT2_T3_mT4_P12ihipStream_tbEUlT_E_NS1_11comp_targetILNS1_3genE0ELNS1_11target_archE4294967295ELNS1_3gpuE0ELNS1_3repE0EEENS1_30default_config_static_selectorELNS0_4arch9wavefront6targetE0EEEvT1_,"axG",@progbits,_ZN7rocprim17ROCPRIM_400000_NS6detail17trampoline_kernelINS0_14default_configENS1_35adjacent_difference_config_selectorILb1EfEEZNS1_24adjacent_difference_implIS3_Lb1ELb0EPfS7_N6thrust23THRUST_200600_302600_NS5minusIfEEEE10hipError_tPvRmT2_T3_mT4_P12ihipStream_tbEUlT_E_NS1_11comp_targetILNS1_3genE0ELNS1_11target_archE4294967295ELNS1_3gpuE0ELNS1_3repE0EEENS1_30default_config_static_selectorELNS0_4arch9wavefront6targetE0EEEvT1_,comdat
.Lfunc_end70:
	.size	_ZN7rocprim17ROCPRIM_400000_NS6detail17trampoline_kernelINS0_14default_configENS1_35adjacent_difference_config_selectorILb1EfEEZNS1_24adjacent_difference_implIS3_Lb1ELb0EPfS7_N6thrust23THRUST_200600_302600_NS5minusIfEEEE10hipError_tPvRmT2_T3_mT4_P12ihipStream_tbEUlT_E_NS1_11comp_targetILNS1_3genE0ELNS1_11target_archE4294967295ELNS1_3gpuE0ELNS1_3repE0EEENS1_30default_config_static_selectorELNS0_4arch9wavefront6targetE0EEEvT1_, .Lfunc_end70-_ZN7rocprim17ROCPRIM_400000_NS6detail17trampoline_kernelINS0_14default_configENS1_35adjacent_difference_config_selectorILb1EfEEZNS1_24adjacent_difference_implIS3_Lb1ELb0EPfS7_N6thrust23THRUST_200600_302600_NS5minusIfEEEE10hipError_tPvRmT2_T3_mT4_P12ihipStream_tbEUlT_E_NS1_11comp_targetILNS1_3genE0ELNS1_11target_archE4294967295ELNS1_3gpuE0ELNS1_3repE0EEENS1_30default_config_static_selectorELNS0_4arch9wavefront6targetE0EEEvT1_
                                        ; -- End function
	.section	.AMDGPU.csdata,"",@progbits
; Kernel info:
; codeLenInByte = 0
; NumSgprs: 0
; NumVgprs: 0
; ScratchSize: 0
; MemoryBound: 0
; FloatMode: 240
; IeeeMode: 1
; LDSByteSize: 0 bytes/workgroup (compile time only)
; SGPRBlocks: 0
; VGPRBlocks: 0
; NumSGPRsForWavesPerEU: 1
; NumVGPRsForWavesPerEU: 1
; Occupancy: 16
; WaveLimiterHint : 0
; COMPUTE_PGM_RSRC2:SCRATCH_EN: 0
; COMPUTE_PGM_RSRC2:USER_SGPR: 15
; COMPUTE_PGM_RSRC2:TRAP_HANDLER: 0
; COMPUTE_PGM_RSRC2:TGID_X_EN: 1
; COMPUTE_PGM_RSRC2:TGID_Y_EN: 0
; COMPUTE_PGM_RSRC2:TGID_Z_EN: 0
; COMPUTE_PGM_RSRC2:TIDIG_COMP_CNT: 0
	.section	.text._ZN7rocprim17ROCPRIM_400000_NS6detail17trampoline_kernelINS0_14default_configENS1_35adjacent_difference_config_selectorILb1EfEEZNS1_24adjacent_difference_implIS3_Lb1ELb0EPfS7_N6thrust23THRUST_200600_302600_NS5minusIfEEEE10hipError_tPvRmT2_T3_mT4_P12ihipStream_tbEUlT_E_NS1_11comp_targetILNS1_3genE10ELNS1_11target_archE1201ELNS1_3gpuE5ELNS1_3repE0EEENS1_30default_config_static_selectorELNS0_4arch9wavefront6targetE0EEEvT1_,"axG",@progbits,_ZN7rocprim17ROCPRIM_400000_NS6detail17trampoline_kernelINS0_14default_configENS1_35adjacent_difference_config_selectorILb1EfEEZNS1_24adjacent_difference_implIS3_Lb1ELb0EPfS7_N6thrust23THRUST_200600_302600_NS5minusIfEEEE10hipError_tPvRmT2_T3_mT4_P12ihipStream_tbEUlT_E_NS1_11comp_targetILNS1_3genE10ELNS1_11target_archE1201ELNS1_3gpuE5ELNS1_3repE0EEENS1_30default_config_static_selectorELNS0_4arch9wavefront6targetE0EEEvT1_,comdat
	.protected	_ZN7rocprim17ROCPRIM_400000_NS6detail17trampoline_kernelINS0_14default_configENS1_35adjacent_difference_config_selectorILb1EfEEZNS1_24adjacent_difference_implIS3_Lb1ELb0EPfS7_N6thrust23THRUST_200600_302600_NS5minusIfEEEE10hipError_tPvRmT2_T3_mT4_P12ihipStream_tbEUlT_E_NS1_11comp_targetILNS1_3genE10ELNS1_11target_archE1201ELNS1_3gpuE5ELNS1_3repE0EEENS1_30default_config_static_selectorELNS0_4arch9wavefront6targetE0EEEvT1_ ; -- Begin function _ZN7rocprim17ROCPRIM_400000_NS6detail17trampoline_kernelINS0_14default_configENS1_35adjacent_difference_config_selectorILb1EfEEZNS1_24adjacent_difference_implIS3_Lb1ELb0EPfS7_N6thrust23THRUST_200600_302600_NS5minusIfEEEE10hipError_tPvRmT2_T3_mT4_P12ihipStream_tbEUlT_E_NS1_11comp_targetILNS1_3genE10ELNS1_11target_archE1201ELNS1_3gpuE5ELNS1_3repE0EEENS1_30default_config_static_selectorELNS0_4arch9wavefront6targetE0EEEvT1_
	.globl	_ZN7rocprim17ROCPRIM_400000_NS6detail17trampoline_kernelINS0_14default_configENS1_35adjacent_difference_config_selectorILb1EfEEZNS1_24adjacent_difference_implIS3_Lb1ELb0EPfS7_N6thrust23THRUST_200600_302600_NS5minusIfEEEE10hipError_tPvRmT2_T3_mT4_P12ihipStream_tbEUlT_E_NS1_11comp_targetILNS1_3genE10ELNS1_11target_archE1201ELNS1_3gpuE5ELNS1_3repE0EEENS1_30default_config_static_selectorELNS0_4arch9wavefront6targetE0EEEvT1_
	.p2align	8
	.type	_ZN7rocprim17ROCPRIM_400000_NS6detail17trampoline_kernelINS0_14default_configENS1_35adjacent_difference_config_selectorILb1EfEEZNS1_24adjacent_difference_implIS3_Lb1ELb0EPfS7_N6thrust23THRUST_200600_302600_NS5minusIfEEEE10hipError_tPvRmT2_T3_mT4_P12ihipStream_tbEUlT_E_NS1_11comp_targetILNS1_3genE10ELNS1_11target_archE1201ELNS1_3gpuE5ELNS1_3repE0EEENS1_30default_config_static_selectorELNS0_4arch9wavefront6targetE0EEEvT1_,@function
_ZN7rocprim17ROCPRIM_400000_NS6detail17trampoline_kernelINS0_14default_configENS1_35adjacent_difference_config_selectorILb1EfEEZNS1_24adjacent_difference_implIS3_Lb1ELb0EPfS7_N6thrust23THRUST_200600_302600_NS5minusIfEEEE10hipError_tPvRmT2_T3_mT4_P12ihipStream_tbEUlT_E_NS1_11comp_targetILNS1_3genE10ELNS1_11target_archE1201ELNS1_3gpuE5ELNS1_3repE0EEENS1_30default_config_static_selectorELNS0_4arch9wavefront6targetE0EEEvT1_: ; @_ZN7rocprim17ROCPRIM_400000_NS6detail17trampoline_kernelINS0_14default_configENS1_35adjacent_difference_config_selectorILb1EfEEZNS1_24adjacent_difference_implIS3_Lb1ELb0EPfS7_N6thrust23THRUST_200600_302600_NS5minusIfEEEE10hipError_tPvRmT2_T3_mT4_P12ihipStream_tbEUlT_E_NS1_11comp_targetILNS1_3genE10ELNS1_11target_archE1201ELNS1_3gpuE5ELNS1_3repE0EEENS1_30default_config_static_selectorELNS0_4arch9wavefront6targetE0EEEvT1_
; %bb.0:
	.section	.rodata,"a",@progbits
	.p2align	6, 0x0
	.amdhsa_kernel _ZN7rocprim17ROCPRIM_400000_NS6detail17trampoline_kernelINS0_14default_configENS1_35adjacent_difference_config_selectorILb1EfEEZNS1_24adjacent_difference_implIS3_Lb1ELb0EPfS7_N6thrust23THRUST_200600_302600_NS5minusIfEEEE10hipError_tPvRmT2_T3_mT4_P12ihipStream_tbEUlT_E_NS1_11comp_targetILNS1_3genE10ELNS1_11target_archE1201ELNS1_3gpuE5ELNS1_3repE0EEENS1_30default_config_static_selectorELNS0_4arch9wavefront6targetE0EEEvT1_
		.amdhsa_group_segment_fixed_size 0
		.amdhsa_private_segment_fixed_size 0
		.amdhsa_kernarg_size 56
		.amdhsa_user_sgpr_count 15
		.amdhsa_user_sgpr_dispatch_ptr 0
		.amdhsa_user_sgpr_queue_ptr 0
		.amdhsa_user_sgpr_kernarg_segment_ptr 1
		.amdhsa_user_sgpr_dispatch_id 0
		.amdhsa_user_sgpr_private_segment_size 0
		.amdhsa_wavefront_size32 1
		.amdhsa_uses_dynamic_stack 0
		.amdhsa_enable_private_segment 0
		.amdhsa_system_sgpr_workgroup_id_x 1
		.amdhsa_system_sgpr_workgroup_id_y 0
		.amdhsa_system_sgpr_workgroup_id_z 0
		.amdhsa_system_sgpr_workgroup_info 0
		.amdhsa_system_vgpr_workitem_id 0
		.amdhsa_next_free_vgpr 1
		.amdhsa_next_free_sgpr 1
		.amdhsa_reserve_vcc 0
		.amdhsa_float_round_mode_32 0
		.amdhsa_float_round_mode_16_64 0
		.amdhsa_float_denorm_mode_32 3
		.amdhsa_float_denorm_mode_16_64 3
		.amdhsa_dx10_clamp 1
		.amdhsa_ieee_mode 1
		.amdhsa_fp16_overflow 0
		.amdhsa_workgroup_processor_mode 1
		.amdhsa_memory_ordered 1
		.amdhsa_forward_progress 0
		.amdhsa_shared_vgpr_count 0
		.amdhsa_exception_fp_ieee_invalid_op 0
		.amdhsa_exception_fp_denorm_src 0
		.amdhsa_exception_fp_ieee_div_zero 0
		.amdhsa_exception_fp_ieee_overflow 0
		.amdhsa_exception_fp_ieee_underflow 0
		.amdhsa_exception_fp_ieee_inexact 0
		.amdhsa_exception_int_div_zero 0
	.end_amdhsa_kernel
	.section	.text._ZN7rocprim17ROCPRIM_400000_NS6detail17trampoline_kernelINS0_14default_configENS1_35adjacent_difference_config_selectorILb1EfEEZNS1_24adjacent_difference_implIS3_Lb1ELb0EPfS7_N6thrust23THRUST_200600_302600_NS5minusIfEEEE10hipError_tPvRmT2_T3_mT4_P12ihipStream_tbEUlT_E_NS1_11comp_targetILNS1_3genE10ELNS1_11target_archE1201ELNS1_3gpuE5ELNS1_3repE0EEENS1_30default_config_static_selectorELNS0_4arch9wavefront6targetE0EEEvT1_,"axG",@progbits,_ZN7rocprim17ROCPRIM_400000_NS6detail17trampoline_kernelINS0_14default_configENS1_35adjacent_difference_config_selectorILb1EfEEZNS1_24adjacent_difference_implIS3_Lb1ELb0EPfS7_N6thrust23THRUST_200600_302600_NS5minusIfEEEE10hipError_tPvRmT2_T3_mT4_P12ihipStream_tbEUlT_E_NS1_11comp_targetILNS1_3genE10ELNS1_11target_archE1201ELNS1_3gpuE5ELNS1_3repE0EEENS1_30default_config_static_selectorELNS0_4arch9wavefront6targetE0EEEvT1_,comdat
.Lfunc_end71:
	.size	_ZN7rocprim17ROCPRIM_400000_NS6detail17trampoline_kernelINS0_14default_configENS1_35adjacent_difference_config_selectorILb1EfEEZNS1_24adjacent_difference_implIS3_Lb1ELb0EPfS7_N6thrust23THRUST_200600_302600_NS5minusIfEEEE10hipError_tPvRmT2_T3_mT4_P12ihipStream_tbEUlT_E_NS1_11comp_targetILNS1_3genE10ELNS1_11target_archE1201ELNS1_3gpuE5ELNS1_3repE0EEENS1_30default_config_static_selectorELNS0_4arch9wavefront6targetE0EEEvT1_, .Lfunc_end71-_ZN7rocprim17ROCPRIM_400000_NS6detail17trampoline_kernelINS0_14default_configENS1_35adjacent_difference_config_selectorILb1EfEEZNS1_24adjacent_difference_implIS3_Lb1ELb0EPfS7_N6thrust23THRUST_200600_302600_NS5minusIfEEEE10hipError_tPvRmT2_T3_mT4_P12ihipStream_tbEUlT_E_NS1_11comp_targetILNS1_3genE10ELNS1_11target_archE1201ELNS1_3gpuE5ELNS1_3repE0EEENS1_30default_config_static_selectorELNS0_4arch9wavefront6targetE0EEEvT1_
                                        ; -- End function
	.section	.AMDGPU.csdata,"",@progbits
; Kernel info:
; codeLenInByte = 0
; NumSgprs: 0
; NumVgprs: 0
; ScratchSize: 0
; MemoryBound: 0
; FloatMode: 240
; IeeeMode: 1
; LDSByteSize: 0 bytes/workgroup (compile time only)
; SGPRBlocks: 0
; VGPRBlocks: 0
; NumSGPRsForWavesPerEU: 1
; NumVGPRsForWavesPerEU: 1
; Occupancy: 16
; WaveLimiterHint : 0
; COMPUTE_PGM_RSRC2:SCRATCH_EN: 0
; COMPUTE_PGM_RSRC2:USER_SGPR: 15
; COMPUTE_PGM_RSRC2:TRAP_HANDLER: 0
; COMPUTE_PGM_RSRC2:TGID_X_EN: 1
; COMPUTE_PGM_RSRC2:TGID_Y_EN: 0
; COMPUTE_PGM_RSRC2:TGID_Z_EN: 0
; COMPUTE_PGM_RSRC2:TIDIG_COMP_CNT: 0
	.section	.text._ZN7rocprim17ROCPRIM_400000_NS6detail17trampoline_kernelINS0_14default_configENS1_35adjacent_difference_config_selectorILb1EfEEZNS1_24adjacent_difference_implIS3_Lb1ELb0EPfS7_N6thrust23THRUST_200600_302600_NS5minusIfEEEE10hipError_tPvRmT2_T3_mT4_P12ihipStream_tbEUlT_E_NS1_11comp_targetILNS1_3genE5ELNS1_11target_archE942ELNS1_3gpuE9ELNS1_3repE0EEENS1_30default_config_static_selectorELNS0_4arch9wavefront6targetE0EEEvT1_,"axG",@progbits,_ZN7rocprim17ROCPRIM_400000_NS6detail17trampoline_kernelINS0_14default_configENS1_35adjacent_difference_config_selectorILb1EfEEZNS1_24adjacent_difference_implIS3_Lb1ELb0EPfS7_N6thrust23THRUST_200600_302600_NS5minusIfEEEE10hipError_tPvRmT2_T3_mT4_P12ihipStream_tbEUlT_E_NS1_11comp_targetILNS1_3genE5ELNS1_11target_archE942ELNS1_3gpuE9ELNS1_3repE0EEENS1_30default_config_static_selectorELNS0_4arch9wavefront6targetE0EEEvT1_,comdat
	.protected	_ZN7rocprim17ROCPRIM_400000_NS6detail17trampoline_kernelINS0_14default_configENS1_35adjacent_difference_config_selectorILb1EfEEZNS1_24adjacent_difference_implIS3_Lb1ELb0EPfS7_N6thrust23THRUST_200600_302600_NS5minusIfEEEE10hipError_tPvRmT2_T3_mT4_P12ihipStream_tbEUlT_E_NS1_11comp_targetILNS1_3genE5ELNS1_11target_archE942ELNS1_3gpuE9ELNS1_3repE0EEENS1_30default_config_static_selectorELNS0_4arch9wavefront6targetE0EEEvT1_ ; -- Begin function _ZN7rocprim17ROCPRIM_400000_NS6detail17trampoline_kernelINS0_14default_configENS1_35adjacent_difference_config_selectorILb1EfEEZNS1_24adjacent_difference_implIS3_Lb1ELb0EPfS7_N6thrust23THRUST_200600_302600_NS5minusIfEEEE10hipError_tPvRmT2_T3_mT4_P12ihipStream_tbEUlT_E_NS1_11comp_targetILNS1_3genE5ELNS1_11target_archE942ELNS1_3gpuE9ELNS1_3repE0EEENS1_30default_config_static_selectorELNS0_4arch9wavefront6targetE0EEEvT1_
	.globl	_ZN7rocprim17ROCPRIM_400000_NS6detail17trampoline_kernelINS0_14default_configENS1_35adjacent_difference_config_selectorILb1EfEEZNS1_24adjacent_difference_implIS3_Lb1ELb0EPfS7_N6thrust23THRUST_200600_302600_NS5minusIfEEEE10hipError_tPvRmT2_T3_mT4_P12ihipStream_tbEUlT_E_NS1_11comp_targetILNS1_3genE5ELNS1_11target_archE942ELNS1_3gpuE9ELNS1_3repE0EEENS1_30default_config_static_selectorELNS0_4arch9wavefront6targetE0EEEvT1_
	.p2align	8
	.type	_ZN7rocprim17ROCPRIM_400000_NS6detail17trampoline_kernelINS0_14default_configENS1_35adjacent_difference_config_selectorILb1EfEEZNS1_24adjacent_difference_implIS3_Lb1ELb0EPfS7_N6thrust23THRUST_200600_302600_NS5minusIfEEEE10hipError_tPvRmT2_T3_mT4_P12ihipStream_tbEUlT_E_NS1_11comp_targetILNS1_3genE5ELNS1_11target_archE942ELNS1_3gpuE9ELNS1_3repE0EEENS1_30default_config_static_selectorELNS0_4arch9wavefront6targetE0EEEvT1_,@function
_ZN7rocprim17ROCPRIM_400000_NS6detail17trampoline_kernelINS0_14default_configENS1_35adjacent_difference_config_selectorILb1EfEEZNS1_24adjacent_difference_implIS3_Lb1ELb0EPfS7_N6thrust23THRUST_200600_302600_NS5minusIfEEEE10hipError_tPvRmT2_T3_mT4_P12ihipStream_tbEUlT_E_NS1_11comp_targetILNS1_3genE5ELNS1_11target_archE942ELNS1_3gpuE9ELNS1_3repE0EEENS1_30default_config_static_selectorELNS0_4arch9wavefront6targetE0EEEvT1_: ; @_ZN7rocprim17ROCPRIM_400000_NS6detail17trampoline_kernelINS0_14default_configENS1_35adjacent_difference_config_selectorILb1EfEEZNS1_24adjacent_difference_implIS3_Lb1ELb0EPfS7_N6thrust23THRUST_200600_302600_NS5minusIfEEEE10hipError_tPvRmT2_T3_mT4_P12ihipStream_tbEUlT_E_NS1_11comp_targetILNS1_3genE5ELNS1_11target_archE942ELNS1_3gpuE9ELNS1_3repE0EEENS1_30default_config_static_selectorELNS0_4arch9wavefront6targetE0EEEvT1_
; %bb.0:
	.section	.rodata,"a",@progbits
	.p2align	6, 0x0
	.amdhsa_kernel _ZN7rocprim17ROCPRIM_400000_NS6detail17trampoline_kernelINS0_14default_configENS1_35adjacent_difference_config_selectorILb1EfEEZNS1_24adjacent_difference_implIS3_Lb1ELb0EPfS7_N6thrust23THRUST_200600_302600_NS5minusIfEEEE10hipError_tPvRmT2_T3_mT4_P12ihipStream_tbEUlT_E_NS1_11comp_targetILNS1_3genE5ELNS1_11target_archE942ELNS1_3gpuE9ELNS1_3repE0EEENS1_30default_config_static_selectorELNS0_4arch9wavefront6targetE0EEEvT1_
		.amdhsa_group_segment_fixed_size 0
		.amdhsa_private_segment_fixed_size 0
		.amdhsa_kernarg_size 56
		.amdhsa_user_sgpr_count 15
		.amdhsa_user_sgpr_dispatch_ptr 0
		.amdhsa_user_sgpr_queue_ptr 0
		.amdhsa_user_sgpr_kernarg_segment_ptr 1
		.amdhsa_user_sgpr_dispatch_id 0
		.amdhsa_user_sgpr_private_segment_size 0
		.amdhsa_wavefront_size32 1
		.amdhsa_uses_dynamic_stack 0
		.amdhsa_enable_private_segment 0
		.amdhsa_system_sgpr_workgroup_id_x 1
		.amdhsa_system_sgpr_workgroup_id_y 0
		.amdhsa_system_sgpr_workgroup_id_z 0
		.amdhsa_system_sgpr_workgroup_info 0
		.amdhsa_system_vgpr_workitem_id 0
		.amdhsa_next_free_vgpr 1
		.amdhsa_next_free_sgpr 1
		.amdhsa_reserve_vcc 0
		.amdhsa_float_round_mode_32 0
		.amdhsa_float_round_mode_16_64 0
		.amdhsa_float_denorm_mode_32 3
		.amdhsa_float_denorm_mode_16_64 3
		.amdhsa_dx10_clamp 1
		.amdhsa_ieee_mode 1
		.amdhsa_fp16_overflow 0
		.amdhsa_workgroup_processor_mode 1
		.amdhsa_memory_ordered 1
		.amdhsa_forward_progress 0
		.amdhsa_shared_vgpr_count 0
		.amdhsa_exception_fp_ieee_invalid_op 0
		.amdhsa_exception_fp_denorm_src 0
		.amdhsa_exception_fp_ieee_div_zero 0
		.amdhsa_exception_fp_ieee_overflow 0
		.amdhsa_exception_fp_ieee_underflow 0
		.amdhsa_exception_fp_ieee_inexact 0
		.amdhsa_exception_int_div_zero 0
	.end_amdhsa_kernel
	.section	.text._ZN7rocprim17ROCPRIM_400000_NS6detail17trampoline_kernelINS0_14default_configENS1_35adjacent_difference_config_selectorILb1EfEEZNS1_24adjacent_difference_implIS3_Lb1ELb0EPfS7_N6thrust23THRUST_200600_302600_NS5minusIfEEEE10hipError_tPvRmT2_T3_mT4_P12ihipStream_tbEUlT_E_NS1_11comp_targetILNS1_3genE5ELNS1_11target_archE942ELNS1_3gpuE9ELNS1_3repE0EEENS1_30default_config_static_selectorELNS0_4arch9wavefront6targetE0EEEvT1_,"axG",@progbits,_ZN7rocprim17ROCPRIM_400000_NS6detail17trampoline_kernelINS0_14default_configENS1_35adjacent_difference_config_selectorILb1EfEEZNS1_24adjacent_difference_implIS3_Lb1ELb0EPfS7_N6thrust23THRUST_200600_302600_NS5minusIfEEEE10hipError_tPvRmT2_T3_mT4_P12ihipStream_tbEUlT_E_NS1_11comp_targetILNS1_3genE5ELNS1_11target_archE942ELNS1_3gpuE9ELNS1_3repE0EEENS1_30default_config_static_selectorELNS0_4arch9wavefront6targetE0EEEvT1_,comdat
.Lfunc_end72:
	.size	_ZN7rocprim17ROCPRIM_400000_NS6detail17trampoline_kernelINS0_14default_configENS1_35adjacent_difference_config_selectorILb1EfEEZNS1_24adjacent_difference_implIS3_Lb1ELb0EPfS7_N6thrust23THRUST_200600_302600_NS5minusIfEEEE10hipError_tPvRmT2_T3_mT4_P12ihipStream_tbEUlT_E_NS1_11comp_targetILNS1_3genE5ELNS1_11target_archE942ELNS1_3gpuE9ELNS1_3repE0EEENS1_30default_config_static_selectorELNS0_4arch9wavefront6targetE0EEEvT1_, .Lfunc_end72-_ZN7rocprim17ROCPRIM_400000_NS6detail17trampoline_kernelINS0_14default_configENS1_35adjacent_difference_config_selectorILb1EfEEZNS1_24adjacent_difference_implIS3_Lb1ELb0EPfS7_N6thrust23THRUST_200600_302600_NS5minusIfEEEE10hipError_tPvRmT2_T3_mT4_P12ihipStream_tbEUlT_E_NS1_11comp_targetILNS1_3genE5ELNS1_11target_archE942ELNS1_3gpuE9ELNS1_3repE0EEENS1_30default_config_static_selectorELNS0_4arch9wavefront6targetE0EEEvT1_
                                        ; -- End function
	.section	.AMDGPU.csdata,"",@progbits
; Kernel info:
; codeLenInByte = 0
; NumSgprs: 0
; NumVgprs: 0
; ScratchSize: 0
; MemoryBound: 0
; FloatMode: 240
; IeeeMode: 1
; LDSByteSize: 0 bytes/workgroup (compile time only)
; SGPRBlocks: 0
; VGPRBlocks: 0
; NumSGPRsForWavesPerEU: 1
; NumVGPRsForWavesPerEU: 1
; Occupancy: 16
; WaveLimiterHint : 0
; COMPUTE_PGM_RSRC2:SCRATCH_EN: 0
; COMPUTE_PGM_RSRC2:USER_SGPR: 15
; COMPUTE_PGM_RSRC2:TRAP_HANDLER: 0
; COMPUTE_PGM_RSRC2:TGID_X_EN: 1
; COMPUTE_PGM_RSRC2:TGID_Y_EN: 0
; COMPUTE_PGM_RSRC2:TGID_Z_EN: 0
; COMPUTE_PGM_RSRC2:TIDIG_COMP_CNT: 0
	.section	.text._ZN7rocprim17ROCPRIM_400000_NS6detail17trampoline_kernelINS0_14default_configENS1_35adjacent_difference_config_selectorILb1EfEEZNS1_24adjacent_difference_implIS3_Lb1ELb0EPfS7_N6thrust23THRUST_200600_302600_NS5minusIfEEEE10hipError_tPvRmT2_T3_mT4_P12ihipStream_tbEUlT_E_NS1_11comp_targetILNS1_3genE4ELNS1_11target_archE910ELNS1_3gpuE8ELNS1_3repE0EEENS1_30default_config_static_selectorELNS0_4arch9wavefront6targetE0EEEvT1_,"axG",@progbits,_ZN7rocprim17ROCPRIM_400000_NS6detail17trampoline_kernelINS0_14default_configENS1_35adjacent_difference_config_selectorILb1EfEEZNS1_24adjacent_difference_implIS3_Lb1ELb0EPfS7_N6thrust23THRUST_200600_302600_NS5minusIfEEEE10hipError_tPvRmT2_T3_mT4_P12ihipStream_tbEUlT_E_NS1_11comp_targetILNS1_3genE4ELNS1_11target_archE910ELNS1_3gpuE8ELNS1_3repE0EEENS1_30default_config_static_selectorELNS0_4arch9wavefront6targetE0EEEvT1_,comdat
	.protected	_ZN7rocprim17ROCPRIM_400000_NS6detail17trampoline_kernelINS0_14default_configENS1_35adjacent_difference_config_selectorILb1EfEEZNS1_24adjacent_difference_implIS3_Lb1ELb0EPfS7_N6thrust23THRUST_200600_302600_NS5minusIfEEEE10hipError_tPvRmT2_T3_mT4_P12ihipStream_tbEUlT_E_NS1_11comp_targetILNS1_3genE4ELNS1_11target_archE910ELNS1_3gpuE8ELNS1_3repE0EEENS1_30default_config_static_selectorELNS0_4arch9wavefront6targetE0EEEvT1_ ; -- Begin function _ZN7rocprim17ROCPRIM_400000_NS6detail17trampoline_kernelINS0_14default_configENS1_35adjacent_difference_config_selectorILb1EfEEZNS1_24adjacent_difference_implIS3_Lb1ELb0EPfS7_N6thrust23THRUST_200600_302600_NS5minusIfEEEE10hipError_tPvRmT2_T3_mT4_P12ihipStream_tbEUlT_E_NS1_11comp_targetILNS1_3genE4ELNS1_11target_archE910ELNS1_3gpuE8ELNS1_3repE0EEENS1_30default_config_static_selectorELNS0_4arch9wavefront6targetE0EEEvT1_
	.globl	_ZN7rocprim17ROCPRIM_400000_NS6detail17trampoline_kernelINS0_14default_configENS1_35adjacent_difference_config_selectorILb1EfEEZNS1_24adjacent_difference_implIS3_Lb1ELb0EPfS7_N6thrust23THRUST_200600_302600_NS5minusIfEEEE10hipError_tPvRmT2_T3_mT4_P12ihipStream_tbEUlT_E_NS1_11comp_targetILNS1_3genE4ELNS1_11target_archE910ELNS1_3gpuE8ELNS1_3repE0EEENS1_30default_config_static_selectorELNS0_4arch9wavefront6targetE0EEEvT1_
	.p2align	8
	.type	_ZN7rocprim17ROCPRIM_400000_NS6detail17trampoline_kernelINS0_14default_configENS1_35adjacent_difference_config_selectorILb1EfEEZNS1_24adjacent_difference_implIS3_Lb1ELb0EPfS7_N6thrust23THRUST_200600_302600_NS5minusIfEEEE10hipError_tPvRmT2_T3_mT4_P12ihipStream_tbEUlT_E_NS1_11comp_targetILNS1_3genE4ELNS1_11target_archE910ELNS1_3gpuE8ELNS1_3repE0EEENS1_30default_config_static_selectorELNS0_4arch9wavefront6targetE0EEEvT1_,@function
_ZN7rocprim17ROCPRIM_400000_NS6detail17trampoline_kernelINS0_14default_configENS1_35adjacent_difference_config_selectorILb1EfEEZNS1_24adjacent_difference_implIS3_Lb1ELb0EPfS7_N6thrust23THRUST_200600_302600_NS5minusIfEEEE10hipError_tPvRmT2_T3_mT4_P12ihipStream_tbEUlT_E_NS1_11comp_targetILNS1_3genE4ELNS1_11target_archE910ELNS1_3gpuE8ELNS1_3repE0EEENS1_30default_config_static_selectorELNS0_4arch9wavefront6targetE0EEEvT1_: ; @_ZN7rocprim17ROCPRIM_400000_NS6detail17trampoline_kernelINS0_14default_configENS1_35adjacent_difference_config_selectorILb1EfEEZNS1_24adjacent_difference_implIS3_Lb1ELb0EPfS7_N6thrust23THRUST_200600_302600_NS5minusIfEEEE10hipError_tPvRmT2_T3_mT4_P12ihipStream_tbEUlT_E_NS1_11comp_targetILNS1_3genE4ELNS1_11target_archE910ELNS1_3gpuE8ELNS1_3repE0EEENS1_30default_config_static_selectorELNS0_4arch9wavefront6targetE0EEEvT1_
; %bb.0:
	.section	.rodata,"a",@progbits
	.p2align	6, 0x0
	.amdhsa_kernel _ZN7rocprim17ROCPRIM_400000_NS6detail17trampoline_kernelINS0_14default_configENS1_35adjacent_difference_config_selectorILb1EfEEZNS1_24adjacent_difference_implIS3_Lb1ELb0EPfS7_N6thrust23THRUST_200600_302600_NS5minusIfEEEE10hipError_tPvRmT2_T3_mT4_P12ihipStream_tbEUlT_E_NS1_11comp_targetILNS1_3genE4ELNS1_11target_archE910ELNS1_3gpuE8ELNS1_3repE0EEENS1_30default_config_static_selectorELNS0_4arch9wavefront6targetE0EEEvT1_
		.amdhsa_group_segment_fixed_size 0
		.amdhsa_private_segment_fixed_size 0
		.amdhsa_kernarg_size 56
		.amdhsa_user_sgpr_count 15
		.amdhsa_user_sgpr_dispatch_ptr 0
		.amdhsa_user_sgpr_queue_ptr 0
		.amdhsa_user_sgpr_kernarg_segment_ptr 1
		.amdhsa_user_sgpr_dispatch_id 0
		.amdhsa_user_sgpr_private_segment_size 0
		.amdhsa_wavefront_size32 1
		.amdhsa_uses_dynamic_stack 0
		.amdhsa_enable_private_segment 0
		.amdhsa_system_sgpr_workgroup_id_x 1
		.amdhsa_system_sgpr_workgroup_id_y 0
		.amdhsa_system_sgpr_workgroup_id_z 0
		.amdhsa_system_sgpr_workgroup_info 0
		.amdhsa_system_vgpr_workitem_id 0
		.amdhsa_next_free_vgpr 1
		.amdhsa_next_free_sgpr 1
		.amdhsa_reserve_vcc 0
		.amdhsa_float_round_mode_32 0
		.amdhsa_float_round_mode_16_64 0
		.amdhsa_float_denorm_mode_32 3
		.amdhsa_float_denorm_mode_16_64 3
		.amdhsa_dx10_clamp 1
		.amdhsa_ieee_mode 1
		.amdhsa_fp16_overflow 0
		.amdhsa_workgroup_processor_mode 1
		.amdhsa_memory_ordered 1
		.amdhsa_forward_progress 0
		.amdhsa_shared_vgpr_count 0
		.amdhsa_exception_fp_ieee_invalid_op 0
		.amdhsa_exception_fp_denorm_src 0
		.amdhsa_exception_fp_ieee_div_zero 0
		.amdhsa_exception_fp_ieee_overflow 0
		.amdhsa_exception_fp_ieee_underflow 0
		.amdhsa_exception_fp_ieee_inexact 0
		.amdhsa_exception_int_div_zero 0
	.end_amdhsa_kernel
	.section	.text._ZN7rocprim17ROCPRIM_400000_NS6detail17trampoline_kernelINS0_14default_configENS1_35adjacent_difference_config_selectorILb1EfEEZNS1_24adjacent_difference_implIS3_Lb1ELb0EPfS7_N6thrust23THRUST_200600_302600_NS5minusIfEEEE10hipError_tPvRmT2_T3_mT4_P12ihipStream_tbEUlT_E_NS1_11comp_targetILNS1_3genE4ELNS1_11target_archE910ELNS1_3gpuE8ELNS1_3repE0EEENS1_30default_config_static_selectorELNS0_4arch9wavefront6targetE0EEEvT1_,"axG",@progbits,_ZN7rocprim17ROCPRIM_400000_NS6detail17trampoline_kernelINS0_14default_configENS1_35adjacent_difference_config_selectorILb1EfEEZNS1_24adjacent_difference_implIS3_Lb1ELb0EPfS7_N6thrust23THRUST_200600_302600_NS5minusIfEEEE10hipError_tPvRmT2_T3_mT4_P12ihipStream_tbEUlT_E_NS1_11comp_targetILNS1_3genE4ELNS1_11target_archE910ELNS1_3gpuE8ELNS1_3repE0EEENS1_30default_config_static_selectorELNS0_4arch9wavefront6targetE0EEEvT1_,comdat
.Lfunc_end73:
	.size	_ZN7rocprim17ROCPRIM_400000_NS6detail17trampoline_kernelINS0_14default_configENS1_35adjacent_difference_config_selectorILb1EfEEZNS1_24adjacent_difference_implIS3_Lb1ELb0EPfS7_N6thrust23THRUST_200600_302600_NS5minusIfEEEE10hipError_tPvRmT2_T3_mT4_P12ihipStream_tbEUlT_E_NS1_11comp_targetILNS1_3genE4ELNS1_11target_archE910ELNS1_3gpuE8ELNS1_3repE0EEENS1_30default_config_static_selectorELNS0_4arch9wavefront6targetE0EEEvT1_, .Lfunc_end73-_ZN7rocprim17ROCPRIM_400000_NS6detail17trampoline_kernelINS0_14default_configENS1_35adjacent_difference_config_selectorILb1EfEEZNS1_24adjacent_difference_implIS3_Lb1ELb0EPfS7_N6thrust23THRUST_200600_302600_NS5minusIfEEEE10hipError_tPvRmT2_T3_mT4_P12ihipStream_tbEUlT_E_NS1_11comp_targetILNS1_3genE4ELNS1_11target_archE910ELNS1_3gpuE8ELNS1_3repE0EEENS1_30default_config_static_selectorELNS0_4arch9wavefront6targetE0EEEvT1_
                                        ; -- End function
	.section	.AMDGPU.csdata,"",@progbits
; Kernel info:
; codeLenInByte = 0
; NumSgprs: 0
; NumVgprs: 0
; ScratchSize: 0
; MemoryBound: 0
; FloatMode: 240
; IeeeMode: 1
; LDSByteSize: 0 bytes/workgroup (compile time only)
; SGPRBlocks: 0
; VGPRBlocks: 0
; NumSGPRsForWavesPerEU: 1
; NumVGPRsForWavesPerEU: 1
; Occupancy: 16
; WaveLimiterHint : 0
; COMPUTE_PGM_RSRC2:SCRATCH_EN: 0
; COMPUTE_PGM_RSRC2:USER_SGPR: 15
; COMPUTE_PGM_RSRC2:TRAP_HANDLER: 0
; COMPUTE_PGM_RSRC2:TGID_X_EN: 1
; COMPUTE_PGM_RSRC2:TGID_Y_EN: 0
; COMPUTE_PGM_RSRC2:TGID_Z_EN: 0
; COMPUTE_PGM_RSRC2:TIDIG_COMP_CNT: 0
	.section	.text._ZN7rocprim17ROCPRIM_400000_NS6detail17trampoline_kernelINS0_14default_configENS1_35adjacent_difference_config_selectorILb1EfEEZNS1_24adjacent_difference_implIS3_Lb1ELb0EPfS7_N6thrust23THRUST_200600_302600_NS5minusIfEEEE10hipError_tPvRmT2_T3_mT4_P12ihipStream_tbEUlT_E_NS1_11comp_targetILNS1_3genE3ELNS1_11target_archE908ELNS1_3gpuE7ELNS1_3repE0EEENS1_30default_config_static_selectorELNS0_4arch9wavefront6targetE0EEEvT1_,"axG",@progbits,_ZN7rocprim17ROCPRIM_400000_NS6detail17trampoline_kernelINS0_14default_configENS1_35adjacent_difference_config_selectorILb1EfEEZNS1_24adjacent_difference_implIS3_Lb1ELb0EPfS7_N6thrust23THRUST_200600_302600_NS5minusIfEEEE10hipError_tPvRmT2_T3_mT4_P12ihipStream_tbEUlT_E_NS1_11comp_targetILNS1_3genE3ELNS1_11target_archE908ELNS1_3gpuE7ELNS1_3repE0EEENS1_30default_config_static_selectorELNS0_4arch9wavefront6targetE0EEEvT1_,comdat
	.protected	_ZN7rocprim17ROCPRIM_400000_NS6detail17trampoline_kernelINS0_14default_configENS1_35adjacent_difference_config_selectorILb1EfEEZNS1_24adjacent_difference_implIS3_Lb1ELb0EPfS7_N6thrust23THRUST_200600_302600_NS5minusIfEEEE10hipError_tPvRmT2_T3_mT4_P12ihipStream_tbEUlT_E_NS1_11comp_targetILNS1_3genE3ELNS1_11target_archE908ELNS1_3gpuE7ELNS1_3repE0EEENS1_30default_config_static_selectorELNS0_4arch9wavefront6targetE0EEEvT1_ ; -- Begin function _ZN7rocprim17ROCPRIM_400000_NS6detail17trampoline_kernelINS0_14default_configENS1_35adjacent_difference_config_selectorILb1EfEEZNS1_24adjacent_difference_implIS3_Lb1ELb0EPfS7_N6thrust23THRUST_200600_302600_NS5minusIfEEEE10hipError_tPvRmT2_T3_mT4_P12ihipStream_tbEUlT_E_NS1_11comp_targetILNS1_3genE3ELNS1_11target_archE908ELNS1_3gpuE7ELNS1_3repE0EEENS1_30default_config_static_selectorELNS0_4arch9wavefront6targetE0EEEvT1_
	.globl	_ZN7rocprim17ROCPRIM_400000_NS6detail17trampoline_kernelINS0_14default_configENS1_35adjacent_difference_config_selectorILb1EfEEZNS1_24adjacent_difference_implIS3_Lb1ELb0EPfS7_N6thrust23THRUST_200600_302600_NS5minusIfEEEE10hipError_tPvRmT2_T3_mT4_P12ihipStream_tbEUlT_E_NS1_11comp_targetILNS1_3genE3ELNS1_11target_archE908ELNS1_3gpuE7ELNS1_3repE0EEENS1_30default_config_static_selectorELNS0_4arch9wavefront6targetE0EEEvT1_
	.p2align	8
	.type	_ZN7rocprim17ROCPRIM_400000_NS6detail17trampoline_kernelINS0_14default_configENS1_35adjacent_difference_config_selectorILb1EfEEZNS1_24adjacent_difference_implIS3_Lb1ELb0EPfS7_N6thrust23THRUST_200600_302600_NS5minusIfEEEE10hipError_tPvRmT2_T3_mT4_P12ihipStream_tbEUlT_E_NS1_11comp_targetILNS1_3genE3ELNS1_11target_archE908ELNS1_3gpuE7ELNS1_3repE0EEENS1_30default_config_static_selectorELNS0_4arch9wavefront6targetE0EEEvT1_,@function
_ZN7rocprim17ROCPRIM_400000_NS6detail17trampoline_kernelINS0_14default_configENS1_35adjacent_difference_config_selectorILb1EfEEZNS1_24adjacent_difference_implIS3_Lb1ELb0EPfS7_N6thrust23THRUST_200600_302600_NS5minusIfEEEE10hipError_tPvRmT2_T3_mT4_P12ihipStream_tbEUlT_E_NS1_11comp_targetILNS1_3genE3ELNS1_11target_archE908ELNS1_3gpuE7ELNS1_3repE0EEENS1_30default_config_static_selectorELNS0_4arch9wavefront6targetE0EEEvT1_: ; @_ZN7rocprim17ROCPRIM_400000_NS6detail17trampoline_kernelINS0_14default_configENS1_35adjacent_difference_config_selectorILb1EfEEZNS1_24adjacent_difference_implIS3_Lb1ELb0EPfS7_N6thrust23THRUST_200600_302600_NS5minusIfEEEE10hipError_tPvRmT2_T3_mT4_P12ihipStream_tbEUlT_E_NS1_11comp_targetILNS1_3genE3ELNS1_11target_archE908ELNS1_3gpuE7ELNS1_3repE0EEENS1_30default_config_static_selectorELNS0_4arch9wavefront6targetE0EEEvT1_
; %bb.0:
	.section	.rodata,"a",@progbits
	.p2align	6, 0x0
	.amdhsa_kernel _ZN7rocprim17ROCPRIM_400000_NS6detail17trampoline_kernelINS0_14default_configENS1_35adjacent_difference_config_selectorILb1EfEEZNS1_24adjacent_difference_implIS3_Lb1ELb0EPfS7_N6thrust23THRUST_200600_302600_NS5minusIfEEEE10hipError_tPvRmT2_T3_mT4_P12ihipStream_tbEUlT_E_NS1_11comp_targetILNS1_3genE3ELNS1_11target_archE908ELNS1_3gpuE7ELNS1_3repE0EEENS1_30default_config_static_selectorELNS0_4arch9wavefront6targetE0EEEvT1_
		.amdhsa_group_segment_fixed_size 0
		.amdhsa_private_segment_fixed_size 0
		.amdhsa_kernarg_size 56
		.amdhsa_user_sgpr_count 15
		.amdhsa_user_sgpr_dispatch_ptr 0
		.amdhsa_user_sgpr_queue_ptr 0
		.amdhsa_user_sgpr_kernarg_segment_ptr 1
		.amdhsa_user_sgpr_dispatch_id 0
		.amdhsa_user_sgpr_private_segment_size 0
		.amdhsa_wavefront_size32 1
		.amdhsa_uses_dynamic_stack 0
		.amdhsa_enable_private_segment 0
		.amdhsa_system_sgpr_workgroup_id_x 1
		.amdhsa_system_sgpr_workgroup_id_y 0
		.amdhsa_system_sgpr_workgroup_id_z 0
		.amdhsa_system_sgpr_workgroup_info 0
		.amdhsa_system_vgpr_workitem_id 0
		.amdhsa_next_free_vgpr 1
		.amdhsa_next_free_sgpr 1
		.amdhsa_reserve_vcc 0
		.amdhsa_float_round_mode_32 0
		.amdhsa_float_round_mode_16_64 0
		.amdhsa_float_denorm_mode_32 3
		.amdhsa_float_denorm_mode_16_64 3
		.amdhsa_dx10_clamp 1
		.amdhsa_ieee_mode 1
		.amdhsa_fp16_overflow 0
		.amdhsa_workgroup_processor_mode 1
		.amdhsa_memory_ordered 1
		.amdhsa_forward_progress 0
		.amdhsa_shared_vgpr_count 0
		.amdhsa_exception_fp_ieee_invalid_op 0
		.amdhsa_exception_fp_denorm_src 0
		.amdhsa_exception_fp_ieee_div_zero 0
		.amdhsa_exception_fp_ieee_overflow 0
		.amdhsa_exception_fp_ieee_underflow 0
		.amdhsa_exception_fp_ieee_inexact 0
		.amdhsa_exception_int_div_zero 0
	.end_amdhsa_kernel
	.section	.text._ZN7rocprim17ROCPRIM_400000_NS6detail17trampoline_kernelINS0_14default_configENS1_35adjacent_difference_config_selectorILb1EfEEZNS1_24adjacent_difference_implIS3_Lb1ELb0EPfS7_N6thrust23THRUST_200600_302600_NS5minusIfEEEE10hipError_tPvRmT2_T3_mT4_P12ihipStream_tbEUlT_E_NS1_11comp_targetILNS1_3genE3ELNS1_11target_archE908ELNS1_3gpuE7ELNS1_3repE0EEENS1_30default_config_static_selectorELNS0_4arch9wavefront6targetE0EEEvT1_,"axG",@progbits,_ZN7rocprim17ROCPRIM_400000_NS6detail17trampoline_kernelINS0_14default_configENS1_35adjacent_difference_config_selectorILb1EfEEZNS1_24adjacent_difference_implIS3_Lb1ELb0EPfS7_N6thrust23THRUST_200600_302600_NS5minusIfEEEE10hipError_tPvRmT2_T3_mT4_P12ihipStream_tbEUlT_E_NS1_11comp_targetILNS1_3genE3ELNS1_11target_archE908ELNS1_3gpuE7ELNS1_3repE0EEENS1_30default_config_static_selectorELNS0_4arch9wavefront6targetE0EEEvT1_,comdat
.Lfunc_end74:
	.size	_ZN7rocprim17ROCPRIM_400000_NS6detail17trampoline_kernelINS0_14default_configENS1_35adjacent_difference_config_selectorILb1EfEEZNS1_24adjacent_difference_implIS3_Lb1ELb0EPfS7_N6thrust23THRUST_200600_302600_NS5minusIfEEEE10hipError_tPvRmT2_T3_mT4_P12ihipStream_tbEUlT_E_NS1_11comp_targetILNS1_3genE3ELNS1_11target_archE908ELNS1_3gpuE7ELNS1_3repE0EEENS1_30default_config_static_selectorELNS0_4arch9wavefront6targetE0EEEvT1_, .Lfunc_end74-_ZN7rocprim17ROCPRIM_400000_NS6detail17trampoline_kernelINS0_14default_configENS1_35adjacent_difference_config_selectorILb1EfEEZNS1_24adjacent_difference_implIS3_Lb1ELb0EPfS7_N6thrust23THRUST_200600_302600_NS5minusIfEEEE10hipError_tPvRmT2_T3_mT4_P12ihipStream_tbEUlT_E_NS1_11comp_targetILNS1_3genE3ELNS1_11target_archE908ELNS1_3gpuE7ELNS1_3repE0EEENS1_30default_config_static_selectorELNS0_4arch9wavefront6targetE0EEEvT1_
                                        ; -- End function
	.section	.AMDGPU.csdata,"",@progbits
; Kernel info:
; codeLenInByte = 0
; NumSgprs: 0
; NumVgprs: 0
; ScratchSize: 0
; MemoryBound: 0
; FloatMode: 240
; IeeeMode: 1
; LDSByteSize: 0 bytes/workgroup (compile time only)
; SGPRBlocks: 0
; VGPRBlocks: 0
; NumSGPRsForWavesPerEU: 1
; NumVGPRsForWavesPerEU: 1
; Occupancy: 16
; WaveLimiterHint : 0
; COMPUTE_PGM_RSRC2:SCRATCH_EN: 0
; COMPUTE_PGM_RSRC2:USER_SGPR: 15
; COMPUTE_PGM_RSRC2:TRAP_HANDLER: 0
; COMPUTE_PGM_RSRC2:TGID_X_EN: 1
; COMPUTE_PGM_RSRC2:TGID_Y_EN: 0
; COMPUTE_PGM_RSRC2:TGID_Z_EN: 0
; COMPUTE_PGM_RSRC2:TIDIG_COMP_CNT: 0
	.section	.text._ZN7rocprim17ROCPRIM_400000_NS6detail17trampoline_kernelINS0_14default_configENS1_35adjacent_difference_config_selectorILb1EfEEZNS1_24adjacent_difference_implIS3_Lb1ELb0EPfS7_N6thrust23THRUST_200600_302600_NS5minusIfEEEE10hipError_tPvRmT2_T3_mT4_P12ihipStream_tbEUlT_E_NS1_11comp_targetILNS1_3genE2ELNS1_11target_archE906ELNS1_3gpuE6ELNS1_3repE0EEENS1_30default_config_static_selectorELNS0_4arch9wavefront6targetE0EEEvT1_,"axG",@progbits,_ZN7rocprim17ROCPRIM_400000_NS6detail17trampoline_kernelINS0_14default_configENS1_35adjacent_difference_config_selectorILb1EfEEZNS1_24adjacent_difference_implIS3_Lb1ELb0EPfS7_N6thrust23THRUST_200600_302600_NS5minusIfEEEE10hipError_tPvRmT2_T3_mT4_P12ihipStream_tbEUlT_E_NS1_11comp_targetILNS1_3genE2ELNS1_11target_archE906ELNS1_3gpuE6ELNS1_3repE0EEENS1_30default_config_static_selectorELNS0_4arch9wavefront6targetE0EEEvT1_,comdat
	.protected	_ZN7rocprim17ROCPRIM_400000_NS6detail17trampoline_kernelINS0_14default_configENS1_35adjacent_difference_config_selectorILb1EfEEZNS1_24adjacent_difference_implIS3_Lb1ELb0EPfS7_N6thrust23THRUST_200600_302600_NS5minusIfEEEE10hipError_tPvRmT2_T3_mT4_P12ihipStream_tbEUlT_E_NS1_11comp_targetILNS1_3genE2ELNS1_11target_archE906ELNS1_3gpuE6ELNS1_3repE0EEENS1_30default_config_static_selectorELNS0_4arch9wavefront6targetE0EEEvT1_ ; -- Begin function _ZN7rocprim17ROCPRIM_400000_NS6detail17trampoline_kernelINS0_14default_configENS1_35adjacent_difference_config_selectorILb1EfEEZNS1_24adjacent_difference_implIS3_Lb1ELb0EPfS7_N6thrust23THRUST_200600_302600_NS5minusIfEEEE10hipError_tPvRmT2_T3_mT4_P12ihipStream_tbEUlT_E_NS1_11comp_targetILNS1_3genE2ELNS1_11target_archE906ELNS1_3gpuE6ELNS1_3repE0EEENS1_30default_config_static_selectorELNS0_4arch9wavefront6targetE0EEEvT1_
	.globl	_ZN7rocprim17ROCPRIM_400000_NS6detail17trampoline_kernelINS0_14default_configENS1_35adjacent_difference_config_selectorILb1EfEEZNS1_24adjacent_difference_implIS3_Lb1ELb0EPfS7_N6thrust23THRUST_200600_302600_NS5minusIfEEEE10hipError_tPvRmT2_T3_mT4_P12ihipStream_tbEUlT_E_NS1_11comp_targetILNS1_3genE2ELNS1_11target_archE906ELNS1_3gpuE6ELNS1_3repE0EEENS1_30default_config_static_selectorELNS0_4arch9wavefront6targetE0EEEvT1_
	.p2align	8
	.type	_ZN7rocprim17ROCPRIM_400000_NS6detail17trampoline_kernelINS0_14default_configENS1_35adjacent_difference_config_selectorILb1EfEEZNS1_24adjacent_difference_implIS3_Lb1ELb0EPfS7_N6thrust23THRUST_200600_302600_NS5minusIfEEEE10hipError_tPvRmT2_T3_mT4_P12ihipStream_tbEUlT_E_NS1_11comp_targetILNS1_3genE2ELNS1_11target_archE906ELNS1_3gpuE6ELNS1_3repE0EEENS1_30default_config_static_selectorELNS0_4arch9wavefront6targetE0EEEvT1_,@function
_ZN7rocprim17ROCPRIM_400000_NS6detail17trampoline_kernelINS0_14default_configENS1_35adjacent_difference_config_selectorILb1EfEEZNS1_24adjacent_difference_implIS3_Lb1ELb0EPfS7_N6thrust23THRUST_200600_302600_NS5minusIfEEEE10hipError_tPvRmT2_T3_mT4_P12ihipStream_tbEUlT_E_NS1_11comp_targetILNS1_3genE2ELNS1_11target_archE906ELNS1_3gpuE6ELNS1_3repE0EEENS1_30default_config_static_selectorELNS0_4arch9wavefront6targetE0EEEvT1_: ; @_ZN7rocprim17ROCPRIM_400000_NS6detail17trampoline_kernelINS0_14default_configENS1_35adjacent_difference_config_selectorILb1EfEEZNS1_24adjacent_difference_implIS3_Lb1ELb0EPfS7_N6thrust23THRUST_200600_302600_NS5minusIfEEEE10hipError_tPvRmT2_T3_mT4_P12ihipStream_tbEUlT_E_NS1_11comp_targetILNS1_3genE2ELNS1_11target_archE906ELNS1_3gpuE6ELNS1_3repE0EEENS1_30default_config_static_selectorELNS0_4arch9wavefront6targetE0EEEvT1_
; %bb.0:
	.section	.rodata,"a",@progbits
	.p2align	6, 0x0
	.amdhsa_kernel _ZN7rocprim17ROCPRIM_400000_NS6detail17trampoline_kernelINS0_14default_configENS1_35adjacent_difference_config_selectorILb1EfEEZNS1_24adjacent_difference_implIS3_Lb1ELb0EPfS7_N6thrust23THRUST_200600_302600_NS5minusIfEEEE10hipError_tPvRmT2_T3_mT4_P12ihipStream_tbEUlT_E_NS1_11comp_targetILNS1_3genE2ELNS1_11target_archE906ELNS1_3gpuE6ELNS1_3repE0EEENS1_30default_config_static_selectorELNS0_4arch9wavefront6targetE0EEEvT1_
		.amdhsa_group_segment_fixed_size 0
		.amdhsa_private_segment_fixed_size 0
		.amdhsa_kernarg_size 56
		.amdhsa_user_sgpr_count 15
		.amdhsa_user_sgpr_dispatch_ptr 0
		.amdhsa_user_sgpr_queue_ptr 0
		.amdhsa_user_sgpr_kernarg_segment_ptr 1
		.amdhsa_user_sgpr_dispatch_id 0
		.amdhsa_user_sgpr_private_segment_size 0
		.amdhsa_wavefront_size32 1
		.amdhsa_uses_dynamic_stack 0
		.amdhsa_enable_private_segment 0
		.amdhsa_system_sgpr_workgroup_id_x 1
		.amdhsa_system_sgpr_workgroup_id_y 0
		.amdhsa_system_sgpr_workgroup_id_z 0
		.amdhsa_system_sgpr_workgroup_info 0
		.amdhsa_system_vgpr_workitem_id 0
		.amdhsa_next_free_vgpr 1
		.amdhsa_next_free_sgpr 1
		.amdhsa_reserve_vcc 0
		.amdhsa_float_round_mode_32 0
		.amdhsa_float_round_mode_16_64 0
		.amdhsa_float_denorm_mode_32 3
		.amdhsa_float_denorm_mode_16_64 3
		.amdhsa_dx10_clamp 1
		.amdhsa_ieee_mode 1
		.amdhsa_fp16_overflow 0
		.amdhsa_workgroup_processor_mode 1
		.amdhsa_memory_ordered 1
		.amdhsa_forward_progress 0
		.amdhsa_shared_vgpr_count 0
		.amdhsa_exception_fp_ieee_invalid_op 0
		.amdhsa_exception_fp_denorm_src 0
		.amdhsa_exception_fp_ieee_div_zero 0
		.amdhsa_exception_fp_ieee_overflow 0
		.amdhsa_exception_fp_ieee_underflow 0
		.amdhsa_exception_fp_ieee_inexact 0
		.amdhsa_exception_int_div_zero 0
	.end_amdhsa_kernel
	.section	.text._ZN7rocprim17ROCPRIM_400000_NS6detail17trampoline_kernelINS0_14default_configENS1_35adjacent_difference_config_selectorILb1EfEEZNS1_24adjacent_difference_implIS3_Lb1ELb0EPfS7_N6thrust23THRUST_200600_302600_NS5minusIfEEEE10hipError_tPvRmT2_T3_mT4_P12ihipStream_tbEUlT_E_NS1_11comp_targetILNS1_3genE2ELNS1_11target_archE906ELNS1_3gpuE6ELNS1_3repE0EEENS1_30default_config_static_selectorELNS0_4arch9wavefront6targetE0EEEvT1_,"axG",@progbits,_ZN7rocprim17ROCPRIM_400000_NS6detail17trampoline_kernelINS0_14default_configENS1_35adjacent_difference_config_selectorILb1EfEEZNS1_24adjacent_difference_implIS3_Lb1ELb0EPfS7_N6thrust23THRUST_200600_302600_NS5minusIfEEEE10hipError_tPvRmT2_T3_mT4_P12ihipStream_tbEUlT_E_NS1_11comp_targetILNS1_3genE2ELNS1_11target_archE906ELNS1_3gpuE6ELNS1_3repE0EEENS1_30default_config_static_selectorELNS0_4arch9wavefront6targetE0EEEvT1_,comdat
.Lfunc_end75:
	.size	_ZN7rocprim17ROCPRIM_400000_NS6detail17trampoline_kernelINS0_14default_configENS1_35adjacent_difference_config_selectorILb1EfEEZNS1_24adjacent_difference_implIS3_Lb1ELb0EPfS7_N6thrust23THRUST_200600_302600_NS5minusIfEEEE10hipError_tPvRmT2_T3_mT4_P12ihipStream_tbEUlT_E_NS1_11comp_targetILNS1_3genE2ELNS1_11target_archE906ELNS1_3gpuE6ELNS1_3repE0EEENS1_30default_config_static_selectorELNS0_4arch9wavefront6targetE0EEEvT1_, .Lfunc_end75-_ZN7rocprim17ROCPRIM_400000_NS6detail17trampoline_kernelINS0_14default_configENS1_35adjacent_difference_config_selectorILb1EfEEZNS1_24adjacent_difference_implIS3_Lb1ELb0EPfS7_N6thrust23THRUST_200600_302600_NS5minusIfEEEE10hipError_tPvRmT2_T3_mT4_P12ihipStream_tbEUlT_E_NS1_11comp_targetILNS1_3genE2ELNS1_11target_archE906ELNS1_3gpuE6ELNS1_3repE0EEENS1_30default_config_static_selectorELNS0_4arch9wavefront6targetE0EEEvT1_
                                        ; -- End function
	.section	.AMDGPU.csdata,"",@progbits
; Kernel info:
; codeLenInByte = 0
; NumSgprs: 0
; NumVgprs: 0
; ScratchSize: 0
; MemoryBound: 0
; FloatMode: 240
; IeeeMode: 1
; LDSByteSize: 0 bytes/workgroup (compile time only)
; SGPRBlocks: 0
; VGPRBlocks: 0
; NumSGPRsForWavesPerEU: 1
; NumVGPRsForWavesPerEU: 1
; Occupancy: 16
; WaveLimiterHint : 0
; COMPUTE_PGM_RSRC2:SCRATCH_EN: 0
; COMPUTE_PGM_RSRC2:USER_SGPR: 15
; COMPUTE_PGM_RSRC2:TRAP_HANDLER: 0
; COMPUTE_PGM_RSRC2:TGID_X_EN: 1
; COMPUTE_PGM_RSRC2:TGID_Y_EN: 0
; COMPUTE_PGM_RSRC2:TGID_Z_EN: 0
; COMPUTE_PGM_RSRC2:TIDIG_COMP_CNT: 0
	.section	.text._ZN7rocprim17ROCPRIM_400000_NS6detail17trampoline_kernelINS0_14default_configENS1_35adjacent_difference_config_selectorILb1EfEEZNS1_24adjacent_difference_implIS3_Lb1ELb0EPfS7_N6thrust23THRUST_200600_302600_NS5minusIfEEEE10hipError_tPvRmT2_T3_mT4_P12ihipStream_tbEUlT_E_NS1_11comp_targetILNS1_3genE9ELNS1_11target_archE1100ELNS1_3gpuE3ELNS1_3repE0EEENS1_30default_config_static_selectorELNS0_4arch9wavefront6targetE0EEEvT1_,"axG",@progbits,_ZN7rocprim17ROCPRIM_400000_NS6detail17trampoline_kernelINS0_14default_configENS1_35adjacent_difference_config_selectorILb1EfEEZNS1_24adjacent_difference_implIS3_Lb1ELb0EPfS7_N6thrust23THRUST_200600_302600_NS5minusIfEEEE10hipError_tPvRmT2_T3_mT4_P12ihipStream_tbEUlT_E_NS1_11comp_targetILNS1_3genE9ELNS1_11target_archE1100ELNS1_3gpuE3ELNS1_3repE0EEENS1_30default_config_static_selectorELNS0_4arch9wavefront6targetE0EEEvT1_,comdat
	.protected	_ZN7rocprim17ROCPRIM_400000_NS6detail17trampoline_kernelINS0_14default_configENS1_35adjacent_difference_config_selectorILb1EfEEZNS1_24adjacent_difference_implIS3_Lb1ELb0EPfS7_N6thrust23THRUST_200600_302600_NS5minusIfEEEE10hipError_tPvRmT2_T3_mT4_P12ihipStream_tbEUlT_E_NS1_11comp_targetILNS1_3genE9ELNS1_11target_archE1100ELNS1_3gpuE3ELNS1_3repE0EEENS1_30default_config_static_selectorELNS0_4arch9wavefront6targetE0EEEvT1_ ; -- Begin function _ZN7rocprim17ROCPRIM_400000_NS6detail17trampoline_kernelINS0_14default_configENS1_35adjacent_difference_config_selectorILb1EfEEZNS1_24adjacent_difference_implIS3_Lb1ELb0EPfS7_N6thrust23THRUST_200600_302600_NS5minusIfEEEE10hipError_tPvRmT2_T3_mT4_P12ihipStream_tbEUlT_E_NS1_11comp_targetILNS1_3genE9ELNS1_11target_archE1100ELNS1_3gpuE3ELNS1_3repE0EEENS1_30default_config_static_selectorELNS0_4arch9wavefront6targetE0EEEvT1_
	.globl	_ZN7rocprim17ROCPRIM_400000_NS6detail17trampoline_kernelINS0_14default_configENS1_35adjacent_difference_config_selectorILb1EfEEZNS1_24adjacent_difference_implIS3_Lb1ELb0EPfS7_N6thrust23THRUST_200600_302600_NS5minusIfEEEE10hipError_tPvRmT2_T3_mT4_P12ihipStream_tbEUlT_E_NS1_11comp_targetILNS1_3genE9ELNS1_11target_archE1100ELNS1_3gpuE3ELNS1_3repE0EEENS1_30default_config_static_selectorELNS0_4arch9wavefront6targetE0EEEvT1_
	.p2align	8
	.type	_ZN7rocprim17ROCPRIM_400000_NS6detail17trampoline_kernelINS0_14default_configENS1_35adjacent_difference_config_selectorILb1EfEEZNS1_24adjacent_difference_implIS3_Lb1ELb0EPfS7_N6thrust23THRUST_200600_302600_NS5minusIfEEEE10hipError_tPvRmT2_T3_mT4_P12ihipStream_tbEUlT_E_NS1_11comp_targetILNS1_3genE9ELNS1_11target_archE1100ELNS1_3gpuE3ELNS1_3repE0EEENS1_30default_config_static_selectorELNS0_4arch9wavefront6targetE0EEEvT1_,@function
_ZN7rocprim17ROCPRIM_400000_NS6detail17trampoline_kernelINS0_14default_configENS1_35adjacent_difference_config_selectorILb1EfEEZNS1_24adjacent_difference_implIS3_Lb1ELb0EPfS7_N6thrust23THRUST_200600_302600_NS5minusIfEEEE10hipError_tPvRmT2_T3_mT4_P12ihipStream_tbEUlT_E_NS1_11comp_targetILNS1_3genE9ELNS1_11target_archE1100ELNS1_3gpuE3ELNS1_3repE0EEENS1_30default_config_static_selectorELNS0_4arch9wavefront6targetE0EEEvT1_: ; @_ZN7rocprim17ROCPRIM_400000_NS6detail17trampoline_kernelINS0_14default_configENS1_35adjacent_difference_config_selectorILb1EfEEZNS1_24adjacent_difference_implIS3_Lb1ELb0EPfS7_N6thrust23THRUST_200600_302600_NS5minusIfEEEE10hipError_tPvRmT2_T3_mT4_P12ihipStream_tbEUlT_E_NS1_11comp_targetILNS1_3genE9ELNS1_11target_archE1100ELNS1_3gpuE3ELNS1_3repE0EEENS1_30default_config_static_selectorELNS0_4arch9wavefront6targetE0EEEvT1_
; %bb.0:
	s_load_b256 s[36:43], s[0:1], 0x0
	s_mov_b32 s2, 0x411a7a30
	s_mov_b32 s8, s15
	s_delay_alu instid0(SALU_CYCLE_1) | instskip(SKIP_2) | instid1(SALU_CYCLE_1)
	s_mul_i32 s30, s8, 0xe80
	s_waitcnt lgkmcnt(0)
	s_lshl_b64 s[34:35], s[38:39], 2
	s_add_u32 s14, s36, s34
	s_addc_u32 s15, s37, s35
	s_add_u32 s2, 0x76, s2
	s_addc_u32 s3, 0, 0
	v_add_co_u32 v1, s2, 0x20000000, s2
	s_delay_alu instid0(VALU_DEP_1) | instskip(SKIP_1) | instid1(VALU_DEP_1)
	s_cmp_lg_u32 s2, 0
	s_addc_u32 s3, s3, 0x11a7b9
	v_readfirstlane_b32 s2, v1
	s_mul_i32 s4, s3, 0xfffff180
	s_delay_alu instid0(VALU_DEP_1)
	s_mul_hi_u32 s5, s2, 0xfffff180
	s_mul_i32 s6, s2, 0xfffff180
	s_sub_i32 s5, s5, s2
	s_mul_hi_u32 s7, s2, s6
	s_add_i32 s5, s5, s4
	s_mul_hi_u32 s9, s3, s6
	s_mul_i32 s4, s3, s6
	s_mul_hi_u32 s6, s2, s5
	s_mul_i32 s2, s2, s5
	s_mul_hi_u32 s10, s3, s5
	s_add_u32 s2, s7, s2
	s_addc_u32 s6, 0, s6
	s_add_u32 s2, s2, s4
	s_mul_i32 s5, s3, s5
	s_addc_u32 s2, s6, s9
	s_addc_u32 s4, s10, 0
	s_add_u32 s2, s2, s5
	s_addc_u32 s4, 0, s4
	v_add_co_u32 v1, s2, v1, s2
	s_delay_alu instid0(VALU_DEP_1) | instskip(SKIP_1) | instid1(VALU_DEP_1)
	s_cmp_lg_u32 s2, 0
	s_addc_u32 s2, s3, s4
	v_readfirstlane_b32 s3, v1
	s_mul_i32 s5, s42, s2
	s_mul_hi_u32 s4, s42, s2
	s_mul_hi_u32 s6, s43, s2
	s_mul_i32 s2, s43, s2
	s_mul_hi_u32 s7, s42, s3
	s_mul_hi_u32 s9, s43, s3
	s_mul_i32 s3, s43, s3
	s_add_u32 s5, s7, s5
	s_addc_u32 s4, 0, s4
	s_add_u32 s3, s5, s3
	s_addc_u32 s3, s4, s9
	s_addc_u32 s4, s6, 0
	s_add_u32 s5, s3, s2
	s_addc_u32 s4, 0, s4
	s_mul_i32 s3, s5, 0xe80
	s_add_u32 s2, s5, 1
	v_sub_co_u32 v1, s3, s42, s3
	s_mul_hi_u32 s6, s5, 0xe80
	s_addc_u32 s7, s4, 0
	s_mul_i32 s9, s4, 0xe80
	s_delay_alu instid0(VALU_DEP_1)
	v_subrev_co_u32 v2, s10, 0xe80, v1
	s_add_u32 s11, s5, 2
	s_addc_u32 s12, s4, 0
	s_add_i32 s6, s6, s9
	s_cmp_lg_u32 s3, 0
	v_readfirstlane_b32 s3, v2
	s_subb_u32 s6, s43, s6
	s_cmp_lg_u32 s10, 0
	s_subb_u32 s9, s6, 0
	s_delay_alu instid0(VALU_DEP_1) | instskip(SKIP_4) | instid1(SALU_CYCLE_1)
	s_cmpk_gt_u32 s3, 0xe7f
	s_cselect_b32 s3, -1, 0
	s_cmp_eq_u32 s9, 0
	v_readfirstlane_b32 s9, v1
	s_cselect_b32 s3, s3, -1
	s_cmp_lg_u32 s3, 0
	s_cselect_b32 s10, s11, s2
	s_cselect_b32 s7, s12, s7
	s_cmpk_gt_u32 s9, 0xe7f
	s_mov_b32 s12, -1
	s_cselect_b32 s2, -1, 0
	s_cmp_eq_u32 s6, 0
	s_cselect_b32 s2, s2, -1
	s_delay_alu instid0(SALU_CYCLE_1)
	s_cmp_lg_u32 s2, 0
	s_load_b128 s[0:3], s[0:1], 0x28
	s_cselect_b32 s6, s7, s4
	s_cselect_b32 s7, s10, s5
	s_mul_i32 s4, s6, 0xe80
	s_mul_hi_u32 s5, s7, 0xe80
	s_mul_i32 s9, s7, 0xe80
	s_add_i32 s5, s5, s4
	s_sub_u32 s4, s42, s9
	s_subb_u32 s5, s43, s5
	s_mov_b32 s9, 0
	s_cmp_lg_u64 s[4:5], 0
	s_cselect_b32 s4, -1, 0
	s_delay_alu instid0(SALU_CYCLE_1) | instskip(NEXT) | instid1(VALU_DEP_1)
	v_cndmask_b32_e64 v1, 0, 1, s4
	v_readfirstlane_b32 s4, v1
	s_delay_alu instid0(VALU_DEP_1)
	s_add_u32 s4, s7, s4
	s_addc_u32 s5, s6, 0
	s_waitcnt lgkmcnt(0)
	s_add_u32 s6, s2, s8
	s_addc_u32 s7, s3, 0
	s_add_u32 s10, s4, -1
	s_addc_u32 s11, s5, -1
	s_mul_i32 s29, s10, 0xfffff180
	v_cmp_ge_u64_e64 s33, s[6:7], s[10:11]
	s_delay_alu instid0(VALU_DEP_1)
	s_and_b32 vcc_lo, exec_lo, s33
	s_cbranch_vccz .LBB76_60
; %bb.1:
	s_mov_b32 s31, s9
	s_add_i32 s16, s29, s42
	s_lshl_b64 s[12:13], s[30:31], 2
	s_mov_b32 s17, exec_lo
	s_add_u32 s12, s14, s12
	s_addc_u32 s13, s15, s13
                                        ; implicit-def: $vgpr1
	v_cmpx_gt_u32_e64 s16, v0
	s_cbranch_execz .LBB76_3
; %bb.2:
	v_lshlrev_b32_e32 v1, 2, v0
	global_load_b32 v1, v1, s[12:13]
.LBB76_3:
	s_or_b32 exec_lo, exec_lo, s17
	v_or_b32_e32 v2, 0x80, v0
	s_delay_alu instid0(VALU_DEP_1)
	v_cmp_gt_u32_e32 vcc_lo, s16, v2
                                        ; implicit-def: $vgpr2
	s_and_saveexec_b32 s17, vcc_lo
	s_cbranch_execz .LBB76_5
; %bb.4:
	v_lshlrev_b32_e32 v2, 2, v0
	global_load_b32 v2, v2, s[12:13] offset:512
.LBB76_5:
	s_or_b32 exec_lo, exec_lo, s17
	v_or_b32_e32 v3, 0x100, v0
	s_delay_alu instid0(VALU_DEP_1)
	v_cmp_gt_u32_e32 vcc_lo, s16, v3
                                        ; implicit-def: $vgpr3
	s_and_saveexec_b32 s17, vcc_lo
	s_cbranch_execz .LBB76_7
; %bb.6:
	v_lshlrev_b32_e32 v3, 2, v0
	global_load_b32 v3, v3, s[12:13] offset:1024
.LBB76_7:
	s_or_b32 exec_lo, exec_lo, s17
	v_or_b32_e32 v4, 0x180, v0
	s_delay_alu instid0(VALU_DEP_1)
	v_cmp_gt_u32_e32 vcc_lo, s16, v4
                                        ; implicit-def: $vgpr4
	s_and_saveexec_b32 s17, vcc_lo
	s_cbranch_execz .LBB76_9
; %bb.8:
	v_lshlrev_b32_e32 v4, 2, v0
	global_load_b32 v4, v4, s[12:13] offset:1536
.LBB76_9:
	s_or_b32 exec_lo, exec_lo, s17
	v_or_b32_e32 v5, 0x200, v0
	s_delay_alu instid0(VALU_DEP_1)
	v_cmp_gt_u32_e32 vcc_lo, s16, v5
                                        ; implicit-def: $vgpr5
	s_and_saveexec_b32 s17, vcc_lo
	s_cbranch_execz .LBB76_11
; %bb.10:
	v_lshlrev_b32_e32 v5, 2, v0
	global_load_b32 v5, v5, s[12:13] offset:2048
.LBB76_11:
	s_or_b32 exec_lo, exec_lo, s17
	v_or_b32_e32 v6, 0x280, v0
	s_delay_alu instid0(VALU_DEP_1)
	v_cmp_gt_u32_e32 vcc_lo, s16, v6
                                        ; implicit-def: $vgpr6
	s_and_saveexec_b32 s17, vcc_lo
	s_cbranch_execz .LBB76_13
; %bb.12:
	v_lshlrev_b32_e32 v6, 2, v0
	global_load_b32 v6, v6, s[12:13] offset:2560
.LBB76_13:
	s_or_b32 exec_lo, exec_lo, s17
	v_or_b32_e32 v7, 0x300, v0
	s_delay_alu instid0(VALU_DEP_1)
	v_cmp_gt_u32_e32 vcc_lo, s16, v7
                                        ; implicit-def: $vgpr7
	s_and_saveexec_b32 s17, vcc_lo
	s_cbranch_execz .LBB76_15
; %bb.14:
	v_lshlrev_b32_e32 v7, 2, v0
	global_load_b32 v7, v7, s[12:13] offset:3072
.LBB76_15:
	s_or_b32 exec_lo, exec_lo, s17
	v_or_b32_e32 v8, 0x380, v0
	s_delay_alu instid0(VALU_DEP_1)
	v_cmp_gt_u32_e32 vcc_lo, s16, v8
                                        ; implicit-def: $vgpr8
	s_and_saveexec_b32 s17, vcc_lo
	s_cbranch_execz .LBB76_17
; %bb.16:
	v_lshlrev_b32_e32 v8, 2, v0
	global_load_b32 v8, v8, s[12:13] offset:3584
.LBB76_17:
	s_or_b32 exec_lo, exec_lo, s17
	v_or_b32_e32 v10, 0x400, v0
	s_mov_b32 s17, exec_lo
                                        ; implicit-def: $vgpr9
	s_delay_alu instid0(VALU_DEP_1)
	v_cmpx_gt_u32_e64 s16, v10
	s_cbranch_execz .LBB76_19
; %bb.18:
	v_lshlrev_b32_e32 v9, 2, v10
	global_load_b32 v9, v9, s[12:13]
.LBB76_19:
	s_or_b32 exec_lo, exec_lo, s17
	v_or_b32_e32 v11, 0x480, v0
	s_mov_b32 s17, exec_lo
                                        ; implicit-def: $vgpr10
	s_delay_alu instid0(VALU_DEP_1)
	v_cmpx_gt_u32_e64 s16, v11
	s_cbranch_execz .LBB76_21
; %bb.20:
	v_lshlrev_b32_e32 v10, 2, v11
	global_load_b32 v10, v10, s[12:13]
.LBB76_21:
	s_or_b32 exec_lo, exec_lo, s17
	v_or_b32_e32 v12, 0x500, v0
	s_mov_b32 s17, exec_lo
                                        ; implicit-def: $vgpr11
	s_delay_alu instid0(VALU_DEP_1)
	v_cmpx_gt_u32_e64 s16, v12
	s_cbranch_execz .LBB76_23
; %bb.22:
	v_lshlrev_b32_e32 v11, 2, v12
	global_load_b32 v11, v11, s[12:13]
.LBB76_23:
	s_or_b32 exec_lo, exec_lo, s17
	v_or_b32_e32 v13, 0x580, v0
	s_mov_b32 s17, exec_lo
                                        ; implicit-def: $vgpr12
	s_delay_alu instid0(VALU_DEP_1)
	v_cmpx_gt_u32_e64 s16, v13
	s_cbranch_execz .LBB76_25
; %bb.24:
	v_lshlrev_b32_e32 v12, 2, v13
	global_load_b32 v12, v12, s[12:13]
.LBB76_25:
	s_or_b32 exec_lo, exec_lo, s17
	v_or_b32_e32 v14, 0x600, v0
	s_mov_b32 s17, exec_lo
                                        ; implicit-def: $vgpr13
	s_delay_alu instid0(VALU_DEP_1)
	v_cmpx_gt_u32_e64 s16, v14
	s_cbranch_execz .LBB76_27
; %bb.26:
	v_lshlrev_b32_e32 v13, 2, v14
	global_load_b32 v13, v13, s[12:13]
.LBB76_27:
	s_or_b32 exec_lo, exec_lo, s17
	v_or_b32_e32 v15, 0x680, v0
	s_mov_b32 s17, exec_lo
                                        ; implicit-def: $vgpr14
	s_delay_alu instid0(VALU_DEP_1)
	v_cmpx_gt_u32_e64 s16, v15
	s_cbranch_execz .LBB76_29
; %bb.28:
	v_lshlrev_b32_e32 v14, 2, v15
	global_load_b32 v14, v14, s[12:13]
.LBB76_29:
	s_or_b32 exec_lo, exec_lo, s17
	v_or_b32_e32 v16, 0x700, v0
	s_mov_b32 s17, exec_lo
                                        ; implicit-def: $vgpr15
	s_delay_alu instid0(VALU_DEP_1)
	v_cmpx_gt_u32_e64 s16, v16
	s_cbranch_execz .LBB76_31
; %bb.30:
	v_lshlrev_b32_e32 v15, 2, v16
	global_load_b32 v15, v15, s[12:13]
.LBB76_31:
	s_or_b32 exec_lo, exec_lo, s17
	v_or_b32_e32 v17, 0x780, v0
	s_mov_b32 s17, exec_lo
                                        ; implicit-def: $vgpr16
	s_delay_alu instid0(VALU_DEP_1)
	v_cmpx_gt_u32_e64 s16, v17
	s_cbranch_execz .LBB76_33
; %bb.32:
	v_lshlrev_b32_e32 v16, 2, v17
	global_load_b32 v16, v16, s[12:13]
.LBB76_33:
	s_or_b32 exec_lo, exec_lo, s17
	v_or_b32_e32 v18, 0x800, v0
	s_mov_b32 s17, exec_lo
                                        ; implicit-def: $vgpr17
	s_delay_alu instid0(VALU_DEP_1)
	v_cmpx_gt_u32_e64 s16, v18
	s_cbranch_execz .LBB76_35
; %bb.34:
	v_lshlrev_b32_e32 v17, 2, v18
	global_load_b32 v17, v17, s[12:13]
.LBB76_35:
	s_or_b32 exec_lo, exec_lo, s17
	v_or_b32_e32 v19, 0x880, v0
	s_mov_b32 s17, exec_lo
                                        ; implicit-def: $vgpr18
	s_delay_alu instid0(VALU_DEP_1)
	v_cmpx_gt_u32_e64 s16, v19
	s_cbranch_execz .LBB76_37
; %bb.36:
	v_lshlrev_b32_e32 v18, 2, v19
	global_load_b32 v18, v18, s[12:13]
.LBB76_37:
	s_or_b32 exec_lo, exec_lo, s17
	v_or_b32_e32 v20, 0x900, v0
	s_mov_b32 s17, exec_lo
                                        ; implicit-def: $vgpr19
	s_delay_alu instid0(VALU_DEP_1)
	v_cmpx_gt_u32_e64 s16, v20
	s_cbranch_execz .LBB76_39
; %bb.38:
	v_lshlrev_b32_e32 v19, 2, v20
	global_load_b32 v19, v19, s[12:13]
.LBB76_39:
	s_or_b32 exec_lo, exec_lo, s17
	v_or_b32_e32 v21, 0x980, v0
	s_mov_b32 s17, exec_lo
                                        ; implicit-def: $vgpr20
	s_delay_alu instid0(VALU_DEP_1)
	v_cmpx_gt_u32_e64 s16, v21
	s_cbranch_execz .LBB76_41
; %bb.40:
	v_lshlrev_b32_e32 v20, 2, v21
	global_load_b32 v20, v20, s[12:13]
.LBB76_41:
	s_or_b32 exec_lo, exec_lo, s17
	v_or_b32_e32 v22, 0xa00, v0
	s_mov_b32 s17, exec_lo
                                        ; implicit-def: $vgpr21
	s_delay_alu instid0(VALU_DEP_1)
	v_cmpx_gt_u32_e64 s16, v22
	s_cbranch_execz .LBB76_43
; %bb.42:
	v_lshlrev_b32_e32 v21, 2, v22
	global_load_b32 v21, v21, s[12:13]
.LBB76_43:
	s_or_b32 exec_lo, exec_lo, s17
	v_or_b32_e32 v23, 0xa80, v0
	s_mov_b32 s17, exec_lo
                                        ; implicit-def: $vgpr22
	s_delay_alu instid0(VALU_DEP_1)
	v_cmpx_gt_u32_e64 s16, v23
	s_cbranch_execz .LBB76_45
; %bb.44:
	v_lshlrev_b32_e32 v22, 2, v23
	global_load_b32 v22, v22, s[12:13]
.LBB76_45:
	s_or_b32 exec_lo, exec_lo, s17
	v_or_b32_e32 v24, 0xb00, v0
	s_mov_b32 s17, exec_lo
                                        ; implicit-def: $vgpr23
	s_delay_alu instid0(VALU_DEP_1)
	v_cmpx_gt_u32_e64 s16, v24
	s_cbranch_execz .LBB76_47
; %bb.46:
	v_lshlrev_b32_e32 v23, 2, v24
	global_load_b32 v23, v23, s[12:13]
.LBB76_47:
	s_or_b32 exec_lo, exec_lo, s17
	v_or_b32_e32 v25, 0xb80, v0
	s_mov_b32 s17, exec_lo
                                        ; implicit-def: $vgpr24
	s_delay_alu instid0(VALU_DEP_1)
	v_cmpx_gt_u32_e64 s16, v25
	s_cbranch_execz .LBB76_49
; %bb.48:
	v_lshlrev_b32_e32 v24, 2, v25
	global_load_b32 v24, v24, s[12:13]
.LBB76_49:
	s_or_b32 exec_lo, exec_lo, s17
	v_or_b32_e32 v26, 0xc00, v0
	s_mov_b32 s17, exec_lo
                                        ; implicit-def: $vgpr25
	s_delay_alu instid0(VALU_DEP_1)
	v_cmpx_gt_u32_e64 s16, v26
	s_cbranch_execz .LBB76_51
; %bb.50:
	v_lshlrev_b32_e32 v25, 2, v26
	global_load_b32 v25, v25, s[12:13]
.LBB76_51:
	s_or_b32 exec_lo, exec_lo, s17
	v_or_b32_e32 v27, 0xc80, v0
	s_mov_b32 s17, exec_lo
                                        ; implicit-def: $vgpr26
	s_delay_alu instid0(VALU_DEP_1)
	v_cmpx_gt_u32_e64 s16, v27
	s_cbranch_execz .LBB76_53
; %bb.52:
	v_lshlrev_b32_e32 v26, 2, v27
	global_load_b32 v26, v26, s[12:13]
.LBB76_53:
	s_or_b32 exec_lo, exec_lo, s17
	v_or_b32_e32 v28, 0xd00, v0
	s_mov_b32 s17, exec_lo
                                        ; implicit-def: $vgpr27
	s_delay_alu instid0(VALU_DEP_1)
	v_cmpx_gt_u32_e64 s16, v28
	s_cbranch_execz .LBB76_55
; %bb.54:
	v_lshlrev_b32_e32 v27, 2, v28
	global_load_b32 v27, v27, s[12:13]
.LBB76_55:
	s_or_b32 exec_lo, exec_lo, s17
	v_or_b32_e32 v29, 0xd80, v0
	s_mov_b32 s17, exec_lo
                                        ; implicit-def: $vgpr28
	s_delay_alu instid0(VALU_DEP_1)
	v_cmpx_gt_u32_e64 s16, v29
	s_cbranch_execz .LBB76_57
; %bb.56:
	v_lshlrev_b32_e32 v28, 2, v29
	global_load_b32 v28, v28, s[12:13]
.LBB76_57:
	s_or_b32 exec_lo, exec_lo, s17
	v_or_b32_e32 v30, 0xe00, v0
                                        ; implicit-def: $vgpr29
	s_delay_alu instid0(VALU_DEP_1)
	v_cmp_gt_u32_e32 vcc_lo, s16, v30
	s_and_saveexec_b32 s16, vcc_lo
	s_cbranch_execz .LBB76_59
; %bb.58:
	v_lshlrev_b32_e32 v29, 2, v30
	global_load_b32 v29, v29, s[12:13]
.LBB76_59:
	s_or_b32 exec_lo, exec_lo, s16
	v_lshlrev_b32_e32 v30, 2, v0
	s_mov_b32 s12, 0
	s_waitcnt vmcnt(0)
	ds_store_2addr_stride64_b32 v30, v1, v2 offset1:2
	ds_store_2addr_stride64_b32 v30, v3, v4 offset0:4 offset1:6
	ds_store_2addr_stride64_b32 v30, v5, v6 offset0:8 offset1:10
	;; [unrolled: 1-line block ×13, first 2 shown]
	ds_store_b32 v30, v29 offset:14336
	s_waitcnt lgkmcnt(0)
	s_barrier
.LBB76_60:
	v_lshlrev_b32_e32 v31, 2, v0
	s_and_b32 vcc_lo, exec_lo, s12
	s_cbranch_vccz .LBB76_62
; %bb.61:
	s_mov_b32 s31, 0
	s_delay_alu instid0(SALU_CYCLE_1) | instskip(NEXT) | instid1(SALU_CYCLE_1)
	s_lshl_b64 s[12:13], s[30:31], 2
	s_add_u32 s12, s14, s12
	s_addc_u32 s13, s15, s13
	v_add_co_u32 v7, s14, s12, v31
	s_delay_alu instid0(VALU_DEP_1)
	v_add_co_ci_u32_e64 v8, null, s13, 0, s14
	s_clause 0x6
	global_load_b32 v9, v31, s[12:13] offset:512
	global_load_b32 v10, v31, s[12:13] offset:1024
	;; [unrolled: 1-line block ×7, first 2 shown]
	v_add_co_u32 v1, vcc_lo, v7, 0x2000
	v_add_co_ci_u32_e32 v2, vcc_lo, 0, v8, vcc_lo
	v_add_co_u32 v3, vcc_lo, 0x1000, v7
	v_add_co_ci_u32_e32 v4, vcc_lo, 0, v8, vcc_lo
	;; [unrolled: 2-line block ×3, first 2 shown]
	s_clause 0xa
	global_load_b32 v16, v[1:2], off offset:-4096
	global_load_b32 v17, v31, s[12:13]
	global_load_b32 v18, v[1:2], off
	global_load_b32 v19, v[3:4], off offset:512
	global_load_b32 v20, v[3:4], off offset:1024
	global_load_b32 v21, v[3:4], off offset:1536
	global_load_b32 v22, v[3:4], off offset:2048
	global_load_b32 v23, v[3:4], off offset:2560
	global_load_b32 v24, v[3:4], off offset:3072
	global_load_b32 v3, v[3:4], off offset:3584
	global_load_b32 v4, v[5:6], off offset:512
	v_add_co_u32 v1, vcc_lo, 0x3000, v7
	v_add_co_ci_u32_e32 v2, vcc_lo, 0, v8, vcc_lo
	s_clause 0xa
	global_load_b32 v7, v[5:6], off offset:1024
	global_load_b32 v8, v[5:6], off offset:1536
	;; [unrolled: 1-line block ×6, first 2 shown]
	global_load_b32 v6, v[1:2], off
	global_load_b32 v28, v[1:2], off offset:512
	global_load_b32 v29, v[1:2], off offset:1024
	;; [unrolled: 1-line block ×4, first 2 shown]
	s_waitcnt vmcnt(20)
	ds_store_2addr_stride64_b32 v31, v17, v9 offset1:2
	ds_store_2addr_stride64_b32 v31, v10, v11 offset0:4 offset1:6
	ds_store_2addr_stride64_b32 v31, v12, v13 offset0:8 offset1:10
	ds_store_2addr_stride64_b32 v31, v14, v15 offset0:12 offset1:14
	s_waitcnt vmcnt(18)
	ds_store_2addr_stride64_b32 v31, v16, v19 offset0:16 offset1:18
	s_waitcnt vmcnt(16)
	ds_store_2addr_stride64_b32 v31, v20, v21 offset0:20 offset1:22
	;; [unrolled: 2-line block ×10, first 2 shown]
	s_waitcnt vmcnt(0)
	ds_store_b32 v31, v1 offset:14336
	s_waitcnt lgkmcnt(0)
	s_barrier
.LBB76_62:
	v_mul_u32_u24_e32 v1, 29, v0
	buffer_gl0_inv
	s_cmp_eq_u64 s[6:7], 0
	v_lshlrev_b32_e32 v27, 2, v1
	ds_load_b32 v29, v27 offset:112
	ds_load_2addr_b32 v[19:20], v27 offset0:26 offset1:27
	ds_load_2addr_b32 v[17:18], v27 offset0:24 offset1:25
	ds_load_2addr_b32 v[1:2], v27 offset1:1
	ds_load_2addr_b32 v[3:4], v27 offset0:2 offset1:3
	ds_load_2addr_b32 v[5:6], v27 offset0:4 offset1:5
	;; [unrolled: 1-line block ×11, first 2 shown]
	s_waitcnt lgkmcnt(0)
	s_barrier
	buffer_gl0_inv
	s_cbranch_scc1 .LBB76_67
; %bb.63:
	s_lshl_b64 s[2:3], s[2:3], 2
	s_delay_alu instid0(SALU_CYCLE_1) | instskip(SKIP_2) | instid1(SALU_CYCLE_1)
	s_add_u32 s2, s0, s2
	s_addc_u32 s3, s1, s3
	s_lshl_b64 s[0:1], s[8:9], 2
	s_add_u32 s0, s2, s0
	s_addc_u32 s1, s3, s1
	s_add_u32 s0, s0, -4
	s_addc_u32 s1, s1, -1
	s_cmp_eq_u64 s[6:7], s[10:11]
	s_load_b32 s0, s[0:1], 0x0
	s_cbranch_scc1 .LBB76_68
; %bb.64:
	s_waitcnt lgkmcnt(0)
	v_mov_b32_e32 v30, s0
	s_mov_b32 s1, 0
	s_mov_b32 s2, exec_lo
	ds_store_b32 v31, v29
	s_waitcnt lgkmcnt(0)
	s_barrier
	buffer_gl0_inv
	v_cmpx_ne_u32_e32 0, v0
	s_cbranch_execz .LBB76_66
; %bb.65:
	v_add_nc_u32_e32 v30, -4, v31
	ds_load_b32 v30, v30
.LBB76_66:
	s_or_b32 exec_lo, exec_lo, s2
	v_dual_sub_f32 v32, v29, v20 :: v_dual_sub_f32 v33, v20, v19
	v_dual_sub_f32 v34, v19, v18 :: v_dual_sub_f32 v35, v18, v17
	;; [unrolled: 1-line block ×14, first 2 shown]
	s_waitcnt lgkmcnt(0)
	v_sub_f32_e32 v60, v1, v30
	s_and_b32 vcc_lo, exec_lo, s1
	s_cbranch_vccnz .LBB76_69
	s_branch .LBB76_72
.LBB76_67:
                                        ; implicit-def: $vgpr60
                                        ; implicit-def: $vgpr59
                                        ; implicit-def: $vgpr58
                                        ; implicit-def: $vgpr57
                                        ; implicit-def: $vgpr56
                                        ; implicit-def: $vgpr55
                                        ; implicit-def: $vgpr54
                                        ; implicit-def: $vgpr53
                                        ; implicit-def: $vgpr52
                                        ; implicit-def: $vgpr51
                                        ; implicit-def: $vgpr50
                                        ; implicit-def: $vgpr49
                                        ; implicit-def: $vgpr48
                                        ; implicit-def: $vgpr47
                                        ; implicit-def: $vgpr46
                                        ; implicit-def: $vgpr45
                                        ; implicit-def: $vgpr44
                                        ; implicit-def: $vgpr43
                                        ; implicit-def: $vgpr42
                                        ; implicit-def: $vgpr41
                                        ; implicit-def: $vgpr40
                                        ; implicit-def: $vgpr39
                                        ; implicit-def: $vgpr38
                                        ; implicit-def: $vgpr37
                                        ; implicit-def: $vgpr36
                                        ; implicit-def: $vgpr35
                                        ; implicit-def: $vgpr34
                                        ; implicit-def: $vgpr33
                                        ; implicit-def: $vgpr32
	s_branch .LBB76_73
.LBB76_68:
                                        ; implicit-def: $vgpr60
                                        ; implicit-def: $vgpr59
                                        ; implicit-def: $vgpr58
                                        ; implicit-def: $vgpr57
                                        ; implicit-def: $vgpr56
                                        ; implicit-def: $vgpr55
                                        ; implicit-def: $vgpr54
                                        ; implicit-def: $vgpr53
                                        ; implicit-def: $vgpr52
                                        ; implicit-def: $vgpr51
                                        ; implicit-def: $vgpr50
                                        ; implicit-def: $vgpr49
                                        ; implicit-def: $vgpr48
                                        ; implicit-def: $vgpr47
                                        ; implicit-def: $vgpr46
                                        ; implicit-def: $vgpr45
                                        ; implicit-def: $vgpr44
                                        ; implicit-def: $vgpr43
                                        ; implicit-def: $vgpr42
                                        ; implicit-def: $vgpr41
                                        ; implicit-def: $vgpr40
                                        ; implicit-def: $vgpr39
                                        ; implicit-def: $vgpr38
                                        ; implicit-def: $vgpr37
                                        ; implicit-def: $vgpr36
                                        ; implicit-def: $vgpr35
                                        ; implicit-def: $vgpr34
                                        ; implicit-def: $vgpr33
                                        ; implicit-def: $vgpr32
	s_cbranch_execz .LBB76_72
.LBB76_69:
	v_mul_u32_u24_e32 v30, 29, v0
	s_waitcnt lgkmcnt(0)
	v_mov_b32_e32 v58, s0
	s_mov_b32 s0, exec_lo
	ds_store_b32 v31, v29
	s_waitcnt lgkmcnt(0)
	s_barrier
	buffer_gl0_inv
	v_cmpx_ne_u32_e32 0, v0
	s_cbranch_execz .LBB76_71
; %bb.70:
	v_add_nc_u32_e32 v32, -4, v31
	ds_load_b32 v58, v32
.LBB76_71:
	s_or_b32 exec_lo, exec_lo, s0
	v_dual_sub_f32 v33, v29, v20 :: v_dual_add_nc_u32 v32, 28, v30
	s_mul_i32 s0, s6, 0xfffff180
	v_dual_sub_f32 v35, v20, v19 :: v_dual_add_nc_u32 v34, 27, v30
	s_add_i32 s0, s0, s42
	v_dual_sub_f32 v39, v17, v28 :: v_dual_add_nc_u32 v36, 25, v30
	v_cmp_gt_u32_e32 vcc_lo, s0, v32
	v_dual_sub_f32 v40, v27, v26 :: v_dual_sub_f32 v37, v18, v17
	v_dual_sub_f32 v42, v26, v25 :: v_dual_add_nc_u32 v41, 21, v30
	v_cndmask_b32_e32 v32, v29, v33, vcc_lo
	v_cmp_gt_u32_e32 vcc_lo, s0, v34
	v_add_nc_u32_e32 v34, 26, v30
	v_dual_sub_f32 v48, v16, v15 :: v_dual_add_nc_u32 v47, 15, v30
	v_dual_cndmask_b32 v33, v20, v35 :: v_dual_add_nc_u32 v44, 18, v30
	v_sub_f32_e32 v35, v19, v18
	s_delay_alu instid0(VALU_DEP_4)
	v_cmp_gt_u32_e32 vcc_lo, s0, v34
	v_sub_f32_e32 v45, v23, v22
	v_sub_f32_e32 v52, v11, v10
	v_dual_sub_f32 v54, v10, v9 :: v_dual_add_nc_u32 v53, 9, v30
	v_cndmask_b32_e32 v34, v19, v35, vcc_lo
	v_cmp_gt_u32_e32 vcc_lo, s0, v36
	v_add_nc_u32_e32 v38, 24, v30
	v_dual_sub_f32 v59, v5, v4 :: v_dual_add_nc_u32 v56, 6, v30
	v_sub_f32_e32 v57, v7, v6
	v_cndmask_b32_e32 v35, v18, v37, vcc_lo
	s_delay_alu instid0(VALU_DEP_4) | instskip(SKIP_3) | instid1(VALU_DEP_3)
	v_cmp_gt_u32_e32 vcc_lo, s0, v38
	v_dual_sub_f32 v38, v28, v27 :: v_dual_add_nc_u32 v37, 23, v30
	v_dual_sub_f32 v61, v4, v3 :: v_dual_add_nc_u32 v60, 3, v30
	v_dual_cndmask_b32 v36, v17, v39 :: v_dual_add_nc_u32 v39, 22, v30
	v_cmp_gt_u32_e32 vcc_lo, s0, v37
	v_sub_f32_e32 v43, v24, v23
	s_waitcnt lgkmcnt(0)
	v_sub_f32_e32 v63, v1, v58
	v_dual_sub_f32 v46, v21, v16 :: v_dual_sub_f32 v49, v14, v13
	v_cndmask_b32_e32 v37, v28, v38, vcc_lo
	v_cmp_gt_u32_e32 vcc_lo, s0, v39
	v_sub_f32_e32 v51, v13, v12
	v_dual_sub_f32 v55, v8, v7 :: v_dual_sub_f32 v62, v2, v1
	v_cndmask_b32_e32 v38, v27, v40, vcc_lo
	v_cmp_gt_u32_e32 vcc_lo, s0, v41
	v_dual_sub_f32 v41, v25, v24 :: v_dual_add_nc_u32 v40, 20, v30
	v_cndmask_b32_e32 v39, v26, v42, vcc_lo
	v_add_nc_u32_e32 v42, 19, v30
	s_delay_alu instid0(VALU_DEP_3) | instskip(NEXT) | instid1(VALU_DEP_4)
	v_cmp_gt_u32_e32 vcc_lo, s0, v40
	v_cndmask_b32_e32 v40, v25, v41, vcc_lo
	s_delay_alu instid0(VALU_DEP_3) | instskip(SKIP_4) | instid1(VALU_DEP_2)
	v_cmp_gt_u32_e32 vcc_lo, s0, v42
	v_cndmask_b32_e32 v41, v24, v43, vcc_lo
	v_cmp_gt_u32_e32 vcc_lo, s0, v44
	v_dual_sub_f32 v44, v22, v21 :: v_dual_add_nc_u32 v43, 17, v30
	v_dual_cndmask_b32 v42, v23, v45 :: v_dual_add_nc_u32 v45, 16, v30
	v_cmp_gt_u32_e32 vcc_lo, s0, v43
	s_delay_alu instid0(VALU_DEP_3) | instskip(NEXT) | instid1(VALU_DEP_3)
	v_cndmask_b32_e32 v43, v22, v44, vcc_lo
	v_cmp_gt_u32_e32 vcc_lo, s0, v45
	v_cndmask_b32_e32 v44, v21, v46, vcc_lo
	v_cmp_gt_u32_e32 vcc_lo, s0, v47
	v_add_nc_u32_e32 v46, 14, v30
	v_sub_f32_e32 v47, v15, v14
	v_dual_cndmask_b32 v45, v16, v48 :: v_dual_add_nc_u32 v48, 13, v30
	s_delay_alu instid0(VALU_DEP_3) | instskip(NEXT) | instid1(VALU_DEP_3)
	v_cmp_gt_u32_e32 vcc_lo, s0, v46
	v_cndmask_b32_e32 v46, v15, v47, vcc_lo
	s_delay_alu instid0(VALU_DEP_3) | instskip(SKIP_1) | instid1(VALU_DEP_1)
	v_cmp_gt_u32_e32 vcc_lo, s0, v48
	v_dual_cndmask_b32 v47, v14, v49 :: v_dual_add_nc_u32 v50, 12, v30
	v_cmp_gt_u32_e32 vcc_lo, s0, v50
	v_dual_sub_f32 v50, v12, v11 :: v_dual_add_nc_u32 v49, 11, v30
	v_dual_cndmask_b32 v48, v13, v51 :: v_dual_add_nc_u32 v51, 10, v30
	s_delay_alu instid0(VALU_DEP_2) | instskip(NEXT) | instid1(VALU_DEP_3)
	v_cmp_gt_u32_e32 vcc_lo, s0, v49
	v_cndmask_b32_e32 v49, v12, v50, vcc_lo
	s_delay_alu instid0(VALU_DEP_3)
	v_cmp_gt_u32_e32 vcc_lo, s0, v51
	v_cndmask_b32_e32 v50, v11, v52, vcc_lo
	v_cmp_gt_u32_e32 vcc_lo, s0, v53
	v_dual_sub_f32 v53, v9, v8 :: v_dual_add_nc_u32 v52, 8, v30
	v_cndmask_b32_e32 v51, v10, v54, vcc_lo
	v_add_nc_u32_e32 v54, 7, v30
	s_delay_alu instid0(VALU_DEP_3) | instskip(NEXT) | instid1(VALU_DEP_4)
	v_cmp_gt_u32_e32 vcc_lo, s0, v52
	v_cndmask_b32_e32 v52, v9, v53, vcc_lo
	s_delay_alu instid0(VALU_DEP_3) | instskip(SKIP_4) | instid1(VALU_DEP_2)
	v_cmp_gt_u32_e32 vcc_lo, s0, v54
	v_cndmask_b32_e32 v53, v8, v55, vcc_lo
	v_cmp_gt_u32_e32 vcc_lo, s0, v56
	v_dual_sub_f32 v56, v6, v5 :: v_dual_add_nc_u32 v55, 5, v30
	v_dual_cndmask_b32 v54, v7, v57 :: v_dual_add_nc_u32 v57, 4, v30
	v_cmp_gt_u32_e32 vcc_lo, s0, v55
	s_delay_alu instid0(VALU_DEP_3) | instskip(NEXT) | instid1(VALU_DEP_3)
	v_cndmask_b32_e32 v55, v6, v56, vcc_lo
	v_cmp_gt_u32_e32 vcc_lo, s0, v57
	v_cndmask_b32_e32 v56, v5, v59, vcc_lo
	v_cmp_gt_u32_e32 vcc_lo, s0, v60
	v_sub_f32_e32 v60, v3, v2
	v_add_nc_u32_e32 v59, 2, v30
	v_cndmask_b32_e32 v57, v4, v61, vcc_lo
	v_add_nc_u32_e32 v61, 1, v30
	s_delay_alu instid0(VALU_DEP_3) | instskip(SKIP_1) | instid1(VALU_DEP_3)
	v_cmp_gt_u32_e32 vcc_lo, s0, v59
	v_cndmask_b32_e32 v58, v3, v60, vcc_lo
	v_cmp_gt_u32_e32 vcc_lo, s0, v61
	v_cndmask_b32_e32 v59, v2, v62, vcc_lo
	;; [unrolled: 2-line block ×3, first 2 shown]
.LBB76_72:
	s_waitcnt lgkmcnt(0)
	s_cbranch_execnz .LBB76_81
.LBB76_73:
	v_dual_sub_f32 v32, v29, v20 :: v_dual_sub_f32 v33, v20, v19
	v_dual_sub_f32 v34, v19, v18 :: v_dual_sub_f32 v35, v18, v17
	v_dual_sub_f32 v36, v17, v28 :: v_dual_sub_f32 v37, v28, v27
	v_dual_sub_f32 v38, v27, v26 :: v_dual_sub_f32 v39, v26, v25
	v_dual_sub_f32 v40, v25, v24 :: v_dual_sub_f32 v41, v24, v23
	v_dual_sub_f32 v42, v23, v22 :: v_dual_sub_f32 v43, v22, v21
	v_dual_sub_f32 v44, v21, v16 :: v_dual_sub_f32 v45, v16, v15
	v_dual_sub_f32 v46, v15, v14 :: v_dual_sub_f32 v47, v14, v13
	v_dual_sub_f32 v48, v13, v12 :: v_dual_sub_f32 v49, v12, v11
	v_dual_sub_f32 v50, v11, v10 :: v_dual_sub_f32 v51, v10, v9
	v_dual_sub_f32 v52, v9, v8 :: v_dual_sub_f32 v53, v8, v7
	v_dual_sub_f32 v54, v7, v6 :: v_dual_sub_f32 v55, v6, v5
	v_dual_sub_f32 v56, v5, v4 :: v_dual_sub_f32 v57, v4, v3
	v_dual_sub_f32 v58, v3, v2 :: v_dual_sub_f32 v59, v2, v1
	v_cmp_ne_u32_e32 vcc_lo, 0, v0
	s_cmp_eq_u64 s[4:5], 1
	s_cbranch_scc1 .LBB76_77
; %bb.74:
	v_mov_b32_e32 v60, v1
	s_mov_b32 s0, 0
	ds_store_b32 v31, v29
	s_waitcnt lgkmcnt(0)
	s_barrier
	buffer_gl0_inv
	s_and_saveexec_b32 s1, vcc_lo
	s_cbranch_execz .LBB76_76
; %bb.75:
	v_add_nc_u32_e32 v30, -4, v31
	ds_load_b32 v30, v30
	s_waitcnt lgkmcnt(0)
	v_sub_f32_e32 v60, v1, v30
.LBB76_76:
	s_or_b32 exec_lo, exec_lo, s1
	s_delay_alu instid0(SALU_CYCLE_1)
	s_and_not1_b32 vcc_lo, exec_lo, s0
	s_cbranch_vccz .LBB76_78
	s_branch .LBB76_81
.LBB76_77:
                                        ; implicit-def: $vgpr60
.LBB76_78:
	v_mad_u32_u24 v30, v0, 29, 28
	v_mad_u32_u24 v61, v0, 29, 27
	;; [unrolled: 1-line block ×4, first 2 shown]
	v_mul_u32_u24_e32 v60, 29, v0
	v_cmp_gt_u32_e32 vcc_lo, s42, v30
	v_mad_u32_u24 v30, v0, 29, 25
	v_cmp_gt_u32_e64 s0, s42, v61
	v_mad_u32_u24 v61, v0, 29, 23
	v_cmp_gt_u32_e64 s1, s42, v62
	;; [unrolled: 2-line block ×17, first 2 shown]
	v_cmp_gt_u32_e64 s17, s42, v61
	v_mad_u32_u24 v61, v0, 29, 7
	v_mad_u32_u24 v62, v0, 29, 6
	v_cmp_gt_u32_e64 s19, s42, v30
	v_mad_u32_u24 v30, v0, 29, 5
	v_cmp_gt_u32_e64 s18, s42, v63
	;; [unrolled: 2-line block ×3, first 2 shown]
	v_cmp_gt_u32_e64 s21, s42, v62
	v_mad_u32_u24 v61, v0, 29, 3
	v_cmp_gt_u32_e64 s22, s42, v30
	v_mad_u32_u24 v30, v0, 29, 2
	v_mad_u32_u24 v62, v0, 29, 1
	v_cmp_ne_u32_e64 s27, 0, v0
	v_cmp_gt_u32_e64 s28, s42, v60
	v_cmp_gt_u32_e64 s23, s42, v63
	;; [unrolled: 1-line block ×5, first 2 shown]
	s_and_b32 s28, s27, s28
	ds_store_b32 v31, v29
	s_waitcnt lgkmcnt(0)
	s_barrier
	buffer_gl0_inv
	s_and_saveexec_b32 s27, s28
	s_cbranch_execz .LBB76_80
; %bb.79:
	v_add_nc_u32_e32 v30, -4, v31
	ds_load_b32 v30, v30
	s_waitcnt lgkmcnt(0)
	v_sub_f32_e32 v1, v1, v30
.LBB76_80:
	s_or_b32 exec_lo, exec_lo, s27
	v_cndmask_b32_e32 v32, v29, v32, vcc_lo
	v_cndmask_b32_e64 v33, v20, v33, s0
	v_cndmask_b32_e64 v34, v19, v34, s1
	v_cndmask_b32_e64 v35, v18, v35, s2
	v_cndmask_b32_e64 v36, v17, v36, s3
	v_cndmask_b32_e64 v37, v28, v37, s4
	v_cndmask_b32_e64 v38, v27, v38, s5
	v_cndmask_b32_e64 v39, v26, v39, s6
	v_cndmask_b32_e64 v40, v25, v40, s7
	v_cndmask_b32_e64 v41, v24, v41, s8
	v_cndmask_b32_e64 v42, v23, v42, s9
	v_cndmask_b32_e64 v43, v22, v43, s10
	v_cndmask_b32_e64 v44, v21, v44, s11
	v_cndmask_b32_e64 v45, v16, v45, s12
	v_cndmask_b32_e64 v46, v15, v46, s13
	v_cndmask_b32_e64 v47, v14, v47, s14
	v_cndmask_b32_e64 v48, v13, v48, s15
	v_cndmask_b32_e64 v49, v12, v49, s16
	v_cndmask_b32_e64 v50, v11, v50, s17
	v_cndmask_b32_e64 v51, v10, v51, s18
	v_cndmask_b32_e64 v52, v9, v52, s19
	v_cndmask_b32_e64 v53, v8, v53, s20
	v_cndmask_b32_e64 v54, v7, v54, s21
	v_cndmask_b32_e64 v55, v6, v55, s22
	v_cndmask_b32_e64 v56, v5, v56, s23
	v_cndmask_b32_e64 v57, v4, v57, s24
	v_cndmask_b32_e64 v58, v3, v58, s25
	v_cndmask_b32_e64 v59, v2, v59, s26
	v_mov_b32_e32 v60, v1
.LBB76_81:
	v_mul_u32_u24_e32 v61, 0x74, v0
	v_mul_i32_i24_e32 v62, 0xffffff90, v0
	s_add_u32 s1, s40, s34
	s_addc_u32 s0, s41, s35
	s_and_b32 vcc_lo, exec_lo, s33
	s_barrier
	buffer_gl0_inv
	s_cbranch_vccz .LBB76_139
; %bb.82:
	v_mad_u32_u24 v1, 0x74, v0, v62
	ds_store_2addr_b32 v61, v60, v59 offset1:1
	ds_store_2addr_b32 v61, v58, v57 offset0:2 offset1:3
	ds_store_2addr_b32 v61, v56, v55 offset0:4 offset1:5
	;; [unrolled: 1-line block ×13, first 2 shown]
	ds_store_b32 v61, v32 offset:112
	s_waitcnt lgkmcnt(0)
	s_barrier
	buffer_gl0_inv
	ds_load_2addr_stride64_b32 v[29:30], v1 offset0:2 offset1:4
	ds_load_2addr_stride64_b32 v[27:28], v1 offset0:6 offset1:8
	;; [unrolled: 1-line block ×14, first 2 shown]
	s_mov_b32 s31, 0
	s_add_i32 s29, s29, s42
	s_lshl_b64 s[2:3], s[30:31], 2
	s_delay_alu instid0(SALU_CYCLE_1) | instskip(SKIP_2) | instid1(VALU_DEP_1)
	s_add_u32 s2, s1, s2
	s_addc_u32 s3, s0, s3
	v_add_co_u32 v3, s2, s2, v31
	v_add_co_ci_u32_e64 v4, null, s3, 0, s2
	s_mov_b32 s2, exec_lo
	v_cmpx_gt_u32_e64 s29, v0
	s_cbranch_execz .LBB76_84
; %bb.83:
	v_add_nc_u32_e32 v63, v61, v62
	ds_load_b32 v63, v63
	s_waitcnt lgkmcnt(0)
	global_store_b32 v[3:4], v63, off
.LBB76_84:
	s_or_b32 exec_lo, exec_lo, s2
	v_or_b32_e32 v63, 0x80, v0
	s_mov_b32 s2, exec_lo
	s_delay_alu instid0(VALU_DEP_1)
	v_cmpx_gt_u32_e64 s29, v63
	s_cbranch_execz .LBB76_86
; %bb.85:
	s_waitcnt lgkmcnt(13)
	global_store_b32 v[3:4], v29, off offset:512
.LBB76_86:
	s_or_b32 exec_lo, exec_lo, s2
	s_waitcnt lgkmcnt(13)
	v_or_b32_e32 v29, 0x100, v0
	s_mov_b32 s2, exec_lo
	s_delay_alu instid0(VALU_DEP_1)
	v_cmpx_gt_u32_e64 s29, v29
	s_cbranch_execz .LBB76_88
; %bb.87:
	global_store_b32 v[3:4], v30, off offset:1024
.LBB76_88:
	s_or_b32 exec_lo, exec_lo, s2
	v_or_b32_e32 v29, 0x180, v0
	s_mov_b32 s2, exec_lo
	s_delay_alu instid0(VALU_DEP_1)
	v_cmpx_gt_u32_e64 s29, v29
	s_cbranch_execz .LBB76_90
; %bb.89:
	s_waitcnt lgkmcnt(12)
	global_store_b32 v[3:4], v27, off offset:1536
.LBB76_90:
	s_or_b32 exec_lo, exec_lo, s2
	s_waitcnt lgkmcnt(12)
	v_or_b32_e32 v27, 0x200, v0
	s_mov_b32 s2, exec_lo
	s_delay_alu instid0(VALU_DEP_1)
	v_cmpx_gt_u32_e64 s29, v27
	s_cbranch_execz .LBB76_92
; %bb.91:
	global_store_b32 v[3:4], v28, off offset:2048
.LBB76_92:
	;; [unrolled: 20-line block ×3, first 2 shown]
	s_or_b32 exec_lo, exec_lo, s2
	v_or_b32_e32 v25, 0x380, v0
	s_mov_b32 s2, exec_lo
	s_delay_alu instid0(VALU_DEP_1)
	v_cmpx_gt_u32_e64 s29, v25
	s_cbranch_execz .LBB76_98
; %bb.97:
	s_waitcnt lgkmcnt(10)
	global_store_b32 v[3:4], v23, off offset:3584
.LBB76_98:
	s_or_b32 exec_lo, exec_lo, s2
	s_waitcnt lgkmcnt(10)
	v_or_b32_e32 v23, 0x400, v0
	s_mov_b32 s2, exec_lo
	s_delay_alu instid0(VALU_DEP_1)
	v_cmpx_gt_u32_e64 s29, v23
	s_cbranch_execz .LBB76_100
; %bb.99:
	v_add_co_u32 v25, vcc_lo, 0x1000, v3
	v_add_co_ci_u32_e32 v26, vcc_lo, 0, v4, vcc_lo
	global_store_b32 v[25:26], v24, off
.LBB76_100:
	s_or_b32 exec_lo, exec_lo, s2
	v_or_b32_e32 v23, 0x480, v0
	s_mov_b32 s2, exec_lo
	s_delay_alu instid0(VALU_DEP_1)
	v_cmpx_gt_u32_e64 s29, v23
	s_cbranch_execz .LBB76_102
; %bb.101:
	v_add_co_u32 v23, vcc_lo, 0x1000, v3
	v_add_co_ci_u32_e32 v24, vcc_lo, 0, v4, vcc_lo
	s_waitcnt lgkmcnt(9)
	global_store_b32 v[23:24], v21, off offset:512
.LBB76_102:
	s_or_b32 exec_lo, exec_lo, s2
	s_waitcnt lgkmcnt(9)
	v_or_b32_e32 v21, 0x500, v0
	s_mov_b32 s2, exec_lo
	s_delay_alu instid0(VALU_DEP_1)
	v_cmpx_gt_u32_e64 s29, v21
	s_cbranch_execz .LBB76_104
; %bb.103:
	v_add_co_u32 v23, vcc_lo, 0x1000, v3
	v_add_co_ci_u32_e32 v24, vcc_lo, 0, v4, vcc_lo
	global_store_b32 v[23:24], v22, off offset:1024
.LBB76_104:
	s_or_b32 exec_lo, exec_lo, s2
	v_or_b32_e32 v21, 0x580, v0
	s_mov_b32 s2, exec_lo
	s_delay_alu instid0(VALU_DEP_1)
	v_cmpx_gt_u32_e64 s29, v21
	s_cbranch_execz .LBB76_106
; %bb.105:
	v_add_co_u32 v21, vcc_lo, 0x1000, v3
	v_add_co_ci_u32_e32 v22, vcc_lo, 0, v4, vcc_lo
	s_waitcnt lgkmcnt(8)
	global_store_b32 v[21:22], v19, off offset:1536
.LBB76_106:
	s_or_b32 exec_lo, exec_lo, s2
	s_waitcnt lgkmcnt(8)
	v_or_b32_e32 v19, 0x600, v0
	s_mov_b32 s2, exec_lo
	s_delay_alu instid0(VALU_DEP_1)
	v_cmpx_gt_u32_e64 s29, v19
	s_cbranch_execz .LBB76_108
; %bb.107:
	v_add_co_u32 v21, vcc_lo, 0x1000, v3
	v_add_co_ci_u32_e32 v22, vcc_lo, 0, v4, vcc_lo
	global_store_b32 v[21:22], v20, off offset:2048
.LBB76_108:
	;; [unrolled: 24-line block ×3, first 2 shown]
	s_or_b32 exec_lo, exec_lo, s2
	v_or_b32_e32 v17, 0x780, v0
	s_mov_b32 s2, exec_lo
	s_delay_alu instid0(VALU_DEP_1)
	v_cmpx_gt_u32_e64 s29, v17
	s_cbranch_execz .LBB76_114
; %bb.113:
	v_add_co_u32 v17, vcc_lo, 0x1000, v3
	v_add_co_ci_u32_e32 v18, vcc_lo, 0, v4, vcc_lo
	s_waitcnt lgkmcnt(6)
	global_store_b32 v[17:18], v15, off offset:3584
.LBB76_114:
	s_or_b32 exec_lo, exec_lo, s2
	s_waitcnt lgkmcnt(6)
	v_or_b32_e32 v15, 0x800, v0
	s_mov_b32 s2, exec_lo
	s_delay_alu instid0(VALU_DEP_1)
	v_cmpx_gt_u32_e64 s29, v15
	s_cbranch_execz .LBB76_116
; %bb.115:
	v_add_co_u32 v17, vcc_lo, 0x2000, v3
	v_add_co_ci_u32_e32 v18, vcc_lo, 0, v4, vcc_lo
	global_store_b32 v[17:18], v16, off
.LBB76_116:
	s_or_b32 exec_lo, exec_lo, s2
	v_or_b32_e32 v15, 0x880, v0
	s_mov_b32 s2, exec_lo
	s_delay_alu instid0(VALU_DEP_1)
	v_cmpx_gt_u32_e64 s29, v15
	s_cbranch_execz .LBB76_118
; %bb.117:
	v_add_co_u32 v15, vcc_lo, 0x2000, v3
	v_add_co_ci_u32_e32 v16, vcc_lo, 0, v4, vcc_lo
	s_waitcnt lgkmcnt(5)
	global_store_b32 v[15:16], v13, off offset:512
.LBB76_118:
	s_or_b32 exec_lo, exec_lo, s2
	s_waitcnt lgkmcnt(5)
	v_or_b32_e32 v13, 0x900, v0
	s_mov_b32 s2, exec_lo
	s_delay_alu instid0(VALU_DEP_1)
	v_cmpx_gt_u32_e64 s29, v13
	s_cbranch_execz .LBB76_120
; %bb.119:
	v_add_co_u32 v15, vcc_lo, 0x2000, v3
	v_add_co_ci_u32_e32 v16, vcc_lo, 0, v4, vcc_lo
	global_store_b32 v[15:16], v14, off offset:1024
.LBB76_120:
	s_or_b32 exec_lo, exec_lo, s2
	v_or_b32_e32 v13, 0x980, v0
	s_mov_b32 s2, exec_lo
	s_delay_alu instid0(VALU_DEP_1)
	v_cmpx_gt_u32_e64 s29, v13
	s_cbranch_execz .LBB76_122
; %bb.121:
	v_add_co_u32 v13, vcc_lo, 0x2000, v3
	v_add_co_ci_u32_e32 v14, vcc_lo, 0, v4, vcc_lo
	s_waitcnt lgkmcnt(4)
	global_store_b32 v[13:14], v11, off offset:1536
.LBB76_122:
	s_or_b32 exec_lo, exec_lo, s2
	s_waitcnt lgkmcnt(4)
	v_or_b32_e32 v11, 0xa00, v0
	s_mov_b32 s2, exec_lo
	s_delay_alu instid0(VALU_DEP_1)
	v_cmpx_gt_u32_e64 s29, v11
	s_cbranch_execz .LBB76_124
; %bb.123:
	v_add_co_u32 v13, vcc_lo, 0x2000, v3
	v_add_co_ci_u32_e32 v14, vcc_lo, 0, v4, vcc_lo
	global_store_b32 v[13:14], v12, off offset:2048
.LBB76_124:
	;; [unrolled: 24-line block ×3, first 2 shown]
	s_or_b32 exec_lo, exec_lo, s2
	v_or_b32_e32 v9, 0xb80, v0
	s_mov_b32 s2, exec_lo
	s_delay_alu instid0(VALU_DEP_1)
	v_cmpx_gt_u32_e64 s29, v9
	s_cbranch_execz .LBB76_130
; %bb.129:
	v_add_co_u32 v9, vcc_lo, 0x2000, v3
	v_add_co_ci_u32_e32 v10, vcc_lo, 0, v4, vcc_lo
	s_waitcnt lgkmcnt(2)
	global_store_b32 v[9:10], v7, off offset:3584
.LBB76_130:
	s_or_b32 exec_lo, exec_lo, s2
	s_waitcnt lgkmcnt(2)
	v_or_b32_e32 v7, 0xc00, v0
	s_mov_b32 s2, exec_lo
	s_delay_alu instid0(VALU_DEP_1)
	v_cmpx_gt_u32_e64 s29, v7
	s_cbranch_execz .LBB76_132
; %bb.131:
	v_add_co_u32 v9, vcc_lo, 0x3000, v3
	v_add_co_ci_u32_e32 v10, vcc_lo, 0, v4, vcc_lo
	global_store_b32 v[9:10], v8, off
.LBB76_132:
	s_or_b32 exec_lo, exec_lo, s2
	v_or_b32_e32 v7, 0xc80, v0
	s_mov_b32 s2, exec_lo
	s_delay_alu instid0(VALU_DEP_1)
	v_cmpx_gt_u32_e64 s29, v7
	s_cbranch_execz .LBB76_134
; %bb.133:
	v_add_co_u32 v7, vcc_lo, 0x3000, v3
	v_add_co_ci_u32_e32 v8, vcc_lo, 0, v4, vcc_lo
	s_waitcnt lgkmcnt(1)
	global_store_b32 v[7:8], v5, off offset:512
.LBB76_134:
	s_or_b32 exec_lo, exec_lo, s2
	s_waitcnt lgkmcnt(1)
	v_or_b32_e32 v5, 0xd00, v0
	s_mov_b32 s2, exec_lo
	s_delay_alu instid0(VALU_DEP_1)
	v_cmpx_gt_u32_e64 s29, v5
	s_cbranch_execz .LBB76_136
; %bb.135:
	v_add_co_u32 v7, vcc_lo, 0x3000, v3
	v_add_co_ci_u32_e32 v8, vcc_lo, 0, v4, vcc_lo
	global_store_b32 v[7:8], v6, off offset:1024
.LBB76_136:
	s_or_b32 exec_lo, exec_lo, s2
	v_or_b32_e32 v5, 0xd80, v0
	s_mov_b32 s2, exec_lo
	s_delay_alu instid0(VALU_DEP_1)
	v_cmpx_gt_u32_e64 s29, v5
	s_cbranch_execz .LBB76_138
; %bb.137:
	v_add_co_u32 v5, vcc_lo, 0x3000, v3
	v_add_co_ci_u32_e32 v6, vcc_lo, 0, v4, vcc_lo
	s_waitcnt lgkmcnt(0)
	global_store_b32 v[5:6], v1, off offset:1536
.LBB76_138:
	s_or_b32 exec_lo, exec_lo, s2
	s_waitcnt lgkmcnt(0)
	v_or_b32_e32 v1, 0xe00, v0
	s_delay_alu instid0(VALU_DEP_1)
	v_cmp_gt_u32_e64 s2, s29, v1
	s_branch .LBB76_141
.LBB76_139:
	s_mov_b32 s2, 0
                                        ; implicit-def: $vgpr2
                                        ; implicit-def: $vgpr3_vgpr4
	s_cbranch_execz .LBB76_141
; %bb.140:
	v_mad_u32_u24 v2, 0x74, v0, v62
	ds_store_2addr_b32 v61, v60, v59 offset1:1
	ds_store_2addr_b32 v61, v58, v57 offset0:2 offset1:3
	ds_store_2addr_b32 v61, v56, v55 offset0:4 offset1:5
	;; [unrolled: 1-line block ×13, first 2 shown]
	ds_store_b32 v61, v32 offset:112
	s_waitcnt lgkmcnt(0)
	s_waitcnt_vscnt null, 0x0
	s_barrier
	buffer_gl0_inv
	ds_load_2addr_stride64_b32 v[0:1], v2 offset1:2
	ds_load_2addr_stride64_b32 v[5:6], v2 offset0:4 offset1:6
	s_mov_b32 s31, 0
	ds_load_2addr_stride64_b32 v[7:8], v2 offset0:8 offset1:10
	ds_load_2addr_stride64_b32 v[9:10], v2 offset0:12 offset1:14
	;; [unrolled: 1-line block ×12, first 2 shown]
	ds_load_b32 v2, v2 offset:14336
	s_lshl_b64 s[4:5], s[30:31], 2
	s_delay_alu instid0(SALU_CYCLE_1) | instskip(SKIP_2) | instid1(VALU_DEP_1)
	s_add_u32 s4, s1, s4
	s_addc_u32 s5, s0, s5
	v_add_co_u32 v3, s0, s4, v31
	v_add_co_ci_u32_e64 v4, null, s5, 0, s0
	s_or_b32 s2, s2, exec_lo
	s_waitcnt lgkmcnt(14)
	global_store_b32 v31, v1, s[4:5] offset:512
	s_waitcnt lgkmcnt(13)
	s_clause 0x1
	global_store_b32 v31, v5, s[4:5] offset:1024
	global_store_b32 v31, v6, s[4:5] offset:1536
	s_waitcnt lgkmcnt(12)
	s_clause 0x1
	global_store_b32 v31, v7, s[4:5] offset:2048
	;; [unrolled: 4-line block ×3, first 2 shown]
	global_store_b32 v31, v10, s[4:5] offset:3584
	v_add_co_u32 v5, vcc_lo, v3, 0x2000
	v_add_co_ci_u32_e32 v6, vcc_lo, 0, v4, vcc_lo
	v_add_co_u32 v7, vcc_lo, 0x3000, v3
	v_add_co_ci_u32_e32 v8, vcc_lo, 0, v4, vcc_lo
	;; [unrolled: 2-line block ×3, first 2 shown]
	v_add_co_u32 v32, vcc_lo, 0x2000, v3
	s_waitcnt lgkmcnt(1)
	s_clause 0x1
	global_store_b32 v[7:8], v29, off offset:1024
	global_store_b32 v[5:6], v11, off offset:-4096
	v_add_co_ci_u32_e32 v33, vcc_lo, 0, v4, vcc_lo
	s_clause 0x12
	global_store_b32 v31, v0, s[4:5]
	global_store_b32 v[5:6], v19, off
	global_store_b32 v[9:10], v12, off offset:512
	global_store_b32 v[9:10], v13, off offset:1024
	;; [unrolled: 1-line block ×14, first 2 shown]
	global_store_b32 v[7:8], v27, off
	global_store_b32 v[7:8], v28, off offset:512
	global_store_b32 v[7:8], v30, off offset:1536
.LBB76_141:
	s_delay_alu instid0(VALU_DEP_1)
	s_and_saveexec_b32 s0, s2
	s_cbranch_execnz .LBB76_143
; %bb.142:
	s_nop 0
	s_sendmsg sendmsg(MSG_DEALLOC_VGPRS)
	s_endpgm
.LBB76_143:
	v_add_co_u32 v0, vcc_lo, 0x3000, v3
	v_add_co_ci_u32_e32 v1, vcc_lo, 0, v4, vcc_lo
	s_waitcnt lgkmcnt(0)
	global_store_b32 v[0:1], v2, off offset:2048
	s_nop 0
	s_sendmsg sendmsg(MSG_DEALLOC_VGPRS)
	s_endpgm
	.section	.rodata,"a",@progbits
	.p2align	6, 0x0
	.amdhsa_kernel _ZN7rocprim17ROCPRIM_400000_NS6detail17trampoline_kernelINS0_14default_configENS1_35adjacent_difference_config_selectorILb1EfEEZNS1_24adjacent_difference_implIS3_Lb1ELb0EPfS7_N6thrust23THRUST_200600_302600_NS5minusIfEEEE10hipError_tPvRmT2_T3_mT4_P12ihipStream_tbEUlT_E_NS1_11comp_targetILNS1_3genE9ELNS1_11target_archE1100ELNS1_3gpuE3ELNS1_3repE0EEENS1_30default_config_static_selectorELNS0_4arch9wavefront6targetE0EEEvT1_
		.amdhsa_group_segment_fixed_size 14848
		.amdhsa_private_segment_fixed_size 0
		.amdhsa_kernarg_size 56
		.amdhsa_user_sgpr_count 15
		.amdhsa_user_sgpr_dispatch_ptr 0
		.amdhsa_user_sgpr_queue_ptr 0
		.amdhsa_user_sgpr_kernarg_segment_ptr 1
		.amdhsa_user_sgpr_dispatch_id 0
		.amdhsa_user_sgpr_private_segment_size 0
		.amdhsa_wavefront_size32 1
		.amdhsa_uses_dynamic_stack 0
		.amdhsa_enable_private_segment 0
		.amdhsa_system_sgpr_workgroup_id_x 1
		.amdhsa_system_sgpr_workgroup_id_y 0
		.amdhsa_system_sgpr_workgroup_id_z 0
		.amdhsa_system_sgpr_workgroup_info 0
		.amdhsa_system_vgpr_workitem_id 0
		.amdhsa_next_free_vgpr 64
		.amdhsa_next_free_sgpr 44
		.amdhsa_reserve_vcc 1
		.amdhsa_float_round_mode_32 0
		.amdhsa_float_round_mode_16_64 0
		.amdhsa_float_denorm_mode_32 3
		.amdhsa_float_denorm_mode_16_64 3
		.amdhsa_dx10_clamp 1
		.amdhsa_ieee_mode 1
		.amdhsa_fp16_overflow 0
		.amdhsa_workgroup_processor_mode 1
		.amdhsa_memory_ordered 1
		.amdhsa_forward_progress 0
		.amdhsa_shared_vgpr_count 0
		.amdhsa_exception_fp_ieee_invalid_op 0
		.amdhsa_exception_fp_denorm_src 0
		.amdhsa_exception_fp_ieee_div_zero 0
		.amdhsa_exception_fp_ieee_overflow 0
		.amdhsa_exception_fp_ieee_underflow 0
		.amdhsa_exception_fp_ieee_inexact 0
		.amdhsa_exception_int_div_zero 0
	.end_amdhsa_kernel
	.section	.text._ZN7rocprim17ROCPRIM_400000_NS6detail17trampoline_kernelINS0_14default_configENS1_35adjacent_difference_config_selectorILb1EfEEZNS1_24adjacent_difference_implIS3_Lb1ELb0EPfS7_N6thrust23THRUST_200600_302600_NS5minusIfEEEE10hipError_tPvRmT2_T3_mT4_P12ihipStream_tbEUlT_E_NS1_11comp_targetILNS1_3genE9ELNS1_11target_archE1100ELNS1_3gpuE3ELNS1_3repE0EEENS1_30default_config_static_selectorELNS0_4arch9wavefront6targetE0EEEvT1_,"axG",@progbits,_ZN7rocprim17ROCPRIM_400000_NS6detail17trampoline_kernelINS0_14default_configENS1_35adjacent_difference_config_selectorILb1EfEEZNS1_24adjacent_difference_implIS3_Lb1ELb0EPfS7_N6thrust23THRUST_200600_302600_NS5minusIfEEEE10hipError_tPvRmT2_T3_mT4_P12ihipStream_tbEUlT_E_NS1_11comp_targetILNS1_3genE9ELNS1_11target_archE1100ELNS1_3gpuE3ELNS1_3repE0EEENS1_30default_config_static_selectorELNS0_4arch9wavefront6targetE0EEEvT1_,comdat
.Lfunc_end76:
	.size	_ZN7rocprim17ROCPRIM_400000_NS6detail17trampoline_kernelINS0_14default_configENS1_35adjacent_difference_config_selectorILb1EfEEZNS1_24adjacent_difference_implIS3_Lb1ELb0EPfS7_N6thrust23THRUST_200600_302600_NS5minusIfEEEE10hipError_tPvRmT2_T3_mT4_P12ihipStream_tbEUlT_E_NS1_11comp_targetILNS1_3genE9ELNS1_11target_archE1100ELNS1_3gpuE3ELNS1_3repE0EEENS1_30default_config_static_selectorELNS0_4arch9wavefront6targetE0EEEvT1_, .Lfunc_end76-_ZN7rocprim17ROCPRIM_400000_NS6detail17trampoline_kernelINS0_14default_configENS1_35adjacent_difference_config_selectorILb1EfEEZNS1_24adjacent_difference_implIS3_Lb1ELb0EPfS7_N6thrust23THRUST_200600_302600_NS5minusIfEEEE10hipError_tPvRmT2_T3_mT4_P12ihipStream_tbEUlT_E_NS1_11comp_targetILNS1_3genE9ELNS1_11target_archE1100ELNS1_3gpuE3ELNS1_3repE0EEENS1_30default_config_static_selectorELNS0_4arch9wavefront6targetE0EEEvT1_
                                        ; -- End function
	.section	.AMDGPU.csdata,"",@progbits
; Kernel info:
; codeLenInByte = 7088
; NumSgprs: 46
; NumVgprs: 64
; ScratchSize: 0
; MemoryBound: 0
; FloatMode: 240
; IeeeMode: 1
; LDSByteSize: 14848 bytes/workgroup (compile time only)
; SGPRBlocks: 5
; VGPRBlocks: 7
; NumSGPRsForWavesPerEU: 46
; NumVGPRsForWavesPerEU: 64
; Occupancy: 8
; WaveLimiterHint : 1
; COMPUTE_PGM_RSRC2:SCRATCH_EN: 0
; COMPUTE_PGM_RSRC2:USER_SGPR: 15
; COMPUTE_PGM_RSRC2:TRAP_HANDLER: 0
; COMPUTE_PGM_RSRC2:TGID_X_EN: 1
; COMPUTE_PGM_RSRC2:TGID_Y_EN: 0
; COMPUTE_PGM_RSRC2:TGID_Z_EN: 0
; COMPUTE_PGM_RSRC2:TIDIG_COMP_CNT: 0
	.section	.text._ZN7rocprim17ROCPRIM_400000_NS6detail17trampoline_kernelINS0_14default_configENS1_35adjacent_difference_config_selectorILb1EfEEZNS1_24adjacent_difference_implIS3_Lb1ELb0EPfS7_N6thrust23THRUST_200600_302600_NS5minusIfEEEE10hipError_tPvRmT2_T3_mT4_P12ihipStream_tbEUlT_E_NS1_11comp_targetILNS1_3genE8ELNS1_11target_archE1030ELNS1_3gpuE2ELNS1_3repE0EEENS1_30default_config_static_selectorELNS0_4arch9wavefront6targetE0EEEvT1_,"axG",@progbits,_ZN7rocprim17ROCPRIM_400000_NS6detail17trampoline_kernelINS0_14default_configENS1_35adjacent_difference_config_selectorILb1EfEEZNS1_24adjacent_difference_implIS3_Lb1ELb0EPfS7_N6thrust23THRUST_200600_302600_NS5minusIfEEEE10hipError_tPvRmT2_T3_mT4_P12ihipStream_tbEUlT_E_NS1_11comp_targetILNS1_3genE8ELNS1_11target_archE1030ELNS1_3gpuE2ELNS1_3repE0EEENS1_30default_config_static_selectorELNS0_4arch9wavefront6targetE0EEEvT1_,comdat
	.protected	_ZN7rocprim17ROCPRIM_400000_NS6detail17trampoline_kernelINS0_14default_configENS1_35adjacent_difference_config_selectorILb1EfEEZNS1_24adjacent_difference_implIS3_Lb1ELb0EPfS7_N6thrust23THRUST_200600_302600_NS5minusIfEEEE10hipError_tPvRmT2_T3_mT4_P12ihipStream_tbEUlT_E_NS1_11comp_targetILNS1_3genE8ELNS1_11target_archE1030ELNS1_3gpuE2ELNS1_3repE0EEENS1_30default_config_static_selectorELNS0_4arch9wavefront6targetE0EEEvT1_ ; -- Begin function _ZN7rocprim17ROCPRIM_400000_NS6detail17trampoline_kernelINS0_14default_configENS1_35adjacent_difference_config_selectorILb1EfEEZNS1_24adjacent_difference_implIS3_Lb1ELb0EPfS7_N6thrust23THRUST_200600_302600_NS5minusIfEEEE10hipError_tPvRmT2_T3_mT4_P12ihipStream_tbEUlT_E_NS1_11comp_targetILNS1_3genE8ELNS1_11target_archE1030ELNS1_3gpuE2ELNS1_3repE0EEENS1_30default_config_static_selectorELNS0_4arch9wavefront6targetE0EEEvT1_
	.globl	_ZN7rocprim17ROCPRIM_400000_NS6detail17trampoline_kernelINS0_14default_configENS1_35adjacent_difference_config_selectorILb1EfEEZNS1_24adjacent_difference_implIS3_Lb1ELb0EPfS7_N6thrust23THRUST_200600_302600_NS5minusIfEEEE10hipError_tPvRmT2_T3_mT4_P12ihipStream_tbEUlT_E_NS1_11comp_targetILNS1_3genE8ELNS1_11target_archE1030ELNS1_3gpuE2ELNS1_3repE0EEENS1_30default_config_static_selectorELNS0_4arch9wavefront6targetE0EEEvT1_
	.p2align	8
	.type	_ZN7rocprim17ROCPRIM_400000_NS6detail17trampoline_kernelINS0_14default_configENS1_35adjacent_difference_config_selectorILb1EfEEZNS1_24adjacent_difference_implIS3_Lb1ELb0EPfS7_N6thrust23THRUST_200600_302600_NS5minusIfEEEE10hipError_tPvRmT2_T3_mT4_P12ihipStream_tbEUlT_E_NS1_11comp_targetILNS1_3genE8ELNS1_11target_archE1030ELNS1_3gpuE2ELNS1_3repE0EEENS1_30default_config_static_selectorELNS0_4arch9wavefront6targetE0EEEvT1_,@function
_ZN7rocprim17ROCPRIM_400000_NS6detail17trampoline_kernelINS0_14default_configENS1_35adjacent_difference_config_selectorILb1EfEEZNS1_24adjacent_difference_implIS3_Lb1ELb0EPfS7_N6thrust23THRUST_200600_302600_NS5minusIfEEEE10hipError_tPvRmT2_T3_mT4_P12ihipStream_tbEUlT_E_NS1_11comp_targetILNS1_3genE8ELNS1_11target_archE1030ELNS1_3gpuE2ELNS1_3repE0EEENS1_30default_config_static_selectorELNS0_4arch9wavefront6targetE0EEEvT1_: ; @_ZN7rocprim17ROCPRIM_400000_NS6detail17trampoline_kernelINS0_14default_configENS1_35adjacent_difference_config_selectorILb1EfEEZNS1_24adjacent_difference_implIS3_Lb1ELb0EPfS7_N6thrust23THRUST_200600_302600_NS5minusIfEEEE10hipError_tPvRmT2_T3_mT4_P12ihipStream_tbEUlT_E_NS1_11comp_targetILNS1_3genE8ELNS1_11target_archE1030ELNS1_3gpuE2ELNS1_3repE0EEENS1_30default_config_static_selectorELNS0_4arch9wavefront6targetE0EEEvT1_
; %bb.0:
	.section	.rodata,"a",@progbits
	.p2align	6, 0x0
	.amdhsa_kernel _ZN7rocprim17ROCPRIM_400000_NS6detail17trampoline_kernelINS0_14default_configENS1_35adjacent_difference_config_selectorILb1EfEEZNS1_24adjacent_difference_implIS3_Lb1ELb0EPfS7_N6thrust23THRUST_200600_302600_NS5minusIfEEEE10hipError_tPvRmT2_T3_mT4_P12ihipStream_tbEUlT_E_NS1_11comp_targetILNS1_3genE8ELNS1_11target_archE1030ELNS1_3gpuE2ELNS1_3repE0EEENS1_30default_config_static_selectorELNS0_4arch9wavefront6targetE0EEEvT1_
		.amdhsa_group_segment_fixed_size 0
		.amdhsa_private_segment_fixed_size 0
		.amdhsa_kernarg_size 56
		.amdhsa_user_sgpr_count 15
		.amdhsa_user_sgpr_dispatch_ptr 0
		.amdhsa_user_sgpr_queue_ptr 0
		.amdhsa_user_sgpr_kernarg_segment_ptr 1
		.amdhsa_user_sgpr_dispatch_id 0
		.amdhsa_user_sgpr_private_segment_size 0
		.amdhsa_wavefront_size32 1
		.amdhsa_uses_dynamic_stack 0
		.amdhsa_enable_private_segment 0
		.amdhsa_system_sgpr_workgroup_id_x 1
		.amdhsa_system_sgpr_workgroup_id_y 0
		.amdhsa_system_sgpr_workgroup_id_z 0
		.amdhsa_system_sgpr_workgroup_info 0
		.amdhsa_system_vgpr_workitem_id 0
		.amdhsa_next_free_vgpr 1
		.amdhsa_next_free_sgpr 1
		.amdhsa_reserve_vcc 0
		.amdhsa_float_round_mode_32 0
		.amdhsa_float_round_mode_16_64 0
		.amdhsa_float_denorm_mode_32 3
		.amdhsa_float_denorm_mode_16_64 3
		.amdhsa_dx10_clamp 1
		.amdhsa_ieee_mode 1
		.amdhsa_fp16_overflow 0
		.amdhsa_workgroup_processor_mode 1
		.amdhsa_memory_ordered 1
		.amdhsa_forward_progress 0
		.amdhsa_shared_vgpr_count 0
		.amdhsa_exception_fp_ieee_invalid_op 0
		.amdhsa_exception_fp_denorm_src 0
		.amdhsa_exception_fp_ieee_div_zero 0
		.amdhsa_exception_fp_ieee_overflow 0
		.amdhsa_exception_fp_ieee_underflow 0
		.amdhsa_exception_fp_ieee_inexact 0
		.amdhsa_exception_int_div_zero 0
	.end_amdhsa_kernel
	.section	.text._ZN7rocprim17ROCPRIM_400000_NS6detail17trampoline_kernelINS0_14default_configENS1_35adjacent_difference_config_selectorILb1EfEEZNS1_24adjacent_difference_implIS3_Lb1ELb0EPfS7_N6thrust23THRUST_200600_302600_NS5minusIfEEEE10hipError_tPvRmT2_T3_mT4_P12ihipStream_tbEUlT_E_NS1_11comp_targetILNS1_3genE8ELNS1_11target_archE1030ELNS1_3gpuE2ELNS1_3repE0EEENS1_30default_config_static_selectorELNS0_4arch9wavefront6targetE0EEEvT1_,"axG",@progbits,_ZN7rocprim17ROCPRIM_400000_NS6detail17trampoline_kernelINS0_14default_configENS1_35adjacent_difference_config_selectorILb1EfEEZNS1_24adjacent_difference_implIS3_Lb1ELb0EPfS7_N6thrust23THRUST_200600_302600_NS5minusIfEEEE10hipError_tPvRmT2_T3_mT4_P12ihipStream_tbEUlT_E_NS1_11comp_targetILNS1_3genE8ELNS1_11target_archE1030ELNS1_3gpuE2ELNS1_3repE0EEENS1_30default_config_static_selectorELNS0_4arch9wavefront6targetE0EEEvT1_,comdat
.Lfunc_end77:
	.size	_ZN7rocprim17ROCPRIM_400000_NS6detail17trampoline_kernelINS0_14default_configENS1_35adjacent_difference_config_selectorILb1EfEEZNS1_24adjacent_difference_implIS3_Lb1ELb0EPfS7_N6thrust23THRUST_200600_302600_NS5minusIfEEEE10hipError_tPvRmT2_T3_mT4_P12ihipStream_tbEUlT_E_NS1_11comp_targetILNS1_3genE8ELNS1_11target_archE1030ELNS1_3gpuE2ELNS1_3repE0EEENS1_30default_config_static_selectorELNS0_4arch9wavefront6targetE0EEEvT1_, .Lfunc_end77-_ZN7rocprim17ROCPRIM_400000_NS6detail17trampoline_kernelINS0_14default_configENS1_35adjacent_difference_config_selectorILb1EfEEZNS1_24adjacent_difference_implIS3_Lb1ELb0EPfS7_N6thrust23THRUST_200600_302600_NS5minusIfEEEE10hipError_tPvRmT2_T3_mT4_P12ihipStream_tbEUlT_E_NS1_11comp_targetILNS1_3genE8ELNS1_11target_archE1030ELNS1_3gpuE2ELNS1_3repE0EEENS1_30default_config_static_selectorELNS0_4arch9wavefront6targetE0EEEvT1_
                                        ; -- End function
	.section	.AMDGPU.csdata,"",@progbits
; Kernel info:
; codeLenInByte = 0
; NumSgprs: 0
; NumVgprs: 0
; ScratchSize: 0
; MemoryBound: 0
; FloatMode: 240
; IeeeMode: 1
; LDSByteSize: 0 bytes/workgroup (compile time only)
; SGPRBlocks: 0
; VGPRBlocks: 0
; NumSGPRsForWavesPerEU: 1
; NumVGPRsForWavesPerEU: 1
; Occupancy: 16
; WaveLimiterHint : 0
; COMPUTE_PGM_RSRC2:SCRATCH_EN: 0
; COMPUTE_PGM_RSRC2:USER_SGPR: 15
; COMPUTE_PGM_RSRC2:TRAP_HANDLER: 0
; COMPUTE_PGM_RSRC2:TGID_X_EN: 1
; COMPUTE_PGM_RSRC2:TGID_Y_EN: 0
; COMPUTE_PGM_RSRC2:TGID_Z_EN: 0
; COMPUTE_PGM_RSRC2:TIDIG_COMP_CNT: 0
	.section	.text._ZN7rocprim17ROCPRIM_400000_NS6detail17trampoline_kernelINS0_14default_configENS1_35adjacent_difference_config_selectorILb0EfEEZNS1_24adjacent_difference_implIS3_Lb0ELb0EPfS7_N6thrust23THRUST_200600_302600_NS4plusIfEEEE10hipError_tPvRmT2_T3_mT4_P12ihipStream_tbEUlT_E_NS1_11comp_targetILNS1_3genE0ELNS1_11target_archE4294967295ELNS1_3gpuE0ELNS1_3repE0EEENS1_30default_config_static_selectorELNS0_4arch9wavefront6targetE0EEEvT1_,"axG",@progbits,_ZN7rocprim17ROCPRIM_400000_NS6detail17trampoline_kernelINS0_14default_configENS1_35adjacent_difference_config_selectorILb0EfEEZNS1_24adjacent_difference_implIS3_Lb0ELb0EPfS7_N6thrust23THRUST_200600_302600_NS4plusIfEEEE10hipError_tPvRmT2_T3_mT4_P12ihipStream_tbEUlT_E_NS1_11comp_targetILNS1_3genE0ELNS1_11target_archE4294967295ELNS1_3gpuE0ELNS1_3repE0EEENS1_30default_config_static_selectorELNS0_4arch9wavefront6targetE0EEEvT1_,comdat
	.protected	_ZN7rocprim17ROCPRIM_400000_NS6detail17trampoline_kernelINS0_14default_configENS1_35adjacent_difference_config_selectorILb0EfEEZNS1_24adjacent_difference_implIS3_Lb0ELb0EPfS7_N6thrust23THRUST_200600_302600_NS4plusIfEEEE10hipError_tPvRmT2_T3_mT4_P12ihipStream_tbEUlT_E_NS1_11comp_targetILNS1_3genE0ELNS1_11target_archE4294967295ELNS1_3gpuE0ELNS1_3repE0EEENS1_30default_config_static_selectorELNS0_4arch9wavefront6targetE0EEEvT1_ ; -- Begin function _ZN7rocprim17ROCPRIM_400000_NS6detail17trampoline_kernelINS0_14default_configENS1_35adjacent_difference_config_selectorILb0EfEEZNS1_24adjacent_difference_implIS3_Lb0ELb0EPfS7_N6thrust23THRUST_200600_302600_NS4plusIfEEEE10hipError_tPvRmT2_T3_mT4_P12ihipStream_tbEUlT_E_NS1_11comp_targetILNS1_3genE0ELNS1_11target_archE4294967295ELNS1_3gpuE0ELNS1_3repE0EEENS1_30default_config_static_selectorELNS0_4arch9wavefront6targetE0EEEvT1_
	.globl	_ZN7rocprim17ROCPRIM_400000_NS6detail17trampoline_kernelINS0_14default_configENS1_35adjacent_difference_config_selectorILb0EfEEZNS1_24adjacent_difference_implIS3_Lb0ELb0EPfS7_N6thrust23THRUST_200600_302600_NS4plusIfEEEE10hipError_tPvRmT2_T3_mT4_P12ihipStream_tbEUlT_E_NS1_11comp_targetILNS1_3genE0ELNS1_11target_archE4294967295ELNS1_3gpuE0ELNS1_3repE0EEENS1_30default_config_static_selectorELNS0_4arch9wavefront6targetE0EEEvT1_
	.p2align	8
	.type	_ZN7rocprim17ROCPRIM_400000_NS6detail17trampoline_kernelINS0_14default_configENS1_35adjacent_difference_config_selectorILb0EfEEZNS1_24adjacent_difference_implIS3_Lb0ELb0EPfS7_N6thrust23THRUST_200600_302600_NS4plusIfEEEE10hipError_tPvRmT2_T3_mT4_P12ihipStream_tbEUlT_E_NS1_11comp_targetILNS1_3genE0ELNS1_11target_archE4294967295ELNS1_3gpuE0ELNS1_3repE0EEENS1_30default_config_static_selectorELNS0_4arch9wavefront6targetE0EEEvT1_,@function
_ZN7rocprim17ROCPRIM_400000_NS6detail17trampoline_kernelINS0_14default_configENS1_35adjacent_difference_config_selectorILb0EfEEZNS1_24adjacent_difference_implIS3_Lb0ELb0EPfS7_N6thrust23THRUST_200600_302600_NS4plusIfEEEE10hipError_tPvRmT2_T3_mT4_P12ihipStream_tbEUlT_E_NS1_11comp_targetILNS1_3genE0ELNS1_11target_archE4294967295ELNS1_3gpuE0ELNS1_3repE0EEENS1_30default_config_static_selectorELNS0_4arch9wavefront6targetE0EEEvT1_: ; @_ZN7rocprim17ROCPRIM_400000_NS6detail17trampoline_kernelINS0_14default_configENS1_35adjacent_difference_config_selectorILb0EfEEZNS1_24adjacent_difference_implIS3_Lb0ELb0EPfS7_N6thrust23THRUST_200600_302600_NS4plusIfEEEE10hipError_tPvRmT2_T3_mT4_P12ihipStream_tbEUlT_E_NS1_11comp_targetILNS1_3genE0ELNS1_11target_archE4294967295ELNS1_3gpuE0ELNS1_3repE0EEENS1_30default_config_static_selectorELNS0_4arch9wavefront6targetE0EEEvT1_
; %bb.0:
	.section	.rodata,"a",@progbits
	.p2align	6, 0x0
	.amdhsa_kernel _ZN7rocprim17ROCPRIM_400000_NS6detail17trampoline_kernelINS0_14default_configENS1_35adjacent_difference_config_selectorILb0EfEEZNS1_24adjacent_difference_implIS3_Lb0ELb0EPfS7_N6thrust23THRUST_200600_302600_NS4plusIfEEEE10hipError_tPvRmT2_T3_mT4_P12ihipStream_tbEUlT_E_NS1_11comp_targetILNS1_3genE0ELNS1_11target_archE4294967295ELNS1_3gpuE0ELNS1_3repE0EEENS1_30default_config_static_selectorELNS0_4arch9wavefront6targetE0EEEvT1_
		.amdhsa_group_segment_fixed_size 0
		.amdhsa_private_segment_fixed_size 0
		.amdhsa_kernarg_size 56
		.amdhsa_user_sgpr_count 15
		.amdhsa_user_sgpr_dispatch_ptr 0
		.amdhsa_user_sgpr_queue_ptr 0
		.amdhsa_user_sgpr_kernarg_segment_ptr 1
		.amdhsa_user_sgpr_dispatch_id 0
		.amdhsa_user_sgpr_private_segment_size 0
		.amdhsa_wavefront_size32 1
		.amdhsa_uses_dynamic_stack 0
		.amdhsa_enable_private_segment 0
		.amdhsa_system_sgpr_workgroup_id_x 1
		.amdhsa_system_sgpr_workgroup_id_y 0
		.amdhsa_system_sgpr_workgroup_id_z 0
		.amdhsa_system_sgpr_workgroup_info 0
		.amdhsa_system_vgpr_workitem_id 0
		.amdhsa_next_free_vgpr 1
		.amdhsa_next_free_sgpr 1
		.amdhsa_reserve_vcc 0
		.amdhsa_float_round_mode_32 0
		.amdhsa_float_round_mode_16_64 0
		.amdhsa_float_denorm_mode_32 3
		.amdhsa_float_denorm_mode_16_64 3
		.amdhsa_dx10_clamp 1
		.amdhsa_ieee_mode 1
		.amdhsa_fp16_overflow 0
		.amdhsa_workgroup_processor_mode 1
		.amdhsa_memory_ordered 1
		.amdhsa_forward_progress 0
		.amdhsa_shared_vgpr_count 0
		.amdhsa_exception_fp_ieee_invalid_op 0
		.amdhsa_exception_fp_denorm_src 0
		.amdhsa_exception_fp_ieee_div_zero 0
		.amdhsa_exception_fp_ieee_overflow 0
		.amdhsa_exception_fp_ieee_underflow 0
		.amdhsa_exception_fp_ieee_inexact 0
		.amdhsa_exception_int_div_zero 0
	.end_amdhsa_kernel
	.section	.text._ZN7rocprim17ROCPRIM_400000_NS6detail17trampoline_kernelINS0_14default_configENS1_35adjacent_difference_config_selectorILb0EfEEZNS1_24adjacent_difference_implIS3_Lb0ELb0EPfS7_N6thrust23THRUST_200600_302600_NS4plusIfEEEE10hipError_tPvRmT2_T3_mT4_P12ihipStream_tbEUlT_E_NS1_11comp_targetILNS1_3genE0ELNS1_11target_archE4294967295ELNS1_3gpuE0ELNS1_3repE0EEENS1_30default_config_static_selectorELNS0_4arch9wavefront6targetE0EEEvT1_,"axG",@progbits,_ZN7rocprim17ROCPRIM_400000_NS6detail17trampoline_kernelINS0_14default_configENS1_35adjacent_difference_config_selectorILb0EfEEZNS1_24adjacent_difference_implIS3_Lb0ELb0EPfS7_N6thrust23THRUST_200600_302600_NS4plusIfEEEE10hipError_tPvRmT2_T3_mT4_P12ihipStream_tbEUlT_E_NS1_11comp_targetILNS1_3genE0ELNS1_11target_archE4294967295ELNS1_3gpuE0ELNS1_3repE0EEENS1_30default_config_static_selectorELNS0_4arch9wavefront6targetE0EEEvT1_,comdat
.Lfunc_end78:
	.size	_ZN7rocprim17ROCPRIM_400000_NS6detail17trampoline_kernelINS0_14default_configENS1_35adjacent_difference_config_selectorILb0EfEEZNS1_24adjacent_difference_implIS3_Lb0ELb0EPfS7_N6thrust23THRUST_200600_302600_NS4plusIfEEEE10hipError_tPvRmT2_T3_mT4_P12ihipStream_tbEUlT_E_NS1_11comp_targetILNS1_3genE0ELNS1_11target_archE4294967295ELNS1_3gpuE0ELNS1_3repE0EEENS1_30default_config_static_selectorELNS0_4arch9wavefront6targetE0EEEvT1_, .Lfunc_end78-_ZN7rocprim17ROCPRIM_400000_NS6detail17trampoline_kernelINS0_14default_configENS1_35adjacent_difference_config_selectorILb0EfEEZNS1_24adjacent_difference_implIS3_Lb0ELb0EPfS7_N6thrust23THRUST_200600_302600_NS4plusIfEEEE10hipError_tPvRmT2_T3_mT4_P12ihipStream_tbEUlT_E_NS1_11comp_targetILNS1_3genE0ELNS1_11target_archE4294967295ELNS1_3gpuE0ELNS1_3repE0EEENS1_30default_config_static_selectorELNS0_4arch9wavefront6targetE0EEEvT1_
                                        ; -- End function
	.section	.AMDGPU.csdata,"",@progbits
; Kernel info:
; codeLenInByte = 0
; NumSgprs: 0
; NumVgprs: 0
; ScratchSize: 0
; MemoryBound: 0
; FloatMode: 240
; IeeeMode: 1
; LDSByteSize: 0 bytes/workgroup (compile time only)
; SGPRBlocks: 0
; VGPRBlocks: 0
; NumSGPRsForWavesPerEU: 1
; NumVGPRsForWavesPerEU: 1
; Occupancy: 16
; WaveLimiterHint : 0
; COMPUTE_PGM_RSRC2:SCRATCH_EN: 0
; COMPUTE_PGM_RSRC2:USER_SGPR: 15
; COMPUTE_PGM_RSRC2:TRAP_HANDLER: 0
; COMPUTE_PGM_RSRC2:TGID_X_EN: 1
; COMPUTE_PGM_RSRC2:TGID_Y_EN: 0
; COMPUTE_PGM_RSRC2:TGID_Z_EN: 0
; COMPUTE_PGM_RSRC2:TIDIG_COMP_CNT: 0
	.section	.text._ZN7rocprim17ROCPRIM_400000_NS6detail17trampoline_kernelINS0_14default_configENS1_35adjacent_difference_config_selectorILb0EfEEZNS1_24adjacent_difference_implIS3_Lb0ELb0EPfS7_N6thrust23THRUST_200600_302600_NS4plusIfEEEE10hipError_tPvRmT2_T3_mT4_P12ihipStream_tbEUlT_E_NS1_11comp_targetILNS1_3genE10ELNS1_11target_archE1201ELNS1_3gpuE5ELNS1_3repE0EEENS1_30default_config_static_selectorELNS0_4arch9wavefront6targetE0EEEvT1_,"axG",@progbits,_ZN7rocprim17ROCPRIM_400000_NS6detail17trampoline_kernelINS0_14default_configENS1_35adjacent_difference_config_selectorILb0EfEEZNS1_24adjacent_difference_implIS3_Lb0ELb0EPfS7_N6thrust23THRUST_200600_302600_NS4plusIfEEEE10hipError_tPvRmT2_T3_mT4_P12ihipStream_tbEUlT_E_NS1_11comp_targetILNS1_3genE10ELNS1_11target_archE1201ELNS1_3gpuE5ELNS1_3repE0EEENS1_30default_config_static_selectorELNS0_4arch9wavefront6targetE0EEEvT1_,comdat
	.protected	_ZN7rocprim17ROCPRIM_400000_NS6detail17trampoline_kernelINS0_14default_configENS1_35adjacent_difference_config_selectorILb0EfEEZNS1_24adjacent_difference_implIS3_Lb0ELb0EPfS7_N6thrust23THRUST_200600_302600_NS4plusIfEEEE10hipError_tPvRmT2_T3_mT4_P12ihipStream_tbEUlT_E_NS1_11comp_targetILNS1_3genE10ELNS1_11target_archE1201ELNS1_3gpuE5ELNS1_3repE0EEENS1_30default_config_static_selectorELNS0_4arch9wavefront6targetE0EEEvT1_ ; -- Begin function _ZN7rocprim17ROCPRIM_400000_NS6detail17trampoline_kernelINS0_14default_configENS1_35adjacent_difference_config_selectorILb0EfEEZNS1_24adjacent_difference_implIS3_Lb0ELb0EPfS7_N6thrust23THRUST_200600_302600_NS4plusIfEEEE10hipError_tPvRmT2_T3_mT4_P12ihipStream_tbEUlT_E_NS1_11comp_targetILNS1_3genE10ELNS1_11target_archE1201ELNS1_3gpuE5ELNS1_3repE0EEENS1_30default_config_static_selectorELNS0_4arch9wavefront6targetE0EEEvT1_
	.globl	_ZN7rocprim17ROCPRIM_400000_NS6detail17trampoline_kernelINS0_14default_configENS1_35adjacent_difference_config_selectorILb0EfEEZNS1_24adjacent_difference_implIS3_Lb0ELb0EPfS7_N6thrust23THRUST_200600_302600_NS4plusIfEEEE10hipError_tPvRmT2_T3_mT4_P12ihipStream_tbEUlT_E_NS1_11comp_targetILNS1_3genE10ELNS1_11target_archE1201ELNS1_3gpuE5ELNS1_3repE0EEENS1_30default_config_static_selectorELNS0_4arch9wavefront6targetE0EEEvT1_
	.p2align	8
	.type	_ZN7rocprim17ROCPRIM_400000_NS6detail17trampoline_kernelINS0_14default_configENS1_35adjacent_difference_config_selectorILb0EfEEZNS1_24adjacent_difference_implIS3_Lb0ELb0EPfS7_N6thrust23THRUST_200600_302600_NS4plusIfEEEE10hipError_tPvRmT2_T3_mT4_P12ihipStream_tbEUlT_E_NS1_11comp_targetILNS1_3genE10ELNS1_11target_archE1201ELNS1_3gpuE5ELNS1_3repE0EEENS1_30default_config_static_selectorELNS0_4arch9wavefront6targetE0EEEvT1_,@function
_ZN7rocprim17ROCPRIM_400000_NS6detail17trampoline_kernelINS0_14default_configENS1_35adjacent_difference_config_selectorILb0EfEEZNS1_24adjacent_difference_implIS3_Lb0ELb0EPfS7_N6thrust23THRUST_200600_302600_NS4plusIfEEEE10hipError_tPvRmT2_T3_mT4_P12ihipStream_tbEUlT_E_NS1_11comp_targetILNS1_3genE10ELNS1_11target_archE1201ELNS1_3gpuE5ELNS1_3repE0EEENS1_30default_config_static_selectorELNS0_4arch9wavefront6targetE0EEEvT1_: ; @_ZN7rocprim17ROCPRIM_400000_NS6detail17trampoline_kernelINS0_14default_configENS1_35adjacent_difference_config_selectorILb0EfEEZNS1_24adjacent_difference_implIS3_Lb0ELb0EPfS7_N6thrust23THRUST_200600_302600_NS4plusIfEEEE10hipError_tPvRmT2_T3_mT4_P12ihipStream_tbEUlT_E_NS1_11comp_targetILNS1_3genE10ELNS1_11target_archE1201ELNS1_3gpuE5ELNS1_3repE0EEENS1_30default_config_static_selectorELNS0_4arch9wavefront6targetE0EEEvT1_
; %bb.0:
	.section	.rodata,"a",@progbits
	.p2align	6, 0x0
	.amdhsa_kernel _ZN7rocprim17ROCPRIM_400000_NS6detail17trampoline_kernelINS0_14default_configENS1_35adjacent_difference_config_selectorILb0EfEEZNS1_24adjacent_difference_implIS3_Lb0ELb0EPfS7_N6thrust23THRUST_200600_302600_NS4plusIfEEEE10hipError_tPvRmT2_T3_mT4_P12ihipStream_tbEUlT_E_NS1_11comp_targetILNS1_3genE10ELNS1_11target_archE1201ELNS1_3gpuE5ELNS1_3repE0EEENS1_30default_config_static_selectorELNS0_4arch9wavefront6targetE0EEEvT1_
		.amdhsa_group_segment_fixed_size 0
		.amdhsa_private_segment_fixed_size 0
		.amdhsa_kernarg_size 56
		.amdhsa_user_sgpr_count 15
		.amdhsa_user_sgpr_dispatch_ptr 0
		.amdhsa_user_sgpr_queue_ptr 0
		.amdhsa_user_sgpr_kernarg_segment_ptr 1
		.amdhsa_user_sgpr_dispatch_id 0
		.amdhsa_user_sgpr_private_segment_size 0
		.amdhsa_wavefront_size32 1
		.amdhsa_uses_dynamic_stack 0
		.amdhsa_enable_private_segment 0
		.amdhsa_system_sgpr_workgroup_id_x 1
		.amdhsa_system_sgpr_workgroup_id_y 0
		.amdhsa_system_sgpr_workgroup_id_z 0
		.amdhsa_system_sgpr_workgroup_info 0
		.amdhsa_system_vgpr_workitem_id 0
		.amdhsa_next_free_vgpr 1
		.amdhsa_next_free_sgpr 1
		.amdhsa_reserve_vcc 0
		.amdhsa_float_round_mode_32 0
		.amdhsa_float_round_mode_16_64 0
		.amdhsa_float_denorm_mode_32 3
		.amdhsa_float_denorm_mode_16_64 3
		.amdhsa_dx10_clamp 1
		.amdhsa_ieee_mode 1
		.amdhsa_fp16_overflow 0
		.amdhsa_workgroup_processor_mode 1
		.amdhsa_memory_ordered 1
		.amdhsa_forward_progress 0
		.amdhsa_shared_vgpr_count 0
		.amdhsa_exception_fp_ieee_invalid_op 0
		.amdhsa_exception_fp_denorm_src 0
		.amdhsa_exception_fp_ieee_div_zero 0
		.amdhsa_exception_fp_ieee_overflow 0
		.amdhsa_exception_fp_ieee_underflow 0
		.amdhsa_exception_fp_ieee_inexact 0
		.amdhsa_exception_int_div_zero 0
	.end_amdhsa_kernel
	.section	.text._ZN7rocprim17ROCPRIM_400000_NS6detail17trampoline_kernelINS0_14default_configENS1_35adjacent_difference_config_selectorILb0EfEEZNS1_24adjacent_difference_implIS3_Lb0ELb0EPfS7_N6thrust23THRUST_200600_302600_NS4plusIfEEEE10hipError_tPvRmT2_T3_mT4_P12ihipStream_tbEUlT_E_NS1_11comp_targetILNS1_3genE10ELNS1_11target_archE1201ELNS1_3gpuE5ELNS1_3repE0EEENS1_30default_config_static_selectorELNS0_4arch9wavefront6targetE0EEEvT1_,"axG",@progbits,_ZN7rocprim17ROCPRIM_400000_NS6detail17trampoline_kernelINS0_14default_configENS1_35adjacent_difference_config_selectorILb0EfEEZNS1_24adjacent_difference_implIS3_Lb0ELb0EPfS7_N6thrust23THRUST_200600_302600_NS4plusIfEEEE10hipError_tPvRmT2_T3_mT4_P12ihipStream_tbEUlT_E_NS1_11comp_targetILNS1_3genE10ELNS1_11target_archE1201ELNS1_3gpuE5ELNS1_3repE0EEENS1_30default_config_static_selectorELNS0_4arch9wavefront6targetE0EEEvT1_,comdat
.Lfunc_end79:
	.size	_ZN7rocprim17ROCPRIM_400000_NS6detail17trampoline_kernelINS0_14default_configENS1_35adjacent_difference_config_selectorILb0EfEEZNS1_24adjacent_difference_implIS3_Lb0ELb0EPfS7_N6thrust23THRUST_200600_302600_NS4plusIfEEEE10hipError_tPvRmT2_T3_mT4_P12ihipStream_tbEUlT_E_NS1_11comp_targetILNS1_3genE10ELNS1_11target_archE1201ELNS1_3gpuE5ELNS1_3repE0EEENS1_30default_config_static_selectorELNS0_4arch9wavefront6targetE0EEEvT1_, .Lfunc_end79-_ZN7rocprim17ROCPRIM_400000_NS6detail17trampoline_kernelINS0_14default_configENS1_35adjacent_difference_config_selectorILb0EfEEZNS1_24adjacent_difference_implIS3_Lb0ELb0EPfS7_N6thrust23THRUST_200600_302600_NS4plusIfEEEE10hipError_tPvRmT2_T3_mT4_P12ihipStream_tbEUlT_E_NS1_11comp_targetILNS1_3genE10ELNS1_11target_archE1201ELNS1_3gpuE5ELNS1_3repE0EEENS1_30default_config_static_selectorELNS0_4arch9wavefront6targetE0EEEvT1_
                                        ; -- End function
	.section	.AMDGPU.csdata,"",@progbits
; Kernel info:
; codeLenInByte = 0
; NumSgprs: 0
; NumVgprs: 0
; ScratchSize: 0
; MemoryBound: 0
; FloatMode: 240
; IeeeMode: 1
; LDSByteSize: 0 bytes/workgroup (compile time only)
; SGPRBlocks: 0
; VGPRBlocks: 0
; NumSGPRsForWavesPerEU: 1
; NumVGPRsForWavesPerEU: 1
; Occupancy: 16
; WaveLimiterHint : 0
; COMPUTE_PGM_RSRC2:SCRATCH_EN: 0
; COMPUTE_PGM_RSRC2:USER_SGPR: 15
; COMPUTE_PGM_RSRC2:TRAP_HANDLER: 0
; COMPUTE_PGM_RSRC2:TGID_X_EN: 1
; COMPUTE_PGM_RSRC2:TGID_Y_EN: 0
; COMPUTE_PGM_RSRC2:TGID_Z_EN: 0
; COMPUTE_PGM_RSRC2:TIDIG_COMP_CNT: 0
	.section	.text._ZN7rocprim17ROCPRIM_400000_NS6detail17trampoline_kernelINS0_14default_configENS1_35adjacent_difference_config_selectorILb0EfEEZNS1_24adjacent_difference_implIS3_Lb0ELb0EPfS7_N6thrust23THRUST_200600_302600_NS4plusIfEEEE10hipError_tPvRmT2_T3_mT4_P12ihipStream_tbEUlT_E_NS1_11comp_targetILNS1_3genE5ELNS1_11target_archE942ELNS1_3gpuE9ELNS1_3repE0EEENS1_30default_config_static_selectorELNS0_4arch9wavefront6targetE0EEEvT1_,"axG",@progbits,_ZN7rocprim17ROCPRIM_400000_NS6detail17trampoline_kernelINS0_14default_configENS1_35adjacent_difference_config_selectorILb0EfEEZNS1_24adjacent_difference_implIS3_Lb0ELb0EPfS7_N6thrust23THRUST_200600_302600_NS4plusIfEEEE10hipError_tPvRmT2_T3_mT4_P12ihipStream_tbEUlT_E_NS1_11comp_targetILNS1_3genE5ELNS1_11target_archE942ELNS1_3gpuE9ELNS1_3repE0EEENS1_30default_config_static_selectorELNS0_4arch9wavefront6targetE0EEEvT1_,comdat
	.protected	_ZN7rocprim17ROCPRIM_400000_NS6detail17trampoline_kernelINS0_14default_configENS1_35adjacent_difference_config_selectorILb0EfEEZNS1_24adjacent_difference_implIS3_Lb0ELb0EPfS7_N6thrust23THRUST_200600_302600_NS4plusIfEEEE10hipError_tPvRmT2_T3_mT4_P12ihipStream_tbEUlT_E_NS1_11comp_targetILNS1_3genE5ELNS1_11target_archE942ELNS1_3gpuE9ELNS1_3repE0EEENS1_30default_config_static_selectorELNS0_4arch9wavefront6targetE0EEEvT1_ ; -- Begin function _ZN7rocprim17ROCPRIM_400000_NS6detail17trampoline_kernelINS0_14default_configENS1_35adjacent_difference_config_selectorILb0EfEEZNS1_24adjacent_difference_implIS3_Lb0ELb0EPfS7_N6thrust23THRUST_200600_302600_NS4plusIfEEEE10hipError_tPvRmT2_T3_mT4_P12ihipStream_tbEUlT_E_NS1_11comp_targetILNS1_3genE5ELNS1_11target_archE942ELNS1_3gpuE9ELNS1_3repE0EEENS1_30default_config_static_selectorELNS0_4arch9wavefront6targetE0EEEvT1_
	.globl	_ZN7rocprim17ROCPRIM_400000_NS6detail17trampoline_kernelINS0_14default_configENS1_35adjacent_difference_config_selectorILb0EfEEZNS1_24adjacent_difference_implIS3_Lb0ELb0EPfS7_N6thrust23THRUST_200600_302600_NS4plusIfEEEE10hipError_tPvRmT2_T3_mT4_P12ihipStream_tbEUlT_E_NS1_11comp_targetILNS1_3genE5ELNS1_11target_archE942ELNS1_3gpuE9ELNS1_3repE0EEENS1_30default_config_static_selectorELNS0_4arch9wavefront6targetE0EEEvT1_
	.p2align	8
	.type	_ZN7rocprim17ROCPRIM_400000_NS6detail17trampoline_kernelINS0_14default_configENS1_35adjacent_difference_config_selectorILb0EfEEZNS1_24adjacent_difference_implIS3_Lb0ELb0EPfS7_N6thrust23THRUST_200600_302600_NS4plusIfEEEE10hipError_tPvRmT2_T3_mT4_P12ihipStream_tbEUlT_E_NS1_11comp_targetILNS1_3genE5ELNS1_11target_archE942ELNS1_3gpuE9ELNS1_3repE0EEENS1_30default_config_static_selectorELNS0_4arch9wavefront6targetE0EEEvT1_,@function
_ZN7rocprim17ROCPRIM_400000_NS6detail17trampoline_kernelINS0_14default_configENS1_35adjacent_difference_config_selectorILb0EfEEZNS1_24adjacent_difference_implIS3_Lb0ELb0EPfS7_N6thrust23THRUST_200600_302600_NS4plusIfEEEE10hipError_tPvRmT2_T3_mT4_P12ihipStream_tbEUlT_E_NS1_11comp_targetILNS1_3genE5ELNS1_11target_archE942ELNS1_3gpuE9ELNS1_3repE0EEENS1_30default_config_static_selectorELNS0_4arch9wavefront6targetE0EEEvT1_: ; @_ZN7rocprim17ROCPRIM_400000_NS6detail17trampoline_kernelINS0_14default_configENS1_35adjacent_difference_config_selectorILb0EfEEZNS1_24adjacent_difference_implIS3_Lb0ELb0EPfS7_N6thrust23THRUST_200600_302600_NS4plusIfEEEE10hipError_tPvRmT2_T3_mT4_P12ihipStream_tbEUlT_E_NS1_11comp_targetILNS1_3genE5ELNS1_11target_archE942ELNS1_3gpuE9ELNS1_3repE0EEENS1_30default_config_static_selectorELNS0_4arch9wavefront6targetE0EEEvT1_
; %bb.0:
	.section	.rodata,"a",@progbits
	.p2align	6, 0x0
	.amdhsa_kernel _ZN7rocprim17ROCPRIM_400000_NS6detail17trampoline_kernelINS0_14default_configENS1_35adjacent_difference_config_selectorILb0EfEEZNS1_24adjacent_difference_implIS3_Lb0ELb0EPfS7_N6thrust23THRUST_200600_302600_NS4plusIfEEEE10hipError_tPvRmT2_T3_mT4_P12ihipStream_tbEUlT_E_NS1_11comp_targetILNS1_3genE5ELNS1_11target_archE942ELNS1_3gpuE9ELNS1_3repE0EEENS1_30default_config_static_selectorELNS0_4arch9wavefront6targetE0EEEvT1_
		.amdhsa_group_segment_fixed_size 0
		.amdhsa_private_segment_fixed_size 0
		.amdhsa_kernarg_size 56
		.amdhsa_user_sgpr_count 15
		.amdhsa_user_sgpr_dispatch_ptr 0
		.amdhsa_user_sgpr_queue_ptr 0
		.amdhsa_user_sgpr_kernarg_segment_ptr 1
		.amdhsa_user_sgpr_dispatch_id 0
		.amdhsa_user_sgpr_private_segment_size 0
		.amdhsa_wavefront_size32 1
		.amdhsa_uses_dynamic_stack 0
		.amdhsa_enable_private_segment 0
		.amdhsa_system_sgpr_workgroup_id_x 1
		.amdhsa_system_sgpr_workgroup_id_y 0
		.amdhsa_system_sgpr_workgroup_id_z 0
		.amdhsa_system_sgpr_workgroup_info 0
		.amdhsa_system_vgpr_workitem_id 0
		.amdhsa_next_free_vgpr 1
		.amdhsa_next_free_sgpr 1
		.amdhsa_reserve_vcc 0
		.amdhsa_float_round_mode_32 0
		.amdhsa_float_round_mode_16_64 0
		.amdhsa_float_denorm_mode_32 3
		.amdhsa_float_denorm_mode_16_64 3
		.amdhsa_dx10_clamp 1
		.amdhsa_ieee_mode 1
		.amdhsa_fp16_overflow 0
		.amdhsa_workgroup_processor_mode 1
		.amdhsa_memory_ordered 1
		.amdhsa_forward_progress 0
		.amdhsa_shared_vgpr_count 0
		.amdhsa_exception_fp_ieee_invalid_op 0
		.amdhsa_exception_fp_denorm_src 0
		.amdhsa_exception_fp_ieee_div_zero 0
		.amdhsa_exception_fp_ieee_overflow 0
		.amdhsa_exception_fp_ieee_underflow 0
		.amdhsa_exception_fp_ieee_inexact 0
		.amdhsa_exception_int_div_zero 0
	.end_amdhsa_kernel
	.section	.text._ZN7rocprim17ROCPRIM_400000_NS6detail17trampoline_kernelINS0_14default_configENS1_35adjacent_difference_config_selectorILb0EfEEZNS1_24adjacent_difference_implIS3_Lb0ELb0EPfS7_N6thrust23THRUST_200600_302600_NS4plusIfEEEE10hipError_tPvRmT2_T3_mT4_P12ihipStream_tbEUlT_E_NS1_11comp_targetILNS1_3genE5ELNS1_11target_archE942ELNS1_3gpuE9ELNS1_3repE0EEENS1_30default_config_static_selectorELNS0_4arch9wavefront6targetE0EEEvT1_,"axG",@progbits,_ZN7rocprim17ROCPRIM_400000_NS6detail17trampoline_kernelINS0_14default_configENS1_35adjacent_difference_config_selectorILb0EfEEZNS1_24adjacent_difference_implIS3_Lb0ELb0EPfS7_N6thrust23THRUST_200600_302600_NS4plusIfEEEE10hipError_tPvRmT2_T3_mT4_P12ihipStream_tbEUlT_E_NS1_11comp_targetILNS1_3genE5ELNS1_11target_archE942ELNS1_3gpuE9ELNS1_3repE0EEENS1_30default_config_static_selectorELNS0_4arch9wavefront6targetE0EEEvT1_,comdat
.Lfunc_end80:
	.size	_ZN7rocprim17ROCPRIM_400000_NS6detail17trampoline_kernelINS0_14default_configENS1_35adjacent_difference_config_selectorILb0EfEEZNS1_24adjacent_difference_implIS3_Lb0ELb0EPfS7_N6thrust23THRUST_200600_302600_NS4plusIfEEEE10hipError_tPvRmT2_T3_mT4_P12ihipStream_tbEUlT_E_NS1_11comp_targetILNS1_3genE5ELNS1_11target_archE942ELNS1_3gpuE9ELNS1_3repE0EEENS1_30default_config_static_selectorELNS0_4arch9wavefront6targetE0EEEvT1_, .Lfunc_end80-_ZN7rocprim17ROCPRIM_400000_NS6detail17trampoline_kernelINS0_14default_configENS1_35adjacent_difference_config_selectorILb0EfEEZNS1_24adjacent_difference_implIS3_Lb0ELb0EPfS7_N6thrust23THRUST_200600_302600_NS4plusIfEEEE10hipError_tPvRmT2_T3_mT4_P12ihipStream_tbEUlT_E_NS1_11comp_targetILNS1_3genE5ELNS1_11target_archE942ELNS1_3gpuE9ELNS1_3repE0EEENS1_30default_config_static_selectorELNS0_4arch9wavefront6targetE0EEEvT1_
                                        ; -- End function
	.section	.AMDGPU.csdata,"",@progbits
; Kernel info:
; codeLenInByte = 0
; NumSgprs: 0
; NumVgprs: 0
; ScratchSize: 0
; MemoryBound: 0
; FloatMode: 240
; IeeeMode: 1
; LDSByteSize: 0 bytes/workgroup (compile time only)
; SGPRBlocks: 0
; VGPRBlocks: 0
; NumSGPRsForWavesPerEU: 1
; NumVGPRsForWavesPerEU: 1
; Occupancy: 16
; WaveLimiterHint : 0
; COMPUTE_PGM_RSRC2:SCRATCH_EN: 0
; COMPUTE_PGM_RSRC2:USER_SGPR: 15
; COMPUTE_PGM_RSRC2:TRAP_HANDLER: 0
; COMPUTE_PGM_RSRC2:TGID_X_EN: 1
; COMPUTE_PGM_RSRC2:TGID_Y_EN: 0
; COMPUTE_PGM_RSRC2:TGID_Z_EN: 0
; COMPUTE_PGM_RSRC2:TIDIG_COMP_CNT: 0
	.section	.text._ZN7rocprim17ROCPRIM_400000_NS6detail17trampoline_kernelINS0_14default_configENS1_35adjacent_difference_config_selectorILb0EfEEZNS1_24adjacent_difference_implIS3_Lb0ELb0EPfS7_N6thrust23THRUST_200600_302600_NS4plusIfEEEE10hipError_tPvRmT2_T3_mT4_P12ihipStream_tbEUlT_E_NS1_11comp_targetILNS1_3genE4ELNS1_11target_archE910ELNS1_3gpuE8ELNS1_3repE0EEENS1_30default_config_static_selectorELNS0_4arch9wavefront6targetE0EEEvT1_,"axG",@progbits,_ZN7rocprim17ROCPRIM_400000_NS6detail17trampoline_kernelINS0_14default_configENS1_35adjacent_difference_config_selectorILb0EfEEZNS1_24adjacent_difference_implIS3_Lb0ELb0EPfS7_N6thrust23THRUST_200600_302600_NS4plusIfEEEE10hipError_tPvRmT2_T3_mT4_P12ihipStream_tbEUlT_E_NS1_11comp_targetILNS1_3genE4ELNS1_11target_archE910ELNS1_3gpuE8ELNS1_3repE0EEENS1_30default_config_static_selectorELNS0_4arch9wavefront6targetE0EEEvT1_,comdat
	.protected	_ZN7rocprim17ROCPRIM_400000_NS6detail17trampoline_kernelINS0_14default_configENS1_35adjacent_difference_config_selectorILb0EfEEZNS1_24adjacent_difference_implIS3_Lb0ELb0EPfS7_N6thrust23THRUST_200600_302600_NS4plusIfEEEE10hipError_tPvRmT2_T3_mT4_P12ihipStream_tbEUlT_E_NS1_11comp_targetILNS1_3genE4ELNS1_11target_archE910ELNS1_3gpuE8ELNS1_3repE0EEENS1_30default_config_static_selectorELNS0_4arch9wavefront6targetE0EEEvT1_ ; -- Begin function _ZN7rocprim17ROCPRIM_400000_NS6detail17trampoline_kernelINS0_14default_configENS1_35adjacent_difference_config_selectorILb0EfEEZNS1_24adjacent_difference_implIS3_Lb0ELb0EPfS7_N6thrust23THRUST_200600_302600_NS4plusIfEEEE10hipError_tPvRmT2_T3_mT4_P12ihipStream_tbEUlT_E_NS1_11comp_targetILNS1_3genE4ELNS1_11target_archE910ELNS1_3gpuE8ELNS1_3repE0EEENS1_30default_config_static_selectorELNS0_4arch9wavefront6targetE0EEEvT1_
	.globl	_ZN7rocprim17ROCPRIM_400000_NS6detail17trampoline_kernelINS0_14default_configENS1_35adjacent_difference_config_selectorILb0EfEEZNS1_24adjacent_difference_implIS3_Lb0ELb0EPfS7_N6thrust23THRUST_200600_302600_NS4plusIfEEEE10hipError_tPvRmT2_T3_mT4_P12ihipStream_tbEUlT_E_NS1_11comp_targetILNS1_3genE4ELNS1_11target_archE910ELNS1_3gpuE8ELNS1_3repE0EEENS1_30default_config_static_selectorELNS0_4arch9wavefront6targetE0EEEvT1_
	.p2align	8
	.type	_ZN7rocprim17ROCPRIM_400000_NS6detail17trampoline_kernelINS0_14default_configENS1_35adjacent_difference_config_selectorILb0EfEEZNS1_24adjacent_difference_implIS3_Lb0ELb0EPfS7_N6thrust23THRUST_200600_302600_NS4plusIfEEEE10hipError_tPvRmT2_T3_mT4_P12ihipStream_tbEUlT_E_NS1_11comp_targetILNS1_3genE4ELNS1_11target_archE910ELNS1_3gpuE8ELNS1_3repE0EEENS1_30default_config_static_selectorELNS0_4arch9wavefront6targetE0EEEvT1_,@function
_ZN7rocprim17ROCPRIM_400000_NS6detail17trampoline_kernelINS0_14default_configENS1_35adjacent_difference_config_selectorILb0EfEEZNS1_24adjacent_difference_implIS3_Lb0ELb0EPfS7_N6thrust23THRUST_200600_302600_NS4plusIfEEEE10hipError_tPvRmT2_T3_mT4_P12ihipStream_tbEUlT_E_NS1_11comp_targetILNS1_3genE4ELNS1_11target_archE910ELNS1_3gpuE8ELNS1_3repE0EEENS1_30default_config_static_selectorELNS0_4arch9wavefront6targetE0EEEvT1_: ; @_ZN7rocprim17ROCPRIM_400000_NS6detail17trampoline_kernelINS0_14default_configENS1_35adjacent_difference_config_selectorILb0EfEEZNS1_24adjacent_difference_implIS3_Lb0ELb0EPfS7_N6thrust23THRUST_200600_302600_NS4plusIfEEEE10hipError_tPvRmT2_T3_mT4_P12ihipStream_tbEUlT_E_NS1_11comp_targetILNS1_3genE4ELNS1_11target_archE910ELNS1_3gpuE8ELNS1_3repE0EEENS1_30default_config_static_selectorELNS0_4arch9wavefront6targetE0EEEvT1_
; %bb.0:
	.section	.rodata,"a",@progbits
	.p2align	6, 0x0
	.amdhsa_kernel _ZN7rocprim17ROCPRIM_400000_NS6detail17trampoline_kernelINS0_14default_configENS1_35adjacent_difference_config_selectorILb0EfEEZNS1_24adjacent_difference_implIS3_Lb0ELb0EPfS7_N6thrust23THRUST_200600_302600_NS4plusIfEEEE10hipError_tPvRmT2_T3_mT4_P12ihipStream_tbEUlT_E_NS1_11comp_targetILNS1_3genE4ELNS1_11target_archE910ELNS1_3gpuE8ELNS1_3repE0EEENS1_30default_config_static_selectorELNS0_4arch9wavefront6targetE0EEEvT1_
		.amdhsa_group_segment_fixed_size 0
		.amdhsa_private_segment_fixed_size 0
		.amdhsa_kernarg_size 56
		.amdhsa_user_sgpr_count 15
		.amdhsa_user_sgpr_dispatch_ptr 0
		.amdhsa_user_sgpr_queue_ptr 0
		.amdhsa_user_sgpr_kernarg_segment_ptr 1
		.amdhsa_user_sgpr_dispatch_id 0
		.amdhsa_user_sgpr_private_segment_size 0
		.amdhsa_wavefront_size32 1
		.amdhsa_uses_dynamic_stack 0
		.amdhsa_enable_private_segment 0
		.amdhsa_system_sgpr_workgroup_id_x 1
		.amdhsa_system_sgpr_workgroup_id_y 0
		.amdhsa_system_sgpr_workgroup_id_z 0
		.amdhsa_system_sgpr_workgroup_info 0
		.amdhsa_system_vgpr_workitem_id 0
		.amdhsa_next_free_vgpr 1
		.amdhsa_next_free_sgpr 1
		.amdhsa_reserve_vcc 0
		.amdhsa_float_round_mode_32 0
		.amdhsa_float_round_mode_16_64 0
		.amdhsa_float_denorm_mode_32 3
		.amdhsa_float_denorm_mode_16_64 3
		.amdhsa_dx10_clamp 1
		.amdhsa_ieee_mode 1
		.amdhsa_fp16_overflow 0
		.amdhsa_workgroup_processor_mode 1
		.amdhsa_memory_ordered 1
		.amdhsa_forward_progress 0
		.amdhsa_shared_vgpr_count 0
		.amdhsa_exception_fp_ieee_invalid_op 0
		.amdhsa_exception_fp_denorm_src 0
		.amdhsa_exception_fp_ieee_div_zero 0
		.amdhsa_exception_fp_ieee_overflow 0
		.amdhsa_exception_fp_ieee_underflow 0
		.amdhsa_exception_fp_ieee_inexact 0
		.amdhsa_exception_int_div_zero 0
	.end_amdhsa_kernel
	.section	.text._ZN7rocprim17ROCPRIM_400000_NS6detail17trampoline_kernelINS0_14default_configENS1_35adjacent_difference_config_selectorILb0EfEEZNS1_24adjacent_difference_implIS3_Lb0ELb0EPfS7_N6thrust23THRUST_200600_302600_NS4plusIfEEEE10hipError_tPvRmT2_T3_mT4_P12ihipStream_tbEUlT_E_NS1_11comp_targetILNS1_3genE4ELNS1_11target_archE910ELNS1_3gpuE8ELNS1_3repE0EEENS1_30default_config_static_selectorELNS0_4arch9wavefront6targetE0EEEvT1_,"axG",@progbits,_ZN7rocprim17ROCPRIM_400000_NS6detail17trampoline_kernelINS0_14default_configENS1_35adjacent_difference_config_selectorILb0EfEEZNS1_24adjacent_difference_implIS3_Lb0ELb0EPfS7_N6thrust23THRUST_200600_302600_NS4plusIfEEEE10hipError_tPvRmT2_T3_mT4_P12ihipStream_tbEUlT_E_NS1_11comp_targetILNS1_3genE4ELNS1_11target_archE910ELNS1_3gpuE8ELNS1_3repE0EEENS1_30default_config_static_selectorELNS0_4arch9wavefront6targetE0EEEvT1_,comdat
.Lfunc_end81:
	.size	_ZN7rocprim17ROCPRIM_400000_NS6detail17trampoline_kernelINS0_14default_configENS1_35adjacent_difference_config_selectorILb0EfEEZNS1_24adjacent_difference_implIS3_Lb0ELb0EPfS7_N6thrust23THRUST_200600_302600_NS4plusIfEEEE10hipError_tPvRmT2_T3_mT4_P12ihipStream_tbEUlT_E_NS1_11comp_targetILNS1_3genE4ELNS1_11target_archE910ELNS1_3gpuE8ELNS1_3repE0EEENS1_30default_config_static_selectorELNS0_4arch9wavefront6targetE0EEEvT1_, .Lfunc_end81-_ZN7rocprim17ROCPRIM_400000_NS6detail17trampoline_kernelINS0_14default_configENS1_35adjacent_difference_config_selectorILb0EfEEZNS1_24adjacent_difference_implIS3_Lb0ELb0EPfS7_N6thrust23THRUST_200600_302600_NS4plusIfEEEE10hipError_tPvRmT2_T3_mT4_P12ihipStream_tbEUlT_E_NS1_11comp_targetILNS1_3genE4ELNS1_11target_archE910ELNS1_3gpuE8ELNS1_3repE0EEENS1_30default_config_static_selectorELNS0_4arch9wavefront6targetE0EEEvT1_
                                        ; -- End function
	.section	.AMDGPU.csdata,"",@progbits
; Kernel info:
; codeLenInByte = 0
; NumSgprs: 0
; NumVgprs: 0
; ScratchSize: 0
; MemoryBound: 0
; FloatMode: 240
; IeeeMode: 1
; LDSByteSize: 0 bytes/workgroup (compile time only)
; SGPRBlocks: 0
; VGPRBlocks: 0
; NumSGPRsForWavesPerEU: 1
; NumVGPRsForWavesPerEU: 1
; Occupancy: 16
; WaveLimiterHint : 0
; COMPUTE_PGM_RSRC2:SCRATCH_EN: 0
; COMPUTE_PGM_RSRC2:USER_SGPR: 15
; COMPUTE_PGM_RSRC2:TRAP_HANDLER: 0
; COMPUTE_PGM_RSRC2:TGID_X_EN: 1
; COMPUTE_PGM_RSRC2:TGID_Y_EN: 0
; COMPUTE_PGM_RSRC2:TGID_Z_EN: 0
; COMPUTE_PGM_RSRC2:TIDIG_COMP_CNT: 0
	.section	.text._ZN7rocprim17ROCPRIM_400000_NS6detail17trampoline_kernelINS0_14default_configENS1_35adjacent_difference_config_selectorILb0EfEEZNS1_24adjacent_difference_implIS3_Lb0ELb0EPfS7_N6thrust23THRUST_200600_302600_NS4plusIfEEEE10hipError_tPvRmT2_T3_mT4_P12ihipStream_tbEUlT_E_NS1_11comp_targetILNS1_3genE3ELNS1_11target_archE908ELNS1_3gpuE7ELNS1_3repE0EEENS1_30default_config_static_selectorELNS0_4arch9wavefront6targetE0EEEvT1_,"axG",@progbits,_ZN7rocprim17ROCPRIM_400000_NS6detail17trampoline_kernelINS0_14default_configENS1_35adjacent_difference_config_selectorILb0EfEEZNS1_24adjacent_difference_implIS3_Lb0ELb0EPfS7_N6thrust23THRUST_200600_302600_NS4plusIfEEEE10hipError_tPvRmT2_T3_mT4_P12ihipStream_tbEUlT_E_NS1_11comp_targetILNS1_3genE3ELNS1_11target_archE908ELNS1_3gpuE7ELNS1_3repE0EEENS1_30default_config_static_selectorELNS0_4arch9wavefront6targetE0EEEvT1_,comdat
	.protected	_ZN7rocprim17ROCPRIM_400000_NS6detail17trampoline_kernelINS0_14default_configENS1_35adjacent_difference_config_selectorILb0EfEEZNS1_24adjacent_difference_implIS3_Lb0ELb0EPfS7_N6thrust23THRUST_200600_302600_NS4plusIfEEEE10hipError_tPvRmT2_T3_mT4_P12ihipStream_tbEUlT_E_NS1_11comp_targetILNS1_3genE3ELNS1_11target_archE908ELNS1_3gpuE7ELNS1_3repE0EEENS1_30default_config_static_selectorELNS0_4arch9wavefront6targetE0EEEvT1_ ; -- Begin function _ZN7rocprim17ROCPRIM_400000_NS6detail17trampoline_kernelINS0_14default_configENS1_35adjacent_difference_config_selectorILb0EfEEZNS1_24adjacent_difference_implIS3_Lb0ELb0EPfS7_N6thrust23THRUST_200600_302600_NS4plusIfEEEE10hipError_tPvRmT2_T3_mT4_P12ihipStream_tbEUlT_E_NS1_11comp_targetILNS1_3genE3ELNS1_11target_archE908ELNS1_3gpuE7ELNS1_3repE0EEENS1_30default_config_static_selectorELNS0_4arch9wavefront6targetE0EEEvT1_
	.globl	_ZN7rocprim17ROCPRIM_400000_NS6detail17trampoline_kernelINS0_14default_configENS1_35adjacent_difference_config_selectorILb0EfEEZNS1_24adjacent_difference_implIS3_Lb0ELb0EPfS7_N6thrust23THRUST_200600_302600_NS4plusIfEEEE10hipError_tPvRmT2_T3_mT4_P12ihipStream_tbEUlT_E_NS1_11comp_targetILNS1_3genE3ELNS1_11target_archE908ELNS1_3gpuE7ELNS1_3repE0EEENS1_30default_config_static_selectorELNS0_4arch9wavefront6targetE0EEEvT1_
	.p2align	8
	.type	_ZN7rocprim17ROCPRIM_400000_NS6detail17trampoline_kernelINS0_14default_configENS1_35adjacent_difference_config_selectorILb0EfEEZNS1_24adjacent_difference_implIS3_Lb0ELb0EPfS7_N6thrust23THRUST_200600_302600_NS4plusIfEEEE10hipError_tPvRmT2_T3_mT4_P12ihipStream_tbEUlT_E_NS1_11comp_targetILNS1_3genE3ELNS1_11target_archE908ELNS1_3gpuE7ELNS1_3repE0EEENS1_30default_config_static_selectorELNS0_4arch9wavefront6targetE0EEEvT1_,@function
_ZN7rocprim17ROCPRIM_400000_NS6detail17trampoline_kernelINS0_14default_configENS1_35adjacent_difference_config_selectorILb0EfEEZNS1_24adjacent_difference_implIS3_Lb0ELb0EPfS7_N6thrust23THRUST_200600_302600_NS4plusIfEEEE10hipError_tPvRmT2_T3_mT4_P12ihipStream_tbEUlT_E_NS1_11comp_targetILNS1_3genE3ELNS1_11target_archE908ELNS1_3gpuE7ELNS1_3repE0EEENS1_30default_config_static_selectorELNS0_4arch9wavefront6targetE0EEEvT1_: ; @_ZN7rocprim17ROCPRIM_400000_NS6detail17trampoline_kernelINS0_14default_configENS1_35adjacent_difference_config_selectorILb0EfEEZNS1_24adjacent_difference_implIS3_Lb0ELb0EPfS7_N6thrust23THRUST_200600_302600_NS4plusIfEEEE10hipError_tPvRmT2_T3_mT4_P12ihipStream_tbEUlT_E_NS1_11comp_targetILNS1_3genE3ELNS1_11target_archE908ELNS1_3gpuE7ELNS1_3repE0EEENS1_30default_config_static_selectorELNS0_4arch9wavefront6targetE0EEEvT1_
; %bb.0:
	.section	.rodata,"a",@progbits
	.p2align	6, 0x0
	.amdhsa_kernel _ZN7rocprim17ROCPRIM_400000_NS6detail17trampoline_kernelINS0_14default_configENS1_35adjacent_difference_config_selectorILb0EfEEZNS1_24adjacent_difference_implIS3_Lb0ELb0EPfS7_N6thrust23THRUST_200600_302600_NS4plusIfEEEE10hipError_tPvRmT2_T3_mT4_P12ihipStream_tbEUlT_E_NS1_11comp_targetILNS1_3genE3ELNS1_11target_archE908ELNS1_3gpuE7ELNS1_3repE0EEENS1_30default_config_static_selectorELNS0_4arch9wavefront6targetE0EEEvT1_
		.amdhsa_group_segment_fixed_size 0
		.amdhsa_private_segment_fixed_size 0
		.amdhsa_kernarg_size 56
		.amdhsa_user_sgpr_count 15
		.amdhsa_user_sgpr_dispatch_ptr 0
		.amdhsa_user_sgpr_queue_ptr 0
		.amdhsa_user_sgpr_kernarg_segment_ptr 1
		.amdhsa_user_sgpr_dispatch_id 0
		.amdhsa_user_sgpr_private_segment_size 0
		.amdhsa_wavefront_size32 1
		.amdhsa_uses_dynamic_stack 0
		.amdhsa_enable_private_segment 0
		.amdhsa_system_sgpr_workgroup_id_x 1
		.amdhsa_system_sgpr_workgroup_id_y 0
		.amdhsa_system_sgpr_workgroup_id_z 0
		.amdhsa_system_sgpr_workgroup_info 0
		.amdhsa_system_vgpr_workitem_id 0
		.amdhsa_next_free_vgpr 1
		.amdhsa_next_free_sgpr 1
		.amdhsa_reserve_vcc 0
		.amdhsa_float_round_mode_32 0
		.amdhsa_float_round_mode_16_64 0
		.amdhsa_float_denorm_mode_32 3
		.amdhsa_float_denorm_mode_16_64 3
		.amdhsa_dx10_clamp 1
		.amdhsa_ieee_mode 1
		.amdhsa_fp16_overflow 0
		.amdhsa_workgroup_processor_mode 1
		.amdhsa_memory_ordered 1
		.amdhsa_forward_progress 0
		.amdhsa_shared_vgpr_count 0
		.amdhsa_exception_fp_ieee_invalid_op 0
		.amdhsa_exception_fp_denorm_src 0
		.amdhsa_exception_fp_ieee_div_zero 0
		.amdhsa_exception_fp_ieee_overflow 0
		.amdhsa_exception_fp_ieee_underflow 0
		.amdhsa_exception_fp_ieee_inexact 0
		.amdhsa_exception_int_div_zero 0
	.end_amdhsa_kernel
	.section	.text._ZN7rocprim17ROCPRIM_400000_NS6detail17trampoline_kernelINS0_14default_configENS1_35adjacent_difference_config_selectorILb0EfEEZNS1_24adjacent_difference_implIS3_Lb0ELb0EPfS7_N6thrust23THRUST_200600_302600_NS4plusIfEEEE10hipError_tPvRmT2_T3_mT4_P12ihipStream_tbEUlT_E_NS1_11comp_targetILNS1_3genE3ELNS1_11target_archE908ELNS1_3gpuE7ELNS1_3repE0EEENS1_30default_config_static_selectorELNS0_4arch9wavefront6targetE0EEEvT1_,"axG",@progbits,_ZN7rocprim17ROCPRIM_400000_NS6detail17trampoline_kernelINS0_14default_configENS1_35adjacent_difference_config_selectorILb0EfEEZNS1_24adjacent_difference_implIS3_Lb0ELb0EPfS7_N6thrust23THRUST_200600_302600_NS4plusIfEEEE10hipError_tPvRmT2_T3_mT4_P12ihipStream_tbEUlT_E_NS1_11comp_targetILNS1_3genE3ELNS1_11target_archE908ELNS1_3gpuE7ELNS1_3repE0EEENS1_30default_config_static_selectorELNS0_4arch9wavefront6targetE0EEEvT1_,comdat
.Lfunc_end82:
	.size	_ZN7rocprim17ROCPRIM_400000_NS6detail17trampoline_kernelINS0_14default_configENS1_35adjacent_difference_config_selectorILb0EfEEZNS1_24adjacent_difference_implIS3_Lb0ELb0EPfS7_N6thrust23THRUST_200600_302600_NS4plusIfEEEE10hipError_tPvRmT2_T3_mT4_P12ihipStream_tbEUlT_E_NS1_11comp_targetILNS1_3genE3ELNS1_11target_archE908ELNS1_3gpuE7ELNS1_3repE0EEENS1_30default_config_static_selectorELNS0_4arch9wavefront6targetE0EEEvT1_, .Lfunc_end82-_ZN7rocprim17ROCPRIM_400000_NS6detail17trampoline_kernelINS0_14default_configENS1_35adjacent_difference_config_selectorILb0EfEEZNS1_24adjacent_difference_implIS3_Lb0ELb0EPfS7_N6thrust23THRUST_200600_302600_NS4plusIfEEEE10hipError_tPvRmT2_T3_mT4_P12ihipStream_tbEUlT_E_NS1_11comp_targetILNS1_3genE3ELNS1_11target_archE908ELNS1_3gpuE7ELNS1_3repE0EEENS1_30default_config_static_selectorELNS0_4arch9wavefront6targetE0EEEvT1_
                                        ; -- End function
	.section	.AMDGPU.csdata,"",@progbits
; Kernel info:
; codeLenInByte = 0
; NumSgprs: 0
; NumVgprs: 0
; ScratchSize: 0
; MemoryBound: 0
; FloatMode: 240
; IeeeMode: 1
; LDSByteSize: 0 bytes/workgroup (compile time only)
; SGPRBlocks: 0
; VGPRBlocks: 0
; NumSGPRsForWavesPerEU: 1
; NumVGPRsForWavesPerEU: 1
; Occupancy: 16
; WaveLimiterHint : 0
; COMPUTE_PGM_RSRC2:SCRATCH_EN: 0
; COMPUTE_PGM_RSRC2:USER_SGPR: 15
; COMPUTE_PGM_RSRC2:TRAP_HANDLER: 0
; COMPUTE_PGM_RSRC2:TGID_X_EN: 1
; COMPUTE_PGM_RSRC2:TGID_Y_EN: 0
; COMPUTE_PGM_RSRC2:TGID_Z_EN: 0
; COMPUTE_PGM_RSRC2:TIDIG_COMP_CNT: 0
	.section	.text._ZN7rocprim17ROCPRIM_400000_NS6detail17trampoline_kernelINS0_14default_configENS1_35adjacent_difference_config_selectorILb0EfEEZNS1_24adjacent_difference_implIS3_Lb0ELb0EPfS7_N6thrust23THRUST_200600_302600_NS4plusIfEEEE10hipError_tPvRmT2_T3_mT4_P12ihipStream_tbEUlT_E_NS1_11comp_targetILNS1_3genE2ELNS1_11target_archE906ELNS1_3gpuE6ELNS1_3repE0EEENS1_30default_config_static_selectorELNS0_4arch9wavefront6targetE0EEEvT1_,"axG",@progbits,_ZN7rocprim17ROCPRIM_400000_NS6detail17trampoline_kernelINS0_14default_configENS1_35adjacent_difference_config_selectorILb0EfEEZNS1_24adjacent_difference_implIS3_Lb0ELb0EPfS7_N6thrust23THRUST_200600_302600_NS4plusIfEEEE10hipError_tPvRmT2_T3_mT4_P12ihipStream_tbEUlT_E_NS1_11comp_targetILNS1_3genE2ELNS1_11target_archE906ELNS1_3gpuE6ELNS1_3repE0EEENS1_30default_config_static_selectorELNS0_4arch9wavefront6targetE0EEEvT1_,comdat
	.protected	_ZN7rocprim17ROCPRIM_400000_NS6detail17trampoline_kernelINS0_14default_configENS1_35adjacent_difference_config_selectorILb0EfEEZNS1_24adjacent_difference_implIS3_Lb0ELb0EPfS7_N6thrust23THRUST_200600_302600_NS4plusIfEEEE10hipError_tPvRmT2_T3_mT4_P12ihipStream_tbEUlT_E_NS1_11comp_targetILNS1_3genE2ELNS1_11target_archE906ELNS1_3gpuE6ELNS1_3repE0EEENS1_30default_config_static_selectorELNS0_4arch9wavefront6targetE0EEEvT1_ ; -- Begin function _ZN7rocprim17ROCPRIM_400000_NS6detail17trampoline_kernelINS0_14default_configENS1_35adjacent_difference_config_selectorILb0EfEEZNS1_24adjacent_difference_implIS3_Lb0ELb0EPfS7_N6thrust23THRUST_200600_302600_NS4plusIfEEEE10hipError_tPvRmT2_T3_mT4_P12ihipStream_tbEUlT_E_NS1_11comp_targetILNS1_3genE2ELNS1_11target_archE906ELNS1_3gpuE6ELNS1_3repE0EEENS1_30default_config_static_selectorELNS0_4arch9wavefront6targetE0EEEvT1_
	.globl	_ZN7rocprim17ROCPRIM_400000_NS6detail17trampoline_kernelINS0_14default_configENS1_35adjacent_difference_config_selectorILb0EfEEZNS1_24adjacent_difference_implIS3_Lb0ELb0EPfS7_N6thrust23THRUST_200600_302600_NS4plusIfEEEE10hipError_tPvRmT2_T3_mT4_P12ihipStream_tbEUlT_E_NS1_11comp_targetILNS1_3genE2ELNS1_11target_archE906ELNS1_3gpuE6ELNS1_3repE0EEENS1_30default_config_static_selectorELNS0_4arch9wavefront6targetE0EEEvT1_
	.p2align	8
	.type	_ZN7rocprim17ROCPRIM_400000_NS6detail17trampoline_kernelINS0_14default_configENS1_35adjacent_difference_config_selectorILb0EfEEZNS1_24adjacent_difference_implIS3_Lb0ELb0EPfS7_N6thrust23THRUST_200600_302600_NS4plusIfEEEE10hipError_tPvRmT2_T3_mT4_P12ihipStream_tbEUlT_E_NS1_11comp_targetILNS1_3genE2ELNS1_11target_archE906ELNS1_3gpuE6ELNS1_3repE0EEENS1_30default_config_static_selectorELNS0_4arch9wavefront6targetE0EEEvT1_,@function
_ZN7rocprim17ROCPRIM_400000_NS6detail17trampoline_kernelINS0_14default_configENS1_35adjacent_difference_config_selectorILb0EfEEZNS1_24adjacent_difference_implIS3_Lb0ELb0EPfS7_N6thrust23THRUST_200600_302600_NS4plusIfEEEE10hipError_tPvRmT2_T3_mT4_P12ihipStream_tbEUlT_E_NS1_11comp_targetILNS1_3genE2ELNS1_11target_archE906ELNS1_3gpuE6ELNS1_3repE0EEENS1_30default_config_static_selectorELNS0_4arch9wavefront6targetE0EEEvT1_: ; @_ZN7rocprim17ROCPRIM_400000_NS6detail17trampoline_kernelINS0_14default_configENS1_35adjacent_difference_config_selectorILb0EfEEZNS1_24adjacent_difference_implIS3_Lb0ELb0EPfS7_N6thrust23THRUST_200600_302600_NS4plusIfEEEE10hipError_tPvRmT2_T3_mT4_P12ihipStream_tbEUlT_E_NS1_11comp_targetILNS1_3genE2ELNS1_11target_archE906ELNS1_3gpuE6ELNS1_3repE0EEENS1_30default_config_static_selectorELNS0_4arch9wavefront6targetE0EEEvT1_
; %bb.0:
	.section	.rodata,"a",@progbits
	.p2align	6, 0x0
	.amdhsa_kernel _ZN7rocprim17ROCPRIM_400000_NS6detail17trampoline_kernelINS0_14default_configENS1_35adjacent_difference_config_selectorILb0EfEEZNS1_24adjacent_difference_implIS3_Lb0ELb0EPfS7_N6thrust23THRUST_200600_302600_NS4plusIfEEEE10hipError_tPvRmT2_T3_mT4_P12ihipStream_tbEUlT_E_NS1_11comp_targetILNS1_3genE2ELNS1_11target_archE906ELNS1_3gpuE6ELNS1_3repE0EEENS1_30default_config_static_selectorELNS0_4arch9wavefront6targetE0EEEvT1_
		.amdhsa_group_segment_fixed_size 0
		.amdhsa_private_segment_fixed_size 0
		.amdhsa_kernarg_size 56
		.amdhsa_user_sgpr_count 15
		.amdhsa_user_sgpr_dispatch_ptr 0
		.amdhsa_user_sgpr_queue_ptr 0
		.amdhsa_user_sgpr_kernarg_segment_ptr 1
		.amdhsa_user_sgpr_dispatch_id 0
		.amdhsa_user_sgpr_private_segment_size 0
		.amdhsa_wavefront_size32 1
		.amdhsa_uses_dynamic_stack 0
		.amdhsa_enable_private_segment 0
		.amdhsa_system_sgpr_workgroup_id_x 1
		.amdhsa_system_sgpr_workgroup_id_y 0
		.amdhsa_system_sgpr_workgroup_id_z 0
		.amdhsa_system_sgpr_workgroup_info 0
		.amdhsa_system_vgpr_workitem_id 0
		.amdhsa_next_free_vgpr 1
		.amdhsa_next_free_sgpr 1
		.amdhsa_reserve_vcc 0
		.amdhsa_float_round_mode_32 0
		.amdhsa_float_round_mode_16_64 0
		.amdhsa_float_denorm_mode_32 3
		.amdhsa_float_denorm_mode_16_64 3
		.amdhsa_dx10_clamp 1
		.amdhsa_ieee_mode 1
		.amdhsa_fp16_overflow 0
		.amdhsa_workgroup_processor_mode 1
		.amdhsa_memory_ordered 1
		.amdhsa_forward_progress 0
		.amdhsa_shared_vgpr_count 0
		.amdhsa_exception_fp_ieee_invalid_op 0
		.amdhsa_exception_fp_denorm_src 0
		.amdhsa_exception_fp_ieee_div_zero 0
		.amdhsa_exception_fp_ieee_overflow 0
		.amdhsa_exception_fp_ieee_underflow 0
		.amdhsa_exception_fp_ieee_inexact 0
		.amdhsa_exception_int_div_zero 0
	.end_amdhsa_kernel
	.section	.text._ZN7rocprim17ROCPRIM_400000_NS6detail17trampoline_kernelINS0_14default_configENS1_35adjacent_difference_config_selectorILb0EfEEZNS1_24adjacent_difference_implIS3_Lb0ELb0EPfS7_N6thrust23THRUST_200600_302600_NS4plusIfEEEE10hipError_tPvRmT2_T3_mT4_P12ihipStream_tbEUlT_E_NS1_11comp_targetILNS1_3genE2ELNS1_11target_archE906ELNS1_3gpuE6ELNS1_3repE0EEENS1_30default_config_static_selectorELNS0_4arch9wavefront6targetE0EEEvT1_,"axG",@progbits,_ZN7rocprim17ROCPRIM_400000_NS6detail17trampoline_kernelINS0_14default_configENS1_35adjacent_difference_config_selectorILb0EfEEZNS1_24adjacent_difference_implIS3_Lb0ELb0EPfS7_N6thrust23THRUST_200600_302600_NS4plusIfEEEE10hipError_tPvRmT2_T3_mT4_P12ihipStream_tbEUlT_E_NS1_11comp_targetILNS1_3genE2ELNS1_11target_archE906ELNS1_3gpuE6ELNS1_3repE0EEENS1_30default_config_static_selectorELNS0_4arch9wavefront6targetE0EEEvT1_,comdat
.Lfunc_end83:
	.size	_ZN7rocprim17ROCPRIM_400000_NS6detail17trampoline_kernelINS0_14default_configENS1_35adjacent_difference_config_selectorILb0EfEEZNS1_24adjacent_difference_implIS3_Lb0ELb0EPfS7_N6thrust23THRUST_200600_302600_NS4plusIfEEEE10hipError_tPvRmT2_T3_mT4_P12ihipStream_tbEUlT_E_NS1_11comp_targetILNS1_3genE2ELNS1_11target_archE906ELNS1_3gpuE6ELNS1_3repE0EEENS1_30default_config_static_selectorELNS0_4arch9wavefront6targetE0EEEvT1_, .Lfunc_end83-_ZN7rocprim17ROCPRIM_400000_NS6detail17trampoline_kernelINS0_14default_configENS1_35adjacent_difference_config_selectorILb0EfEEZNS1_24adjacent_difference_implIS3_Lb0ELb0EPfS7_N6thrust23THRUST_200600_302600_NS4plusIfEEEE10hipError_tPvRmT2_T3_mT4_P12ihipStream_tbEUlT_E_NS1_11comp_targetILNS1_3genE2ELNS1_11target_archE906ELNS1_3gpuE6ELNS1_3repE0EEENS1_30default_config_static_selectorELNS0_4arch9wavefront6targetE0EEEvT1_
                                        ; -- End function
	.section	.AMDGPU.csdata,"",@progbits
; Kernel info:
; codeLenInByte = 0
; NumSgprs: 0
; NumVgprs: 0
; ScratchSize: 0
; MemoryBound: 0
; FloatMode: 240
; IeeeMode: 1
; LDSByteSize: 0 bytes/workgroup (compile time only)
; SGPRBlocks: 0
; VGPRBlocks: 0
; NumSGPRsForWavesPerEU: 1
; NumVGPRsForWavesPerEU: 1
; Occupancy: 16
; WaveLimiterHint : 0
; COMPUTE_PGM_RSRC2:SCRATCH_EN: 0
; COMPUTE_PGM_RSRC2:USER_SGPR: 15
; COMPUTE_PGM_RSRC2:TRAP_HANDLER: 0
; COMPUTE_PGM_RSRC2:TGID_X_EN: 1
; COMPUTE_PGM_RSRC2:TGID_Y_EN: 0
; COMPUTE_PGM_RSRC2:TGID_Z_EN: 0
; COMPUTE_PGM_RSRC2:TIDIG_COMP_CNT: 0
	.section	.text._ZN7rocprim17ROCPRIM_400000_NS6detail17trampoline_kernelINS0_14default_configENS1_35adjacent_difference_config_selectorILb0EfEEZNS1_24adjacent_difference_implIS3_Lb0ELb0EPfS7_N6thrust23THRUST_200600_302600_NS4plusIfEEEE10hipError_tPvRmT2_T3_mT4_P12ihipStream_tbEUlT_E_NS1_11comp_targetILNS1_3genE9ELNS1_11target_archE1100ELNS1_3gpuE3ELNS1_3repE0EEENS1_30default_config_static_selectorELNS0_4arch9wavefront6targetE0EEEvT1_,"axG",@progbits,_ZN7rocprim17ROCPRIM_400000_NS6detail17trampoline_kernelINS0_14default_configENS1_35adjacent_difference_config_selectorILb0EfEEZNS1_24adjacent_difference_implIS3_Lb0ELb0EPfS7_N6thrust23THRUST_200600_302600_NS4plusIfEEEE10hipError_tPvRmT2_T3_mT4_P12ihipStream_tbEUlT_E_NS1_11comp_targetILNS1_3genE9ELNS1_11target_archE1100ELNS1_3gpuE3ELNS1_3repE0EEENS1_30default_config_static_selectorELNS0_4arch9wavefront6targetE0EEEvT1_,comdat
	.protected	_ZN7rocprim17ROCPRIM_400000_NS6detail17trampoline_kernelINS0_14default_configENS1_35adjacent_difference_config_selectorILb0EfEEZNS1_24adjacent_difference_implIS3_Lb0ELb0EPfS7_N6thrust23THRUST_200600_302600_NS4plusIfEEEE10hipError_tPvRmT2_T3_mT4_P12ihipStream_tbEUlT_E_NS1_11comp_targetILNS1_3genE9ELNS1_11target_archE1100ELNS1_3gpuE3ELNS1_3repE0EEENS1_30default_config_static_selectorELNS0_4arch9wavefront6targetE0EEEvT1_ ; -- Begin function _ZN7rocprim17ROCPRIM_400000_NS6detail17trampoline_kernelINS0_14default_configENS1_35adjacent_difference_config_selectorILb0EfEEZNS1_24adjacent_difference_implIS3_Lb0ELb0EPfS7_N6thrust23THRUST_200600_302600_NS4plusIfEEEE10hipError_tPvRmT2_T3_mT4_P12ihipStream_tbEUlT_E_NS1_11comp_targetILNS1_3genE9ELNS1_11target_archE1100ELNS1_3gpuE3ELNS1_3repE0EEENS1_30default_config_static_selectorELNS0_4arch9wavefront6targetE0EEEvT1_
	.globl	_ZN7rocprim17ROCPRIM_400000_NS6detail17trampoline_kernelINS0_14default_configENS1_35adjacent_difference_config_selectorILb0EfEEZNS1_24adjacent_difference_implIS3_Lb0ELb0EPfS7_N6thrust23THRUST_200600_302600_NS4plusIfEEEE10hipError_tPvRmT2_T3_mT4_P12ihipStream_tbEUlT_E_NS1_11comp_targetILNS1_3genE9ELNS1_11target_archE1100ELNS1_3gpuE3ELNS1_3repE0EEENS1_30default_config_static_selectorELNS0_4arch9wavefront6targetE0EEEvT1_
	.p2align	8
	.type	_ZN7rocprim17ROCPRIM_400000_NS6detail17trampoline_kernelINS0_14default_configENS1_35adjacent_difference_config_selectorILb0EfEEZNS1_24adjacent_difference_implIS3_Lb0ELb0EPfS7_N6thrust23THRUST_200600_302600_NS4plusIfEEEE10hipError_tPvRmT2_T3_mT4_P12ihipStream_tbEUlT_E_NS1_11comp_targetILNS1_3genE9ELNS1_11target_archE1100ELNS1_3gpuE3ELNS1_3repE0EEENS1_30default_config_static_selectorELNS0_4arch9wavefront6targetE0EEEvT1_,@function
_ZN7rocprim17ROCPRIM_400000_NS6detail17trampoline_kernelINS0_14default_configENS1_35adjacent_difference_config_selectorILb0EfEEZNS1_24adjacent_difference_implIS3_Lb0ELb0EPfS7_N6thrust23THRUST_200600_302600_NS4plusIfEEEE10hipError_tPvRmT2_T3_mT4_P12ihipStream_tbEUlT_E_NS1_11comp_targetILNS1_3genE9ELNS1_11target_archE1100ELNS1_3gpuE3ELNS1_3repE0EEENS1_30default_config_static_selectorELNS0_4arch9wavefront6targetE0EEEvT1_: ; @_ZN7rocprim17ROCPRIM_400000_NS6detail17trampoline_kernelINS0_14default_configENS1_35adjacent_difference_config_selectorILb0EfEEZNS1_24adjacent_difference_implIS3_Lb0ELb0EPfS7_N6thrust23THRUST_200600_302600_NS4plusIfEEEE10hipError_tPvRmT2_T3_mT4_P12ihipStream_tbEUlT_E_NS1_11comp_targetILNS1_3genE9ELNS1_11target_archE1100ELNS1_3gpuE3ELNS1_3repE0EEENS1_30default_config_static_selectorELNS0_4arch9wavefront6targetE0EEEvT1_
; %bb.0:
	s_load_b256 s[4:11], s[0:1], 0x0
	s_mov_b32 s2, 0x2cccca00
	s_waitcnt lgkmcnt(0)
	s_lshl_b64 s[12:13], s[6:7], 2
	s_delay_alu instid0(SALU_CYCLE_1) | instskip(SKIP_4) | instid1(VALU_DEP_1)
	s_add_u32 s17, s4, s12
	s_addc_u32 s18, s5, s13
	s_add_u32 s2, 0x230, s2
	s_addc_u32 s3, 0, 0
	v_add_co_u32 v1, s2, 0xa0000000, s2
	s_cmp_lg_u32 s2, 0
	s_addc_u32 s3, s3, 0xccccc
	s_delay_alu instid0(VALU_DEP_1) | instskip(SKIP_1) | instid1(VALU_DEP_1)
	v_readfirstlane_b32 s2, v1
	s_mul_i32 s4, s3, 0xffffec00
	s_mul_hi_u32 s5, s2, 0xffffec00
	s_mul_i32 s6, s2, 0xffffec00
	s_sub_i32 s5, s5, s2
	s_mul_hi_u32 s7, s2, s6
	s_add_i32 s5, s5, s4
	s_mul_hi_u32 s14, s3, s6
	s_mul_i32 s4, s3, s6
	s_mul_hi_u32 s6, s2, s5
	s_mul_i32 s2, s2, s5
	s_mul_hi_u32 s16, s3, s5
	s_add_u32 s2, s7, s2
	s_addc_u32 s6, 0, s6
	s_add_u32 s2, s2, s4
	s_mul_i32 s5, s3, s5
	s_addc_u32 s2, s6, s14
	s_addc_u32 s4, s16, 0
	s_add_u32 s2, s2, s5
	s_addc_u32 s4, 0, s4
	v_add_co_u32 v1, s2, v1, s2
	s_delay_alu instid0(VALU_DEP_1) | instskip(SKIP_1) | instid1(VALU_DEP_1)
	s_cmp_lg_u32 s2, 0
	s_addc_u32 s2, s3, s4
	v_readfirstlane_b32 s3, v1
	s_mul_i32 s5, s10, s2
	s_mul_hi_u32 s4, s10, s2
	s_mul_hi_u32 s6, s11, s2
	s_mul_i32 s2, s11, s2
	s_mul_hi_u32 s7, s10, s3
	s_mul_hi_u32 s14, s11, s3
	s_mul_i32 s3, s11, s3
	s_add_u32 s5, s7, s5
	s_addc_u32 s4, 0, s4
	s_add_u32 s3, s5, s3
	s_addc_u32 s3, s4, s14
	s_addc_u32 s4, s6, 0
	s_add_u32 s5, s3, s2
	s_addc_u32 s4, 0, s4
	s_mul_i32 s3, s5, 0x1400
	s_add_u32 s2, s5, 1
	v_sub_co_u32 v1, s3, s10, s3
	s_mul_hi_u32 s6, s5, 0x1400
	s_addc_u32 s7, s4, 0
	s_mul_i32 s14, s4, 0x1400
	s_delay_alu instid0(VALU_DEP_1)
	v_subrev_co_u32 v2, s16, 0x1400, v1
	s_add_u32 s19, s5, 2
	s_addc_u32 s20, s4, 0
	s_add_i32 s6, s6, s14
	s_cmp_lg_u32 s3, 0
	v_readfirstlane_b32 s3, v2
	s_subb_u32 s6, s11, s6
	s_cmp_lg_u32 s16, 0
	s_subb_u32 s14, s6, 0
	s_delay_alu instid0(VALU_DEP_1) | instskip(SKIP_4) | instid1(SALU_CYCLE_1)
	s_cmpk_gt_u32 s3, 0x13ff
	s_cselect_b32 s3, -1, 0
	s_cmp_eq_u32 s14, 0
	v_readfirstlane_b32 s14, v1
	s_cselect_b32 s3, s3, -1
	s_cmp_lg_u32 s3, 0
	s_cselect_b32 s16, s19, s2
	s_cselect_b32 s7, s20, s7
	s_cmpk_gt_u32 s14, 0x13ff
	s_mov_b32 s14, -1
	s_cselect_b32 s2, -1, 0
	s_cmp_eq_u32 s6, 0
	s_cselect_b32 s2, s2, -1
	s_delay_alu instid0(SALU_CYCLE_1)
	s_cmp_lg_u32 s2, 0
	s_load_b64 s[2:3], s[0:1], 0x30
	s_cselect_b32 s4, s7, s4
	s_cselect_b32 s5, s16, s5
	s_mul_i32 s0, s4, 0x1400
	s_mul_hi_u32 s1, s5, 0x1400
	s_mul_i32 s6, s5, 0x1400
	s_add_i32 s1, s1, s0
	s_sub_u32 s0, s10, s6
	s_subb_u32 s1, s11, s1
	s_mul_i32 s6, s15, 0x1400
	s_cmp_lg_u64 s[0:1], 0
	s_mov_b32 s7, 0
	s_cselect_b32 s0, -1, 0
	s_delay_alu instid0(SALU_CYCLE_1) | instskip(NEXT) | instid1(VALU_DEP_1)
	v_cndmask_b32_e64 v1, 0, 1, s0
	v_readfirstlane_b32 s0, v1
	s_delay_alu instid0(VALU_DEP_1)
	s_add_u32 s0, s5, s0
	s_addc_u32 s1, s4, 0
	s_waitcnt lgkmcnt(0)
	s_add_u32 s2, s2, s15
	s_addc_u32 s3, s3, 0
	s_add_u32 s4, s0, -1
	s_addc_u32 s5, s1, -1
	s_mul_i32 s11, s4, 0xffffec00
	v_cmp_ge_u64_e64 s16, s[2:3], s[4:5]
	s_delay_alu instid0(VALU_DEP_1)
	s_and_b32 vcc_lo, exec_lo, s16
	s_cbranch_vccz .LBB84_12
; %bb.1:
	s_lshl_b64 s[14:15], s[6:7], 2
	s_add_i32 s19, s11, s10
	s_add_u32 s14, s17, s14
	s_addc_u32 s15, s18, s15
	s_mov_b32 s7, exec_lo
                                        ; implicit-def: $vgpr1_vgpr2_vgpr3_vgpr4_vgpr5
	v_cmpx_gt_u32_e64 s19, v0
	s_cbranch_execz .LBB84_3
; %bb.2:
	v_lshlrev_b32_e32 v1, 2, v0
	global_load_b32 v1, v1, s[14:15]
.LBB84_3:
	s_or_b32 exec_lo, exec_lo, s7
	v_or_b32_e32 v6, 0x400, v0
	s_mov_b32 s7, exec_lo
	s_delay_alu instid0(VALU_DEP_1)
	v_cmpx_gt_u32_e64 s19, v6
	s_cbranch_execz .LBB84_5
; %bb.4:
	v_lshlrev_b32_e32 v2, 2, v6
	global_load_b32 v2, v2, s[14:15]
.LBB84_5:
	s_or_b32 exec_lo, exec_lo, s7
	v_or_b32_e32 v6, 0x800, v0
	s_mov_b32 s7, exec_lo
	s_delay_alu instid0(VALU_DEP_1)
	;; [unrolled: 10-line block ×4, first 2 shown]
	v_cmpx_gt_u32_e64 s19, v6
	s_cbranch_execz .LBB84_11
; %bb.10:
	v_lshlrev_b32_e32 v5, 2, v6
	global_load_b32 v5, v5, s[14:15]
.LBB84_11:
	s_or_b32 exec_lo, exec_lo, s7
	v_lshlrev_b32_e32 v6, 2, v0
	s_mov_b32 s14, 0
	s_waitcnt vmcnt(0)
	ds_store_2addr_stride64_b32 v6, v1, v2 offset1:16
	ds_store_2addr_stride64_b32 v6, v3, v4 offset0:32 offset1:48
	ds_store_b32 v6, v5 offset:16384
	s_waitcnt lgkmcnt(0)
	s_barrier
.LBB84_12:
	v_lshlrev_b32_e32 v7, 2, v0
	s_and_b32 vcc_lo, exec_lo, s14
	s_cbranch_vccz .LBB84_14
; %bb.13:
	s_mov_b32 s7, 0
	s_delay_alu instid0(SALU_CYCLE_1) | instskip(NEXT) | instid1(SALU_CYCLE_1)
	s_lshl_b64 s[14:15], s[6:7], 2
	s_add_u32 s14, s17, s14
	s_addc_u32 s15, s18, s15
	v_add_co_u32 v3, s7, s14, v7
	s_delay_alu instid0(VALU_DEP_1) | instskip(NEXT) | instid1(VALU_DEP_2)
	v_add_co_ci_u32_e64 v4, null, s15, 0, s7
	v_add_co_u32 v1, vcc_lo, v3, 0x2000
	s_delay_alu instid0(VALU_DEP_2)
	v_add_co_ci_u32_e32 v2, vcc_lo, 0, v4, vcc_lo
	v_add_co_u32 v3, vcc_lo, v3, 0x4000
	v_add_co_ci_u32_e32 v4, vcc_lo, 0, v4, vcc_lo
	s_clause 0x4
	global_load_b32 v5, v7, s[14:15]
	global_load_b32 v6, v[1:2], off offset:-4096
	global_load_b32 v1, v[1:2], off
	global_load_b32 v2, v[3:4], off offset:-4096
	global_load_b32 v3, v[3:4], off
	s_waitcnt vmcnt(3)
	ds_store_2addr_stride64_b32 v7, v5, v6 offset1:16
	s_waitcnt vmcnt(1)
	ds_store_2addr_stride64_b32 v7, v1, v2 offset0:32 offset1:48
	s_waitcnt vmcnt(0)
	ds_store_b32 v7, v3 offset:16384
	s_waitcnt lgkmcnt(0)
	s_barrier
.LBB84_14:
	v_mul_u32_u24_e32 v1, 5, v0
	buffer_gl0_inv
	s_cmp_eq_u64 s[2:3], 0
	v_lshlrev_b32_e32 v5, 2, v1
	ds_load_2addr_b32 v[1:2], v5 offset1:1
	ds_load_2addr_b32 v[3:4], v5 offset0:2 offset1:3
	ds_load_b32 v5, v5 offset:16
	s_waitcnt lgkmcnt(0)
	s_barrier
	buffer_gl0_inv
	s_cbranch_scc1 .LBB84_19
; %bb.15:
	s_mov_b32 s7, 0
	s_delay_alu instid0(SALU_CYCLE_1) | instskip(NEXT) | instid1(SALU_CYCLE_1)
	s_lshl_b64 s[14:15], s[6:7], 2
	s_add_u32 s7, s17, s14
	s_addc_u32 s15, s18, s15
	s_add_u32 s14, s7, -4
	s_addc_u32 s15, s15, -1
	s_cmp_eq_u64 s[2:3], s[4:5]
	s_load_b32 s7, s[14:15], 0x0
	s_cbranch_scc1 .LBB84_20
; %bb.16:
	s_waitcnt lgkmcnt(0)
	v_mov_b32_e32 v6, s7
	s_mov_b32 s3, exec_lo
	ds_store_b32 v7, v5
	s_waitcnt lgkmcnt(0)
	s_barrier
	buffer_gl0_inv
	v_cmpx_ne_u32_e32 0, v0
	s_cbranch_execz .LBB84_18
; %bb.17:
	v_add_nc_u32_e32 v6, -4, v7
	ds_load_b32 v6, v6
.LBB84_18:
	s_or_b32 exec_lo, exec_lo, s3
	v_dual_add_f32 v8, v4, v5 :: v_dual_add_f32 v9, v3, v4
	v_dual_add_f32 v10, v2, v3 :: v_dual_add_f32 v11, v1, v2
	s_waitcnt lgkmcnt(0)
	v_add_f32_e32 v12, v1, v6
	s_branch .LBB84_24
.LBB84_19:
                                        ; implicit-def: $vgpr8
                                        ; implicit-def: $vgpr9
                                        ; implicit-def: $vgpr10
                                        ; implicit-def: $vgpr11
                                        ; implicit-def: $vgpr12
	s_branch .LBB84_25
.LBB84_20:
                                        ; implicit-def: $vgpr8
                                        ; implicit-def: $vgpr9
                                        ; implicit-def: $vgpr10
                                        ; implicit-def: $vgpr11
                                        ; implicit-def: $vgpr12
	s_cbranch_execz .LBB84_24
; %bb.21:
	v_mul_u32_u24_e32 v6, 5, v0
	s_waitcnt lgkmcnt(0)
	v_mov_b32_e32 v10, s7
	s_mov_b32 s3, exec_lo
	ds_store_b32 v7, v5
	s_waitcnt lgkmcnt(0)
	s_barrier
	buffer_gl0_inv
	v_cmpx_ne_u32_e32 0, v0
	s_cbranch_execz .LBB84_23
; %bb.22:
	v_add_nc_u32_e32 v8, -4, v7
	ds_load_b32 v10, v8
.LBB84_23:
	s_or_b32 exec_lo, exec_lo, s3
	v_dual_add_f32 v9, v4, v5 :: v_dual_add_nc_u32 v8, 4, v6
	s_mulk_i32 s2, 0xec00
	v_dual_add_f32 v12, v3, v4 :: v_dual_add_nc_u32 v11, 3, v6
	s_add_i32 s2, s2, s10
	v_add_f32_e32 v14, v1, v2
	v_cmp_gt_u32_e32 vcc_lo, s2, v8
	s_waitcnt lgkmcnt(0)
	v_add_f32_e32 v15, v1, v10
	v_cndmask_b32_e32 v8, v5, v9, vcc_lo
	v_cmp_gt_u32_e32 vcc_lo, s2, v11
	v_add_nc_u32_e32 v11, 2, v6
	v_dual_cndmask_b32 v9, v4, v12 :: v_dual_add_f32 v12, v2, v3
	s_delay_alu instid0(VALU_DEP_2) | instskip(NEXT) | instid1(VALU_DEP_2)
	v_cmp_gt_u32_e32 vcc_lo, s2, v11
	v_dual_cndmask_b32 v10, v3, v12 :: v_dual_add_nc_u32 v13, 1, v6
	s_delay_alu instid0(VALU_DEP_1)
	v_cmp_gt_u32_e32 vcc_lo, s2, v13
	v_cndmask_b32_e32 v11, v2, v14, vcc_lo
	v_cmp_gt_u32_e32 vcc_lo, s2, v6
	v_cndmask_b32_e32 v12, v1, v15, vcc_lo
.LBB84_24:
	s_cbranch_execnz .LBB84_33
.LBB84_25:
	v_dual_add_f32 v8, v4, v5 :: v_dual_add_f32 v9, v3, v4
	v_dual_add_f32 v10, v2, v3 :: v_dual_add_f32 v11, v1, v2
	v_cmp_ne_u32_e32 vcc_lo, 0, v0
	s_cmp_eq_u64 s[0:1], 1
	s_cbranch_scc1 .LBB84_29
; %bb.26:
	v_mov_b32_e32 v12, v1
	s_mov_b32 s0, 0
	ds_store_b32 v7, v5
	s_waitcnt lgkmcnt(0)
	s_barrier
	buffer_gl0_inv
	s_and_saveexec_b32 s1, vcc_lo
	s_cbranch_execz .LBB84_28
; %bb.27:
	v_add_nc_u32_e32 v6, -4, v7
	ds_load_b32 v6, v6
	s_waitcnt lgkmcnt(0)
	v_add_f32_e32 v12, v1, v6
.LBB84_28:
	s_or_b32 exec_lo, exec_lo, s1
	s_delay_alu instid0(SALU_CYCLE_1)
	s_and_not1_b32 vcc_lo, exec_lo, s0
	s_cbranch_vccz .LBB84_30
	s_branch .LBB84_33
.LBB84_29:
                                        ; implicit-def: $vgpr12
.LBB84_30:
	v_mad_u32_u24 v6, v0, 5, 4
	v_mul_u32_u24_e32 v13, 5, v0
	v_mad_u32_u24 v12, v0, 5, 3
	v_mad_u32_u24 v14, v0, 5, 2
	v_cmp_ne_u32_e64 s3, 0, v0
	v_cmp_gt_u32_e32 vcc_lo, s10, v6
	v_mad_u32_u24 v6, v0, 5, 1
	v_cmp_gt_u32_e64 s4, s10, v13
	v_cmp_gt_u32_e64 s0, s10, v12
	;; [unrolled: 1-line block ×3, first 2 shown]
	ds_store_b32 v7, v5
	v_cmp_gt_u32_e64 s2, s10, v6
	s_and_b32 s4, s3, s4
	s_waitcnt lgkmcnt(0)
	s_barrier
	buffer_gl0_inv
	s_and_saveexec_b32 s3, s4
	s_cbranch_execz .LBB84_32
; %bb.31:
	v_add_nc_u32_e32 v6, -4, v7
	ds_load_b32 v6, v6
	s_waitcnt lgkmcnt(0)
	v_add_f32_e32 v1, v1, v6
.LBB84_32:
	s_or_b32 exec_lo, exec_lo, s3
	v_cndmask_b32_e32 v8, v5, v8, vcc_lo
	v_cndmask_b32_e64 v9, v4, v9, s0
	v_cndmask_b32_e64 v10, v3, v10, s1
	;; [unrolled: 1-line block ×3, first 2 shown]
	v_mov_b32_e32 v12, v1
.LBB84_33:
	v_mul_u32_u24_e32 v13, 20, v0
	v_lshlrev_b32_e32 v14, 4, v0
	s_add_u32 s1, s8, s12
	s_addc_u32 s0, s9, s13
	s_and_b32 vcc_lo, exec_lo, s16
	s_waitcnt lgkmcnt(0)
	s_barrier
	buffer_gl0_inv
	s_cbranch_vccz .LBB84_43
; %bb.34:
	v_sub_nc_u32_e32 v1, v13, v14
	ds_store_2addr_b32 v13, v12, v11 offset1:1
	ds_store_2addr_b32 v13, v10, v9 offset0:2 offset1:3
	ds_store_b32 v13, v8 offset:16
	s_waitcnt lgkmcnt(0)
	s_barrier
	buffer_gl0_inv
	ds_load_2addr_stride64_b32 v[5:6], v1 offset0:16 offset1:32
	ds_load_2addr_stride64_b32 v[1:2], v1 offset0:48 offset1:64
	s_mov_b32 s7, 0
	s_add_i32 s11, s11, s10
	s_lshl_b64 s[2:3], s[6:7], 2
	s_delay_alu instid0(SALU_CYCLE_1) | instskip(SKIP_2) | instid1(VALU_DEP_1)
	s_add_u32 s2, s1, s2
	s_addc_u32 s3, s0, s3
	v_add_co_u32 v3, s2, s2, v7
	v_add_co_ci_u32_e64 v4, null, s3, 0, s2
	s_mov_b32 s2, exec_lo
	v_cmpx_gt_u32_e64 s11, v0
	s_cbranch_execz .LBB84_36
; %bb.35:
	v_sub_nc_u32_e32 v15, 0, v14
	s_delay_alu instid0(VALU_DEP_1)
	v_add_nc_u32_e32 v15, v13, v15
	ds_load_b32 v15, v15
	s_waitcnt lgkmcnt(0)
	global_store_b32 v[3:4], v15, off
.LBB84_36:
	s_or_b32 exec_lo, exec_lo, s2
	v_or_b32_e32 v15, 0x400, v0
	s_mov_b32 s2, exec_lo
	s_delay_alu instid0(VALU_DEP_1)
	v_cmpx_gt_u32_e64 s11, v15
	s_cbranch_execz .LBB84_38
; %bb.37:
	v_add_co_u32 v15, vcc_lo, 0x1000, v3
	v_add_co_ci_u32_e32 v16, vcc_lo, 0, v4, vcc_lo
	s_waitcnt lgkmcnt(1)
	global_store_b32 v[15:16], v5, off
.LBB84_38:
	s_or_b32 exec_lo, exec_lo, s2
	s_waitcnt lgkmcnt(1)
	v_or_b32_e32 v5, 0x800, v0
	s_mov_b32 s2, exec_lo
	s_delay_alu instid0(VALU_DEP_1)
	v_cmpx_gt_u32_e64 s11, v5
	s_cbranch_execz .LBB84_40
; %bb.39:
	v_add_co_u32 v15, vcc_lo, 0x2000, v3
	v_add_co_ci_u32_e32 v16, vcc_lo, 0, v4, vcc_lo
	global_store_b32 v[15:16], v6, off
.LBB84_40:
	s_or_b32 exec_lo, exec_lo, s2
	v_or_b32_e32 v5, 0xc00, v0
	s_mov_b32 s2, exec_lo
	s_delay_alu instid0(VALU_DEP_1)
	v_cmpx_gt_u32_e64 s11, v5
	s_cbranch_execz .LBB84_42
; %bb.41:
	v_add_co_u32 v5, vcc_lo, 0x3000, v3
	v_add_co_ci_u32_e32 v6, vcc_lo, 0, v4, vcc_lo
	s_waitcnt lgkmcnt(0)
	global_store_b32 v[5:6], v1, off
.LBB84_42:
	s_or_b32 exec_lo, exec_lo, s2
	v_or_b32_e32 v0, 0x1000, v0
	s_delay_alu instid0(VALU_DEP_1)
	v_cmp_gt_u32_e64 s2, s11, v0
	s_branch .LBB84_45
.LBB84_43:
	s_mov_b32 s2, 0
                                        ; implicit-def: $vgpr2
                                        ; implicit-def: $vgpr3_vgpr4
	s_cbranch_execz .LBB84_45
; %bb.44:
	s_waitcnt lgkmcnt(0)
	v_sub_nc_u32_e32 v2, v13, v14
	s_mov_b32 s7, 0
	ds_store_2addr_b32 v13, v12, v11 offset1:1
	ds_store_2addr_b32 v13, v10, v9 offset0:2 offset1:3
	ds_store_b32 v13, v8 offset:16
	s_waitcnt lgkmcnt(0)
	s_waitcnt_vscnt null, 0x0
	s_barrier
	buffer_gl0_inv
	ds_load_2addr_stride64_b32 v[0:1], v2 offset1:16
	ds_load_2addr_stride64_b32 v[5:6], v2 offset0:32 offset1:48
	ds_load_b32 v2, v2 offset:16384
	s_lshl_b64 s[4:5], s[6:7], 2
	s_delay_alu instid0(SALU_CYCLE_1) | instskip(SKIP_2) | instid1(VALU_DEP_1)
	s_add_u32 s4, s1, s4
	s_addc_u32 s5, s0, s5
	v_add_co_u32 v3, s0, s4, v7
	v_add_co_ci_u32_e64 v4, null, s5, 0, s0
	s_or_b32 s2, s2, exec_lo
	s_delay_alu instid0(VALU_DEP_2) | instskip(NEXT) | instid1(VALU_DEP_2)
	v_add_co_u32 v8, vcc_lo, v3, 0x2000
	v_add_co_ci_u32_e32 v9, vcc_lo, 0, v4, vcc_lo
	v_add_co_u32 v10, vcc_lo, 0x3000, v3
	v_add_co_ci_u32_e32 v11, vcc_lo, 0, v4, vcc_lo
	s_waitcnt lgkmcnt(2)
	s_clause 0x1
	global_store_b32 v[8:9], v1, off offset:-4096
	global_store_b32 v7, v0, s[4:5]
	s_waitcnt lgkmcnt(1)
	s_clause 0x1
	global_store_b32 v[8:9], v5, off
	global_store_b32 v[10:11], v6, off
.LBB84_45:
	s_delay_alu instid0(VALU_DEP_1)
	s_and_saveexec_b32 s0, s2
	s_cbranch_execnz .LBB84_47
; %bb.46:
	s_nop 0
	s_sendmsg sendmsg(MSG_DEALLOC_VGPRS)
	s_endpgm
.LBB84_47:
	v_add_co_u32 v0, vcc_lo, 0x4000, v3
	s_waitcnt lgkmcnt(0)
	v_add_co_ci_u32_e32 v1, vcc_lo, 0, v4, vcc_lo
	global_store_b32 v[0:1], v2, off
	s_nop 0
	s_sendmsg sendmsg(MSG_DEALLOC_VGPRS)
	s_endpgm
	.section	.rodata,"a",@progbits
	.p2align	6, 0x0
	.amdhsa_kernel _ZN7rocprim17ROCPRIM_400000_NS6detail17trampoline_kernelINS0_14default_configENS1_35adjacent_difference_config_selectorILb0EfEEZNS1_24adjacent_difference_implIS3_Lb0ELb0EPfS7_N6thrust23THRUST_200600_302600_NS4plusIfEEEE10hipError_tPvRmT2_T3_mT4_P12ihipStream_tbEUlT_E_NS1_11comp_targetILNS1_3genE9ELNS1_11target_archE1100ELNS1_3gpuE3ELNS1_3repE0EEENS1_30default_config_static_selectorELNS0_4arch9wavefront6targetE0EEEvT1_
		.amdhsa_group_segment_fixed_size 20480
		.amdhsa_private_segment_fixed_size 0
		.amdhsa_kernarg_size 56
		.amdhsa_user_sgpr_count 15
		.amdhsa_user_sgpr_dispatch_ptr 0
		.amdhsa_user_sgpr_queue_ptr 0
		.amdhsa_user_sgpr_kernarg_segment_ptr 1
		.amdhsa_user_sgpr_dispatch_id 0
		.amdhsa_user_sgpr_private_segment_size 0
		.amdhsa_wavefront_size32 1
		.amdhsa_uses_dynamic_stack 0
		.amdhsa_enable_private_segment 0
		.amdhsa_system_sgpr_workgroup_id_x 1
		.amdhsa_system_sgpr_workgroup_id_y 0
		.amdhsa_system_sgpr_workgroup_id_z 0
		.amdhsa_system_sgpr_workgroup_info 0
		.amdhsa_system_vgpr_workitem_id 0
		.amdhsa_next_free_vgpr 17
		.amdhsa_next_free_sgpr 21
		.amdhsa_reserve_vcc 1
		.amdhsa_float_round_mode_32 0
		.amdhsa_float_round_mode_16_64 0
		.amdhsa_float_denorm_mode_32 3
		.amdhsa_float_denorm_mode_16_64 3
		.amdhsa_dx10_clamp 1
		.amdhsa_ieee_mode 1
		.amdhsa_fp16_overflow 0
		.amdhsa_workgroup_processor_mode 1
		.amdhsa_memory_ordered 1
		.amdhsa_forward_progress 0
		.amdhsa_shared_vgpr_count 0
		.amdhsa_exception_fp_ieee_invalid_op 0
		.amdhsa_exception_fp_denorm_src 0
		.amdhsa_exception_fp_ieee_div_zero 0
		.amdhsa_exception_fp_ieee_overflow 0
		.amdhsa_exception_fp_ieee_underflow 0
		.amdhsa_exception_fp_ieee_inexact 0
		.amdhsa_exception_int_div_zero 0
	.end_amdhsa_kernel
	.section	.text._ZN7rocprim17ROCPRIM_400000_NS6detail17trampoline_kernelINS0_14default_configENS1_35adjacent_difference_config_selectorILb0EfEEZNS1_24adjacent_difference_implIS3_Lb0ELb0EPfS7_N6thrust23THRUST_200600_302600_NS4plusIfEEEE10hipError_tPvRmT2_T3_mT4_P12ihipStream_tbEUlT_E_NS1_11comp_targetILNS1_3genE9ELNS1_11target_archE1100ELNS1_3gpuE3ELNS1_3repE0EEENS1_30default_config_static_selectorELNS0_4arch9wavefront6targetE0EEEvT1_,"axG",@progbits,_ZN7rocprim17ROCPRIM_400000_NS6detail17trampoline_kernelINS0_14default_configENS1_35adjacent_difference_config_selectorILb0EfEEZNS1_24adjacent_difference_implIS3_Lb0ELb0EPfS7_N6thrust23THRUST_200600_302600_NS4plusIfEEEE10hipError_tPvRmT2_T3_mT4_P12ihipStream_tbEUlT_E_NS1_11comp_targetILNS1_3genE9ELNS1_11target_archE1100ELNS1_3gpuE3ELNS1_3repE0EEENS1_30default_config_static_selectorELNS0_4arch9wavefront6targetE0EEEvT1_,comdat
.Lfunc_end84:
	.size	_ZN7rocprim17ROCPRIM_400000_NS6detail17trampoline_kernelINS0_14default_configENS1_35adjacent_difference_config_selectorILb0EfEEZNS1_24adjacent_difference_implIS3_Lb0ELb0EPfS7_N6thrust23THRUST_200600_302600_NS4plusIfEEEE10hipError_tPvRmT2_T3_mT4_P12ihipStream_tbEUlT_E_NS1_11comp_targetILNS1_3genE9ELNS1_11target_archE1100ELNS1_3gpuE3ELNS1_3repE0EEENS1_30default_config_static_selectorELNS0_4arch9wavefront6targetE0EEEvT1_, .Lfunc_end84-_ZN7rocprim17ROCPRIM_400000_NS6detail17trampoline_kernelINS0_14default_configENS1_35adjacent_difference_config_selectorILb0EfEEZNS1_24adjacent_difference_implIS3_Lb0ELb0EPfS7_N6thrust23THRUST_200600_302600_NS4plusIfEEEE10hipError_tPvRmT2_T3_mT4_P12ihipStream_tbEUlT_E_NS1_11comp_targetILNS1_3genE9ELNS1_11target_archE1100ELNS1_3gpuE3ELNS1_3repE0EEENS1_30default_config_static_selectorELNS0_4arch9wavefront6targetE0EEEvT1_
                                        ; -- End function
	.section	.AMDGPU.csdata,"",@progbits
; Kernel info:
; codeLenInByte = 2308
; NumSgprs: 23
; NumVgprs: 17
; ScratchSize: 0
; MemoryBound: 0
; FloatMode: 240
; IeeeMode: 1
; LDSByteSize: 20480 bytes/workgroup (compile time only)
; SGPRBlocks: 2
; VGPRBlocks: 2
; NumSGPRsForWavesPerEU: 23
; NumVGPRsForWavesPerEU: 17
; Occupancy: 16
; WaveLimiterHint : 1
; COMPUTE_PGM_RSRC2:SCRATCH_EN: 0
; COMPUTE_PGM_RSRC2:USER_SGPR: 15
; COMPUTE_PGM_RSRC2:TRAP_HANDLER: 0
; COMPUTE_PGM_RSRC2:TGID_X_EN: 1
; COMPUTE_PGM_RSRC2:TGID_Y_EN: 0
; COMPUTE_PGM_RSRC2:TGID_Z_EN: 0
; COMPUTE_PGM_RSRC2:TIDIG_COMP_CNT: 0
	.section	.text._ZN7rocprim17ROCPRIM_400000_NS6detail17trampoline_kernelINS0_14default_configENS1_35adjacent_difference_config_selectorILb0EfEEZNS1_24adjacent_difference_implIS3_Lb0ELb0EPfS7_N6thrust23THRUST_200600_302600_NS4plusIfEEEE10hipError_tPvRmT2_T3_mT4_P12ihipStream_tbEUlT_E_NS1_11comp_targetILNS1_3genE8ELNS1_11target_archE1030ELNS1_3gpuE2ELNS1_3repE0EEENS1_30default_config_static_selectorELNS0_4arch9wavefront6targetE0EEEvT1_,"axG",@progbits,_ZN7rocprim17ROCPRIM_400000_NS6detail17trampoline_kernelINS0_14default_configENS1_35adjacent_difference_config_selectorILb0EfEEZNS1_24adjacent_difference_implIS3_Lb0ELb0EPfS7_N6thrust23THRUST_200600_302600_NS4plusIfEEEE10hipError_tPvRmT2_T3_mT4_P12ihipStream_tbEUlT_E_NS1_11comp_targetILNS1_3genE8ELNS1_11target_archE1030ELNS1_3gpuE2ELNS1_3repE0EEENS1_30default_config_static_selectorELNS0_4arch9wavefront6targetE0EEEvT1_,comdat
	.protected	_ZN7rocprim17ROCPRIM_400000_NS6detail17trampoline_kernelINS0_14default_configENS1_35adjacent_difference_config_selectorILb0EfEEZNS1_24adjacent_difference_implIS3_Lb0ELb0EPfS7_N6thrust23THRUST_200600_302600_NS4plusIfEEEE10hipError_tPvRmT2_T3_mT4_P12ihipStream_tbEUlT_E_NS1_11comp_targetILNS1_3genE8ELNS1_11target_archE1030ELNS1_3gpuE2ELNS1_3repE0EEENS1_30default_config_static_selectorELNS0_4arch9wavefront6targetE0EEEvT1_ ; -- Begin function _ZN7rocprim17ROCPRIM_400000_NS6detail17trampoline_kernelINS0_14default_configENS1_35adjacent_difference_config_selectorILb0EfEEZNS1_24adjacent_difference_implIS3_Lb0ELb0EPfS7_N6thrust23THRUST_200600_302600_NS4plusIfEEEE10hipError_tPvRmT2_T3_mT4_P12ihipStream_tbEUlT_E_NS1_11comp_targetILNS1_3genE8ELNS1_11target_archE1030ELNS1_3gpuE2ELNS1_3repE0EEENS1_30default_config_static_selectorELNS0_4arch9wavefront6targetE0EEEvT1_
	.globl	_ZN7rocprim17ROCPRIM_400000_NS6detail17trampoline_kernelINS0_14default_configENS1_35adjacent_difference_config_selectorILb0EfEEZNS1_24adjacent_difference_implIS3_Lb0ELb0EPfS7_N6thrust23THRUST_200600_302600_NS4plusIfEEEE10hipError_tPvRmT2_T3_mT4_P12ihipStream_tbEUlT_E_NS1_11comp_targetILNS1_3genE8ELNS1_11target_archE1030ELNS1_3gpuE2ELNS1_3repE0EEENS1_30default_config_static_selectorELNS0_4arch9wavefront6targetE0EEEvT1_
	.p2align	8
	.type	_ZN7rocprim17ROCPRIM_400000_NS6detail17trampoline_kernelINS0_14default_configENS1_35adjacent_difference_config_selectorILb0EfEEZNS1_24adjacent_difference_implIS3_Lb0ELb0EPfS7_N6thrust23THRUST_200600_302600_NS4plusIfEEEE10hipError_tPvRmT2_T3_mT4_P12ihipStream_tbEUlT_E_NS1_11comp_targetILNS1_3genE8ELNS1_11target_archE1030ELNS1_3gpuE2ELNS1_3repE0EEENS1_30default_config_static_selectorELNS0_4arch9wavefront6targetE0EEEvT1_,@function
_ZN7rocprim17ROCPRIM_400000_NS6detail17trampoline_kernelINS0_14default_configENS1_35adjacent_difference_config_selectorILb0EfEEZNS1_24adjacent_difference_implIS3_Lb0ELb0EPfS7_N6thrust23THRUST_200600_302600_NS4plusIfEEEE10hipError_tPvRmT2_T3_mT4_P12ihipStream_tbEUlT_E_NS1_11comp_targetILNS1_3genE8ELNS1_11target_archE1030ELNS1_3gpuE2ELNS1_3repE0EEENS1_30default_config_static_selectorELNS0_4arch9wavefront6targetE0EEEvT1_: ; @_ZN7rocprim17ROCPRIM_400000_NS6detail17trampoline_kernelINS0_14default_configENS1_35adjacent_difference_config_selectorILb0EfEEZNS1_24adjacent_difference_implIS3_Lb0ELb0EPfS7_N6thrust23THRUST_200600_302600_NS4plusIfEEEE10hipError_tPvRmT2_T3_mT4_P12ihipStream_tbEUlT_E_NS1_11comp_targetILNS1_3genE8ELNS1_11target_archE1030ELNS1_3gpuE2ELNS1_3repE0EEENS1_30default_config_static_selectorELNS0_4arch9wavefront6targetE0EEEvT1_
; %bb.0:
	.section	.rodata,"a",@progbits
	.p2align	6, 0x0
	.amdhsa_kernel _ZN7rocprim17ROCPRIM_400000_NS6detail17trampoline_kernelINS0_14default_configENS1_35adjacent_difference_config_selectorILb0EfEEZNS1_24adjacent_difference_implIS3_Lb0ELb0EPfS7_N6thrust23THRUST_200600_302600_NS4plusIfEEEE10hipError_tPvRmT2_T3_mT4_P12ihipStream_tbEUlT_E_NS1_11comp_targetILNS1_3genE8ELNS1_11target_archE1030ELNS1_3gpuE2ELNS1_3repE0EEENS1_30default_config_static_selectorELNS0_4arch9wavefront6targetE0EEEvT1_
		.amdhsa_group_segment_fixed_size 0
		.amdhsa_private_segment_fixed_size 0
		.amdhsa_kernarg_size 56
		.amdhsa_user_sgpr_count 15
		.amdhsa_user_sgpr_dispatch_ptr 0
		.amdhsa_user_sgpr_queue_ptr 0
		.amdhsa_user_sgpr_kernarg_segment_ptr 1
		.amdhsa_user_sgpr_dispatch_id 0
		.amdhsa_user_sgpr_private_segment_size 0
		.amdhsa_wavefront_size32 1
		.amdhsa_uses_dynamic_stack 0
		.amdhsa_enable_private_segment 0
		.amdhsa_system_sgpr_workgroup_id_x 1
		.amdhsa_system_sgpr_workgroup_id_y 0
		.amdhsa_system_sgpr_workgroup_id_z 0
		.amdhsa_system_sgpr_workgroup_info 0
		.amdhsa_system_vgpr_workitem_id 0
		.amdhsa_next_free_vgpr 1
		.amdhsa_next_free_sgpr 1
		.amdhsa_reserve_vcc 0
		.amdhsa_float_round_mode_32 0
		.amdhsa_float_round_mode_16_64 0
		.amdhsa_float_denorm_mode_32 3
		.amdhsa_float_denorm_mode_16_64 3
		.amdhsa_dx10_clamp 1
		.amdhsa_ieee_mode 1
		.amdhsa_fp16_overflow 0
		.amdhsa_workgroup_processor_mode 1
		.amdhsa_memory_ordered 1
		.amdhsa_forward_progress 0
		.amdhsa_shared_vgpr_count 0
		.amdhsa_exception_fp_ieee_invalid_op 0
		.amdhsa_exception_fp_denorm_src 0
		.amdhsa_exception_fp_ieee_div_zero 0
		.amdhsa_exception_fp_ieee_overflow 0
		.amdhsa_exception_fp_ieee_underflow 0
		.amdhsa_exception_fp_ieee_inexact 0
		.amdhsa_exception_int_div_zero 0
	.end_amdhsa_kernel
	.section	.text._ZN7rocprim17ROCPRIM_400000_NS6detail17trampoline_kernelINS0_14default_configENS1_35adjacent_difference_config_selectorILb0EfEEZNS1_24adjacent_difference_implIS3_Lb0ELb0EPfS7_N6thrust23THRUST_200600_302600_NS4plusIfEEEE10hipError_tPvRmT2_T3_mT4_P12ihipStream_tbEUlT_E_NS1_11comp_targetILNS1_3genE8ELNS1_11target_archE1030ELNS1_3gpuE2ELNS1_3repE0EEENS1_30default_config_static_selectorELNS0_4arch9wavefront6targetE0EEEvT1_,"axG",@progbits,_ZN7rocprim17ROCPRIM_400000_NS6detail17trampoline_kernelINS0_14default_configENS1_35adjacent_difference_config_selectorILb0EfEEZNS1_24adjacent_difference_implIS3_Lb0ELb0EPfS7_N6thrust23THRUST_200600_302600_NS4plusIfEEEE10hipError_tPvRmT2_T3_mT4_P12ihipStream_tbEUlT_E_NS1_11comp_targetILNS1_3genE8ELNS1_11target_archE1030ELNS1_3gpuE2ELNS1_3repE0EEENS1_30default_config_static_selectorELNS0_4arch9wavefront6targetE0EEEvT1_,comdat
.Lfunc_end85:
	.size	_ZN7rocprim17ROCPRIM_400000_NS6detail17trampoline_kernelINS0_14default_configENS1_35adjacent_difference_config_selectorILb0EfEEZNS1_24adjacent_difference_implIS3_Lb0ELb0EPfS7_N6thrust23THRUST_200600_302600_NS4plusIfEEEE10hipError_tPvRmT2_T3_mT4_P12ihipStream_tbEUlT_E_NS1_11comp_targetILNS1_3genE8ELNS1_11target_archE1030ELNS1_3gpuE2ELNS1_3repE0EEENS1_30default_config_static_selectorELNS0_4arch9wavefront6targetE0EEEvT1_, .Lfunc_end85-_ZN7rocprim17ROCPRIM_400000_NS6detail17trampoline_kernelINS0_14default_configENS1_35adjacent_difference_config_selectorILb0EfEEZNS1_24adjacent_difference_implIS3_Lb0ELb0EPfS7_N6thrust23THRUST_200600_302600_NS4plusIfEEEE10hipError_tPvRmT2_T3_mT4_P12ihipStream_tbEUlT_E_NS1_11comp_targetILNS1_3genE8ELNS1_11target_archE1030ELNS1_3gpuE2ELNS1_3repE0EEENS1_30default_config_static_selectorELNS0_4arch9wavefront6targetE0EEEvT1_
                                        ; -- End function
	.section	.AMDGPU.csdata,"",@progbits
; Kernel info:
; codeLenInByte = 0
; NumSgprs: 0
; NumVgprs: 0
; ScratchSize: 0
; MemoryBound: 0
; FloatMode: 240
; IeeeMode: 1
; LDSByteSize: 0 bytes/workgroup (compile time only)
; SGPRBlocks: 0
; VGPRBlocks: 0
; NumSGPRsForWavesPerEU: 1
; NumVGPRsForWavesPerEU: 1
; Occupancy: 16
; WaveLimiterHint : 0
; COMPUTE_PGM_RSRC2:SCRATCH_EN: 0
; COMPUTE_PGM_RSRC2:USER_SGPR: 15
; COMPUTE_PGM_RSRC2:TRAP_HANDLER: 0
; COMPUTE_PGM_RSRC2:TGID_X_EN: 1
; COMPUTE_PGM_RSRC2:TGID_Y_EN: 0
; COMPUTE_PGM_RSRC2:TGID_Z_EN: 0
; COMPUTE_PGM_RSRC2:TIDIG_COMP_CNT: 0
	.section	.text._ZN7rocprim17ROCPRIM_400000_NS6detail17trampoline_kernelINS0_14default_configENS1_25transform_config_selectorIfLb0EEEZNS1_14transform_implILb0ES3_S5_NS0_18transform_iteratorINS0_17counting_iteratorImlEEZNS1_24adjacent_difference_implIS3_Lb1ELb0EPfSB_N6thrust23THRUST_200600_302600_NS4plusIfEEEE10hipError_tPvRmT2_T3_mT4_P12ihipStream_tbEUlmE_fEESB_NS0_8identityIvEEEESG_SJ_SK_mSL_SN_bEUlT_E_NS1_11comp_targetILNS1_3genE0ELNS1_11target_archE4294967295ELNS1_3gpuE0ELNS1_3repE0EEENS1_30default_config_static_selectorELNS0_4arch9wavefront6targetE0EEEvT1_,"axG",@progbits,_ZN7rocprim17ROCPRIM_400000_NS6detail17trampoline_kernelINS0_14default_configENS1_25transform_config_selectorIfLb0EEEZNS1_14transform_implILb0ES3_S5_NS0_18transform_iteratorINS0_17counting_iteratorImlEEZNS1_24adjacent_difference_implIS3_Lb1ELb0EPfSB_N6thrust23THRUST_200600_302600_NS4plusIfEEEE10hipError_tPvRmT2_T3_mT4_P12ihipStream_tbEUlmE_fEESB_NS0_8identityIvEEEESG_SJ_SK_mSL_SN_bEUlT_E_NS1_11comp_targetILNS1_3genE0ELNS1_11target_archE4294967295ELNS1_3gpuE0ELNS1_3repE0EEENS1_30default_config_static_selectorELNS0_4arch9wavefront6targetE0EEEvT1_,comdat
	.protected	_ZN7rocprim17ROCPRIM_400000_NS6detail17trampoline_kernelINS0_14default_configENS1_25transform_config_selectorIfLb0EEEZNS1_14transform_implILb0ES3_S5_NS0_18transform_iteratorINS0_17counting_iteratorImlEEZNS1_24adjacent_difference_implIS3_Lb1ELb0EPfSB_N6thrust23THRUST_200600_302600_NS4plusIfEEEE10hipError_tPvRmT2_T3_mT4_P12ihipStream_tbEUlmE_fEESB_NS0_8identityIvEEEESG_SJ_SK_mSL_SN_bEUlT_E_NS1_11comp_targetILNS1_3genE0ELNS1_11target_archE4294967295ELNS1_3gpuE0ELNS1_3repE0EEENS1_30default_config_static_selectorELNS0_4arch9wavefront6targetE0EEEvT1_ ; -- Begin function _ZN7rocprim17ROCPRIM_400000_NS6detail17trampoline_kernelINS0_14default_configENS1_25transform_config_selectorIfLb0EEEZNS1_14transform_implILb0ES3_S5_NS0_18transform_iteratorINS0_17counting_iteratorImlEEZNS1_24adjacent_difference_implIS3_Lb1ELb0EPfSB_N6thrust23THRUST_200600_302600_NS4plusIfEEEE10hipError_tPvRmT2_T3_mT4_P12ihipStream_tbEUlmE_fEESB_NS0_8identityIvEEEESG_SJ_SK_mSL_SN_bEUlT_E_NS1_11comp_targetILNS1_3genE0ELNS1_11target_archE4294967295ELNS1_3gpuE0ELNS1_3repE0EEENS1_30default_config_static_selectorELNS0_4arch9wavefront6targetE0EEEvT1_
	.globl	_ZN7rocprim17ROCPRIM_400000_NS6detail17trampoline_kernelINS0_14default_configENS1_25transform_config_selectorIfLb0EEEZNS1_14transform_implILb0ES3_S5_NS0_18transform_iteratorINS0_17counting_iteratorImlEEZNS1_24adjacent_difference_implIS3_Lb1ELb0EPfSB_N6thrust23THRUST_200600_302600_NS4plusIfEEEE10hipError_tPvRmT2_T3_mT4_P12ihipStream_tbEUlmE_fEESB_NS0_8identityIvEEEESG_SJ_SK_mSL_SN_bEUlT_E_NS1_11comp_targetILNS1_3genE0ELNS1_11target_archE4294967295ELNS1_3gpuE0ELNS1_3repE0EEENS1_30default_config_static_selectorELNS0_4arch9wavefront6targetE0EEEvT1_
	.p2align	8
	.type	_ZN7rocprim17ROCPRIM_400000_NS6detail17trampoline_kernelINS0_14default_configENS1_25transform_config_selectorIfLb0EEEZNS1_14transform_implILb0ES3_S5_NS0_18transform_iteratorINS0_17counting_iteratorImlEEZNS1_24adjacent_difference_implIS3_Lb1ELb0EPfSB_N6thrust23THRUST_200600_302600_NS4plusIfEEEE10hipError_tPvRmT2_T3_mT4_P12ihipStream_tbEUlmE_fEESB_NS0_8identityIvEEEESG_SJ_SK_mSL_SN_bEUlT_E_NS1_11comp_targetILNS1_3genE0ELNS1_11target_archE4294967295ELNS1_3gpuE0ELNS1_3repE0EEENS1_30default_config_static_selectorELNS0_4arch9wavefront6targetE0EEEvT1_,@function
_ZN7rocprim17ROCPRIM_400000_NS6detail17trampoline_kernelINS0_14default_configENS1_25transform_config_selectorIfLb0EEEZNS1_14transform_implILb0ES3_S5_NS0_18transform_iteratorINS0_17counting_iteratorImlEEZNS1_24adjacent_difference_implIS3_Lb1ELb0EPfSB_N6thrust23THRUST_200600_302600_NS4plusIfEEEE10hipError_tPvRmT2_T3_mT4_P12ihipStream_tbEUlmE_fEESB_NS0_8identityIvEEEESG_SJ_SK_mSL_SN_bEUlT_E_NS1_11comp_targetILNS1_3genE0ELNS1_11target_archE4294967295ELNS1_3gpuE0ELNS1_3repE0EEENS1_30default_config_static_selectorELNS0_4arch9wavefront6targetE0EEEvT1_: ; @_ZN7rocprim17ROCPRIM_400000_NS6detail17trampoline_kernelINS0_14default_configENS1_25transform_config_selectorIfLb0EEEZNS1_14transform_implILb0ES3_S5_NS0_18transform_iteratorINS0_17counting_iteratorImlEEZNS1_24adjacent_difference_implIS3_Lb1ELb0EPfSB_N6thrust23THRUST_200600_302600_NS4plusIfEEEE10hipError_tPvRmT2_T3_mT4_P12ihipStream_tbEUlmE_fEESB_NS0_8identityIvEEEESG_SJ_SK_mSL_SN_bEUlT_E_NS1_11comp_targetILNS1_3genE0ELNS1_11target_archE4294967295ELNS1_3gpuE0ELNS1_3repE0EEENS1_30default_config_static_selectorELNS0_4arch9wavefront6targetE0EEEvT1_
; %bb.0:
	.section	.rodata,"a",@progbits
	.p2align	6, 0x0
	.amdhsa_kernel _ZN7rocprim17ROCPRIM_400000_NS6detail17trampoline_kernelINS0_14default_configENS1_25transform_config_selectorIfLb0EEEZNS1_14transform_implILb0ES3_S5_NS0_18transform_iteratorINS0_17counting_iteratorImlEEZNS1_24adjacent_difference_implIS3_Lb1ELb0EPfSB_N6thrust23THRUST_200600_302600_NS4plusIfEEEE10hipError_tPvRmT2_T3_mT4_P12ihipStream_tbEUlmE_fEESB_NS0_8identityIvEEEESG_SJ_SK_mSL_SN_bEUlT_E_NS1_11comp_targetILNS1_3genE0ELNS1_11target_archE4294967295ELNS1_3gpuE0ELNS1_3repE0EEENS1_30default_config_static_selectorELNS0_4arch9wavefront6targetE0EEEvT1_
		.amdhsa_group_segment_fixed_size 0
		.amdhsa_private_segment_fixed_size 0
		.amdhsa_kernarg_size 56
		.amdhsa_user_sgpr_count 15
		.amdhsa_user_sgpr_dispatch_ptr 0
		.amdhsa_user_sgpr_queue_ptr 0
		.amdhsa_user_sgpr_kernarg_segment_ptr 1
		.amdhsa_user_sgpr_dispatch_id 0
		.amdhsa_user_sgpr_private_segment_size 0
		.amdhsa_wavefront_size32 1
		.amdhsa_uses_dynamic_stack 0
		.amdhsa_enable_private_segment 0
		.amdhsa_system_sgpr_workgroup_id_x 1
		.amdhsa_system_sgpr_workgroup_id_y 0
		.amdhsa_system_sgpr_workgroup_id_z 0
		.amdhsa_system_sgpr_workgroup_info 0
		.amdhsa_system_vgpr_workitem_id 0
		.amdhsa_next_free_vgpr 1
		.amdhsa_next_free_sgpr 1
		.amdhsa_reserve_vcc 0
		.amdhsa_float_round_mode_32 0
		.amdhsa_float_round_mode_16_64 0
		.amdhsa_float_denorm_mode_32 3
		.amdhsa_float_denorm_mode_16_64 3
		.amdhsa_dx10_clamp 1
		.amdhsa_ieee_mode 1
		.amdhsa_fp16_overflow 0
		.amdhsa_workgroup_processor_mode 1
		.amdhsa_memory_ordered 1
		.amdhsa_forward_progress 0
		.amdhsa_shared_vgpr_count 0
		.amdhsa_exception_fp_ieee_invalid_op 0
		.amdhsa_exception_fp_denorm_src 0
		.amdhsa_exception_fp_ieee_div_zero 0
		.amdhsa_exception_fp_ieee_overflow 0
		.amdhsa_exception_fp_ieee_underflow 0
		.amdhsa_exception_fp_ieee_inexact 0
		.amdhsa_exception_int_div_zero 0
	.end_amdhsa_kernel
	.section	.text._ZN7rocprim17ROCPRIM_400000_NS6detail17trampoline_kernelINS0_14default_configENS1_25transform_config_selectorIfLb0EEEZNS1_14transform_implILb0ES3_S5_NS0_18transform_iteratorINS0_17counting_iteratorImlEEZNS1_24adjacent_difference_implIS3_Lb1ELb0EPfSB_N6thrust23THRUST_200600_302600_NS4plusIfEEEE10hipError_tPvRmT2_T3_mT4_P12ihipStream_tbEUlmE_fEESB_NS0_8identityIvEEEESG_SJ_SK_mSL_SN_bEUlT_E_NS1_11comp_targetILNS1_3genE0ELNS1_11target_archE4294967295ELNS1_3gpuE0ELNS1_3repE0EEENS1_30default_config_static_selectorELNS0_4arch9wavefront6targetE0EEEvT1_,"axG",@progbits,_ZN7rocprim17ROCPRIM_400000_NS6detail17trampoline_kernelINS0_14default_configENS1_25transform_config_selectorIfLb0EEEZNS1_14transform_implILb0ES3_S5_NS0_18transform_iteratorINS0_17counting_iteratorImlEEZNS1_24adjacent_difference_implIS3_Lb1ELb0EPfSB_N6thrust23THRUST_200600_302600_NS4plusIfEEEE10hipError_tPvRmT2_T3_mT4_P12ihipStream_tbEUlmE_fEESB_NS0_8identityIvEEEESG_SJ_SK_mSL_SN_bEUlT_E_NS1_11comp_targetILNS1_3genE0ELNS1_11target_archE4294967295ELNS1_3gpuE0ELNS1_3repE0EEENS1_30default_config_static_selectorELNS0_4arch9wavefront6targetE0EEEvT1_,comdat
.Lfunc_end86:
	.size	_ZN7rocprim17ROCPRIM_400000_NS6detail17trampoline_kernelINS0_14default_configENS1_25transform_config_selectorIfLb0EEEZNS1_14transform_implILb0ES3_S5_NS0_18transform_iteratorINS0_17counting_iteratorImlEEZNS1_24adjacent_difference_implIS3_Lb1ELb0EPfSB_N6thrust23THRUST_200600_302600_NS4plusIfEEEE10hipError_tPvRmT2_T3_mT4_P12ihipStream_tbEUlmE_fEESB_NS0_8identityIvEEEESG_SJ_SK_mSL_SN_bEUlT_E_NS1_11comp_targetILNS1_3genE0ELNS1_11target_archE4294967295ELNS1_3gpuE0ELNS1_3repE0EEENS1_30default_config_static_selectorELNS0_4arch9wavefront6targetE0EEEvT1_, .Lfunc_end86-_ZN7rocprim17ROCPRIM_400000_NS6detail17trampoline_kernelINS0_14default_configENS1_25transform_config_selectorIfLb0EEEZNS1_14transform_implILb0ES3_S5_NS0_18transform_iteratorINS0_17counting_iteratorImlEEZNS1_24adjacent_difference_implIS3_Lb1ELb0EPfSB_N6thrust23THRUST_200600_302600_NS4plusIfEEEE10hipError_tPvRmT2_T3_mT4_P12ihipStream_tbEUlmE_fEESB_NS0_8identityIvEEEESG_SJ_SK_mSL_SN_bEUlT_E_NS1_11comp_targetILNS1_3genE0ELNS1_11target_archE4294967295ELNS1_3gpuE0ELNS1_3repE0EEENS1_30default_config_static_selectorELNS0_4arch9wavefront6targetE0EEEvT1_
                                        ; -- End function
	.section	.AMDGPU.csdata,"",@progbits
; Kernel info:
; codeLenInByte = 0
; NumSgprs: 0
; NumVgprs: 0
; ScratchSize: 0
; MemoryBound: 0
; FloatMode: 240
; IeeeMode: 1
; LDSByteSize: 0 bytes/workgroup (compile time only)
; SGPRBlocks: 0
; VGPRBlocks: 0
; NumSGPRsForWavesPerEU: 1
; NumVGPRsForWavesPerEU: 1
; Occupancy: 16
; WaveLimiterHint : 0
; COMPUTE_PGM_RSRC2:SCRATCH_EN: 0
; COMPUTE_PGM_RSRC2:USER_SGPR: 15
; COMPUTE_PGM_RSRC2:TRAP_HANDLER: 0
; COMPUTE_PGM_RSRC2:TGID_X_EN: 1
; COMPUTE_PGM_RSRC2:TGID_Y_EN: 0
; COMPUTE_PGM_RSRC2:TGID_Z_EN: 0
; COMPUTE_PGM_RSRC2:TIDIG_COMP_CNT: 0
	.section	.text._ZN7rocprim17ROCPRIM_400000_NS6detail17trampoline_kernelINS0_14default_configENS1_25transform_config_selectorIfLb0EEEZNS1_14transform_implILb0ES3_S5_NS0_18transform_iteratorINS0_17counting_iteratorImlEEZNS1_24adjacent_difference_implIS3_Lb1ELb0EPfSB_N6thrust23THRUST_200600_302600_NS4plusIfEEEE10hipError_tPvRmT2_T3_mT4_P12ihipStream_tbEUlmE_fEESB_NS0_8identityIvEEEESG_SJ_SK_mSL_SN_bEUlT_E_NS1_11comp_targetILNS1_3genE5ELNS1_11target_archE942ELNS1_3gpuE9ELNS1_3repE0EEENS1_30default_config_static_selectorELNS0_4arch9wavefront6targetE0EEEvT1_,"axG",@progbits,_ZN7rocprim17ROCPRIM_400000_NS6detail17trampoline_kernelINS0_14default_configENS1_25transform_config_selectorIfLb0EEEZNS1_14transform_implILb0ES3_S5_NS0_18transform_iteratorINS0_17counting_iteratorImlEEZNS1_24adjacent_difference_implIS3_Lb1ELb0EPfSB_N6thrust23THRUST_200600_302600_NS4plusIfEEEE10hipError_tPvRmT2_T3_mT4_P12ihipStream_tbEUlmE_fEESB_NS0_8identityIvEEEESG_SJ_SK_mSL_SN_bEUlT_E_NS1_11comp_targetILNS1_3genE5ELNS1_11target_archE942ELNS1_3gpuE9ELNS1_3repE0EEENS1_30default_config_static_selectorELNS0_4arch9wavefront6targetE0EEEvT1_,comdat
	.protected	_ZN7rocprim17ROCPRIM_400000_NS6detail17trampoline_kernelINS0_14default_configENS1_25transform_config_selectorIfLb0EEEZNS1_14transform_implILb0ES3_S5_NS0_18transform_iteratorINS0_17counting_iteratorImlEEZNS1_24adjacent_difference_implIS3_Lb1ELb0EPfSB_N6thrust23THRUST_200600_302600_NS4plusIfEEEE10hipError_tPvRmT2_T3_mT4_P12ihipStream_tbEUlmE_fEESB_NS0_8identityIvEEEESG_SJ_SK_mSL_SN_bEUlT_E_NS1_11comp_targetILNS1_3genE5ELNS1_11target_archE942ELNS1_3gpuE9ELNS1_3repE0EEENS1_30default_config_static_selectorELNS0_4arch9wavefront6targetE0EEEvT1_ ; -- Begin function _ZN7rocprim17ROCPRIM_400000_NS6detail17trampoline_kernelINS0_14default_configENS1_25transform_config_selectorIfLb0EEEZNS1_14transform_implILb0ES3_S5_NS0_18transform_iteratorINS0_17counting_iteratorImlEEZNS1_24adjacent_difference_implIS3_Lb1ELb0EPfSB_N6thrust23THRUST_200600_302600_NS4plusIfEEEE10hipError_tPvRmT2_T3_mT4_P12ihipStream_tbEUlmE_fEESB_NS0_8identityIvEEEESG_SJ_SK_mSL_SN_bEUlT_E_NS1_11comp_targetILNS1_3genE5ELNS1_11target_archE942ELNS1_3gpuE9ELNS1_3repE0EEENS1_30default_config_static_selectorELNS0_4arch9wavefront6targetE0EEEvT1_
	.globl	_ZN7rocprim17ROCPRIM_400000_NS6detail17trampoline_kernelINS0_14default_configENS1_25transform_config_selectorIfLb0EEEZNS1_14transform_implILb0ES3_S5_NS0_18transform_iteratorINS0_17counting_iteratorImlEEZNS1_24adjacent_difference_implIS3_Lb1ELb0EPfSB_N6thrust23THRUST_200600_302600_NS4plusIfEEEE10hipError_tPvRmT2_T3_mT4_P12ihipStream_tbEUlmE_fEESB_NS0_8identityIvEEEESG_SJ_SK_mSL_SN_bEUlT_E_NS1_11comp_targetILNS1_3genE5ELNS1_11target_archE942ELNS1_3gpuE9ELNS1_3repE0EEENS1_30default_config_static_selectorELNS0_4arch9wavefront6targetE0EEEvT1_
	.p2align	8
	.type	_ZN7rocprim17ROCPRIM_400000_NS6detail17trampoline_kernelINS0_14default_configENS1_25transform_config_selectorIfLb0EEEZNS1_14transform_implILb0ES3_S5_NS0_18transform_iteratorINS0_17counting_iteratorImlEEZNS1_24adjacent_difference_implIS3_Lb1ELb0EPfSB_N6thrust23THRUST_200600_302600_NS4plusIfEEEE10hipError_tPvRmT2_T3_mT4_P12ihipStream_tbEUlmE_fEESB_NS0_8identityIvEEEESG_SJ_SK_mSL_SN_bEUlT_E_NS1_11comp_targetILNS1_3genE5ELNS1_11target_archE942ELNS1_3gpuE9ELNS1_3repE0EEENS1_30default_config_static_selectorELNS0_4arch9wavefront6targetE0EEEvT1_,@function
_ZN7rocprim17ROCPRIM_400000_NS6detail17trampoline_kernelINS0_14default_configENS1_25transform_config_selectorIfLb0EEEZNS1_14transform_implILb0ES3_S5_NS0_18transform_iteratorINS0_17counting_iteratorImlEEZNS1_24adjacent_difference_implIS3_Lb1ELb0EPfSB_N6thrust23THRUST_200600_302600_NS4plusIfEEEE10hipError_tPvRmT2_T3_mT4_P12ihipStream_tbEUlmE_fEESB_NS0_8identityIvEEEESG_SJ_SK_mSL_SN_bEUlT_E_NS1_11comp_targetILNS1_3genE5ELNS1_11target_archE942ELNS1_3gpuE9ELNS1_3repE0EEENS1_30default_config_static_selectorELNS0_4arch9wavefront6targetE0EEEvT1_: ; @_ZN7rocprim17ROCPRIM_400000_NS6detail17trampoline_kernelINS0_14default_configENS1_25transform_config_selectorIfLb0EEEZNS1_14transform_implILb0ES3_S5_NS0_18transform_iteratorINS0_17counting_iteratorImlEEZNS1_24adjacent_difference_implIS3_Lb1ELb0EPfSB_N6thrust23THRUST_200600_302600_NS4plusIfEEEE10hipError_tPvRmT2_T3_mT4_P12ihipStream_tbEUlmE_fEESB_NS0_8identityIvEEEESG_SJ_SK_mSL_SN_bEUlT_E_NS1_11comp_targetILNS1_3genE5ELNS1_11target_archE942ELNS1_3gpuE9ELNS1_3repE0EEENS1_30default_config_static_selectorELNS0_4arch9wavefront6targetE0EEEvT1_
; %bb.0:
	.section	.rodata,"a",@progbits
	.p2align	6, 0x0
	.amdhsa_kernel _ZN7rocprim17ROCPRIM_400000_NS6detail17trampoline_kernelINS0_14default_configENS1_25transform_config_selectorIfLb0EEEZNS1_14transform_implILb0ES3_S5_NS0_18transform_iteratorINS0_17counting_iteratorImlEEZNS1_24adjacent_difference_implIS3_Lb1ELb0EPfSB_N6thrust23THRUST_200600_302600_NS4plusIfEEEE10hipError_tPvRmT2_T3_mT4_P12ihipStream_tbEUlmE_fEESB_NS0_8identityIvEEEESG_SJ_SK_mSL_SN_bEUlT_E_NS1_11comp_targetILNS1_3genE5ELNS1_11target_archE942ELNS1_3gpuE9ELNS1_3repE0EEENS1_30default_config_static_selectorELNS0_4arch9wavefront6targetE0EEEvT1_
		.amdhsa_group_segment_fixed_size 0
		.amdhsa_private_segment_fixed_size 0
		.amdhsa_kernarg_size 56
		.amdhsa_user_sgpr_count 15
		.amdhsa_user_sgpr_dispatch_ptr 0
		.amdhsa_user_sgpr_queue_ptr 0
		.amdhsa_user_sgpr_kernarg_segment_ptr 1
		.amdhsa_user_sgpr_dispatch_id 0
		.amdhsa_user_sgpr_private_segment_size 0
		.amdhsa_wavefront_size32 1
		.amdhsa_uses_dynamic_stack 0
		.amdhsa_enable_private_segment 0
		.amdhsa_system_sgpr_workgroup_id_x 1
		.amdhsa_system_sgpr_workgroup_id_y 0
		.amdhsa_system_sgpr_workgroup_id_z 0
		.amdhsa_system_sgpr_workgroup_info 0
		.amdhsa_system_vgpr_workitem_id 0
		.amdhsa_next_free_vgpr 1
		.amdhsa_next_free_sgpr 1
		.amdhsa_reserve_vcc 0
		.amdhsa_float_round_mode_32 0
		.amdhsa_float_round_mode_16_64 0
		.amdhsa_float_denorm_mode_32 3
		.amdhsa_float_denorm_mode_16_64 3
		.amdhsa_dx10_clamp 1
		.amdhsa_ieee_mode 1
		.amdhsa_fp16_overflow 0
		.amdhsa_workgroup_processor_mode 1
		.amdhsa_memory_ordered 1
		.amdhsa_forward_progress 0
		.amdhsa_shared_vgpr_count 0
		.amdhsa_exception_fp_ieee_invalid_op 0
		.amdhsa_exception_fp_denorm_src 0
		.amdhsa_exception_fp_ieee_div_zero 0
		.amdhsa_exception_fp_ieee_overflow 0
		.amdhsa_exception_fp_ieee_underflow 0
		.amdhsa_exception_fp_ieee_inexact 0
		.amdhsa_exception_int_div_zero 0
	.end_amdhsa_kernel
	.section	.text._ZN7rocprim17ROCPRIM_400000_NS6detail17trampoline_kernelINS0_14default_configENS1_25transform_config_selectorIfLb0EEEZNS1_14transform_implILb0ES3_S5_NS0_18transform_iteratorINS0_17counting_iteratorImlEEZNS1_24adjacent_difference_implIS3_Lb1ELb0EPfSB_N6thrust23THRUST_200600_302600_NS4plusIfEEEE10hipError_tPvRmT2_T3_mT4_P12ihipStream_tbEUlmE_fEESB_NS0_8identityIvEEEESG_SJ_SK_mSL_SN_bEUlT_E_NS1_11comp_targetILNS1_3genE5ELNS1_11target_archE942ELNS1_3gpuE9ELNS1_3repE0EEENS1_30default_config_static_selectorELNS0_4arch9wavefront6targetE0EEEvT1_,"axG",@progbits,_ZN7rocprim17ROCPRIM_400000_NS6detail17trampoline_kernelINS0_14default_configENS1_25transform_config_selectorIfLb0EEEZNS1_14transform_implILb0ES3_S5_NS0_18transform_iteratorINS0_17counting_iteratorImlEEZNS1_24adjacent_difference_implIS3_Lb1ELb0EPfSB_N6thrust23THRUST_200600_302600_NS4plusIfEEEE10hipError_tPvRmT2_T3_mT4_P12ihipStream_tbEUlmE_fEESB_NS0_8identityIvEEEESG_SJ_SK_mSL_SN_bEUlT_E_NS1_11comp_targetILNS1_3genE5ELNS1_11target_archE942ELNS1_3gpuE9ELNS1_3repE0EEENS1_30default_config_static_selectorELNS0_4arch9wavefront6targetE0EEEvT1_,comdat
.Lfunc_end87:
	.size	_ZN7rocprim17ROCPRIM_400000_NS6detail17trampoline_kernelINS0_14default_configENS1_25transform_config_selectorIfLb0EEEZNS1_14transform_implILb0ES3_S5_NS0_18transform_iteratorINS0_17counting_iteratorImlEEZNS1_24adjacent_difference_implIS3_Lb1ELb0EPfSB_N6thrust23THRUST_200600_302600_NS4plusIfEEEE10hipError_tPvRmT2_T3_mT4_P12ihipStream_tbEUlmE_fEESB_NS0_8identityIvEEEESG_SJ_SK_mSL_SN_bEUlT_E_NS1_11comp_targetILNS1_3genE5ELNS1_11target_archE942ELNS1_3gpuE9ELNS1_3repE0EEENS1_30default_config_static_selectorELNS0_4arch9wavefront6targetE0EEEvT1_, .Lfunc_end87-_ZN7rocprim17ROCPRIM_400000_NS6detail17trampoline_kernelINS0_14default_configENS1_25transform_config_selectorIfLb0EEEZNS1_14transform_implILb0ES3_S5_NS0_18transform_iteratorINS0_17counting_iteratorImlEEZNS1_24adjacent_difference_implIS3_Lb1ELb0EPfSB_N6thrust23THRUST_200600_302600_NS4plusIfEEEE10hipError_tPvRmT2_T3_mT4_P12ihipStream_tbEUlmE_fEESB_NS0_8identityIvEEEESG_SJ_SK_mSL_SN_bEUlT_E_NS1_11comp_targetILNS1_3genE5ELNS1_11target_archE942ELNS1_3gpuE9ELNS1_3repE0EEENS1_30default_config_static_selectorELNS0_4arch9wavefront6targetE0EEEvT1_
                                        ; -- End function
	.section	.AMDGPU.csdata,"",@progbits
; Kernel info:
; codeLenInByte = 0
; NumSgprs: 0
; NumVgprs: 0
; ScratchSize: 0
; MemoryBound: 0
; FloatMode: 240
; IeeeMode: 1
; LDSByteSize: 0 bytes/workgroup (compile time only)
; SGPRBlocks: 0
; VGPRBlocks: 0
; NumSGPRsForWavesPerEU: 1
; NumVGPRsForWavesPerEU: 1
; Occupancy: 16
; WaveLimiterHint : 0
; COMPUTE_PGM_RSRC2:SCRATCH_EN: 0
; COMPUTE_PGM_RSRC2:USER_SGPR: 15
; COMPUTE_PGM_RSRC2:TRAP_HANDLER: 0
; COMPUTE_PGM_RSRC2:TGID_X_EN: 1
; COMPUTE_PGM_RSRC2:TGID_Y_EN: 0
; COMPUTE_PGM_RSRC2:TGID_Z_EN: 0
; COMPUTE_PGM_RSRC2:TIDIG_COMP_CNT: 0
	.section	.text._ZN7rocprim17ROCPRIM_400000_NS6detail17trampoline_kernelINS0_14default_configENS1_25transform_config_selectorIfLb0EEEZNS1_14transform_implILb0ES3_S5_NS0_18transform_iteratorINS0_17counting_iteratorImlEEZNS1_24adjacent_difference_implIS3_Lb1ELb0EPfSB_N6thrust23THRUST_200600_302600_NS4plusIfEEEE10hipError_tPvRmT2_T3_mT4_P12ihipStream_tbEUlmE_fEESB_NS0_8identityIvEEEESG_SJ_SK_mSL_SN_bEUlT_E_NS1_11comp_targetILNS1_3genE4ELNS1_11target_archE910ELNS1_3gpuE8ELNS1_3repE0EEENS1_30default_config_static_selectorELNS0_4arch9wavefront6targetE0EEEvT1_,"axG",@progbits,_ZN7rocprim17ROCPRIM_400000_NS6detail17trampoline_kernelINS0_14default_configENS1_25transform_config_selectorIfLb0EEEZNS1_14transform_implILb0ES3_S5_NS0_18transform_iteratorINS0_17counting_iteratorImlEEZNS1_24adjacent_difference_implIS3_Lb1ELb0EPfSB_N6thrust23THRUST_200600_302600_NS4plusIfEEEE10hipError_tPvRmT2_T3_mT4_P12ihipStream_tbEUlmE_fEESB_NS0_8identityIvEEEESG_SJ_SK_mSL_SN_bEUlT_E_NS1_11comp_targetILNS1_3genE4ELNS1_11target_archE910ELNS1_3gpuE8ELNS1_3repE0EEENS1_30default_config_static_selectorELNS0_4arch9wavefront6targetE0EEEvT1_,comdat
	.protected	_ZN7rocprim17ROCPRIM_400000_NS6detail17trampoline_kernelINS0_14default_configENS1_25transform_config_selectorIfLb0EEEZNS1_14transform_implILb0ES3_S5_NS0_18transform_iteratorINS0_17counting_iteratorImlEEZNS1_24adjacent_difference_implIS3_Lb1ELb0EPfSB_N6thrust23THRUST_200600_302600_NS4plusIfEEEE10hipError_tPvRmT2_T3_mT4_P12ihipStream_tbEUlmE_fEESB_NS0_8identityIvEEEESG_SJ_SK_mSL_SN_bEUlT_E_NS1_11comp_targetILNS1_3genE4ELNS1_11target_archE910ELNS1_3gpuE8ELNS1_3repE0EEENS1_30default_config_static_selectorELNS0_4arch9wavefront6targetE0EEEvT1_ ; -- Begin function _ZN7rocprim17ROCPRIM_400000_NS6detail17trampoline_kernelINS0_14default_configENS1_25transform_config_selectorIfLb0EEEZNS1_14transform_implILb0ES3_S5_NS0_18transform_iteratorINS0_17counting_iteratorImlEEZNS1_24adjacent_difference_implIS3_Lb1ELb0EPfSB_N6thrust23THRUST_200600_302600_NS4plusIfEEEE10hipError_tPvRmT2_T3_mT4_P12ihipStream_tbEUlmE_fEESB_NS0_8identityIvEEEESG_SJ_SK_mSL_SN_bEUlT_E_NS1_11comp_targetILNS1_3genE4ELNS1_11target_archE910ELNS1_3gpuE8ELNS1_3repE0EEENS1_30default_config_static_selectorELNS0_4arch9wavefront6targetE0EEEvT1_
	.globl	_ZN7rocprim17ROCPRIM_400000_NS6detail17trampoline_kernelINS0_14default_configENS1_25transform_config_selectorIfLb0EEEZNS1_14transform_implILb0ES3_S5_NS0_18transform_iteratorINS0_17counting_iteratorImlEEZNS1_24adjacent_difference_implIS3_Lb1ELb0EPfSB_N6thrust23THRUST_200600_302600_NS4plusIfEEEE10hipError_tPvRmT2_T3_mT4_P12ihipStream_tbEUlmE_fEESB_NS0_8identityIvEEEESG_SJ_SK_mSL_SN_bEUlT_E_NS1_11comp_targetILNS1_3genE4ELNS1_11target_archE910ELNS1_3gpuE8ELNS1_3repE0EEENS1_30default_config_static_selectorELNS0_4arch9wavefront6targetE0EEEvT1_
	.p2align	8
	.type	_ZN7rocprim17ROCPRIM_400000_NS6detail17trampoline_kernelINS0_14default_configENS1_25transform_config_selectorIfLb0EEEZNS1_14transform_implILb0ES3_S5_NS0_18transform_iteratorINS0_17counting_iteratorImlEEZNS1_24adjacent_difference_implIS3_Lb1ELb0EPfSB_N6thrust23THRUST_200600_302600_NS4plusIfEEEE10hipError_tPvRmT2_T3_mT4_P12ihipStream_tbEUlmE_fEESB_NS0_8identityIvEEEESG_SJ_SK_mSL_SN_bEUlT_E_NS1_11comp_targetILNS1_3genE4ELNS1_11target_archE910ELNS1_3gpuE8ELNS1_3repE0EEENS1_30default_config_static_selectorELNS0_4arch9wavefront6targetE0EEEvT1_,@function
_ZN7rocprim17ROCPRIM_400000_NS6detail17trampoline_kernelINS0_14default_configENS1_25transform_config_selectorIfLb0EEEZNS1_14transform_implILb0ES3_S5_NS0_18transform_iteratorINS0_17counting_iteratorImlEEZNS1_24adjacent_difference_implIS3_Lb1ELb0EPfSB_N6thrust23THRUST_200600_302600_NS4plusIfEEEE10hipError_tPvRmT2_T3_mT4_P12ihipStream_tbEUlmE_fEESB_NS0_8identityIvEEEESG_SJ_SK_mSL_SN_bEUlT_E_NS1_11comp_targetILNS1_3genE4ELNS1_11target_archE910ELNS1_3gpuE8ELNS1_3repE0EEENS1_30default_config_static_selectorELNS0_4arch9wavefront6targetE0EEEvT1_: ; @_ZN7rocprim17ROCPRIM_400000_NS6detail17trampoline_kernelINS0_14default_configENS1_25transform_config_selectorIfLb0EEEZNS1_14transform_implILb0ES3_S5_NS0_18transform_iteratorINS0_17counting_iteratorImlEEZNS1_24adjacent_difference_implIS3_Lb1ELb0EPfSB_N6thrust23THRUST_200600_302600_NS4plusIfEEEE10hipError_tPvRmT2_T3_mT4_P12ihipStream_tbEUlmE_fEESB_NS0_8identityIvEEEESG_SJ_SK_mSL_SN_bEUlT_E_NS1_11comp_targetILNS1_3genE4ELNS1_11target_archE910ELNS1_3gpuE8ELNS1_3repE0EEENS1_30default_config_static_selectorELNS0_4arch9wavefront6targetE0EEEvT1_
; %bb.0:
	.section	.rodata,"a",@progbits
	.p2align	6, 0x0
	.amdhsa_kernel _ZN7rocprim17ROCPRIM_400000_NS6detail17trampoline_kernelINS0_14default_configENS1_25transform_config_selectorIfLb0EEEZNS1_14transform_implILb0ES3_S5_NS0_18transform_iteratorINS0_17counting_iteratorImlEEZNS1_24adjacent_difference_implIS3_Lb1ELb0EPfSB_N6thrust23THRUST_200600_302600_NS4plusIfEEEE10hipError_tPvRmT2_T3_mT4_P12ihipStream_tbEUlmE_fEESB_NS0_8identityIvEEEESG_SJ_SK_mSL_SN_bEUlT_E_NS1_11comp_targetILNS1_3genE4ELNS1_11target_archE910ELNS1_3gpuE8ELNS1_3repE0EEENS1_30default_config_static_selectorELNS0_4arch9wavefront6targetE0EEEvT1_
		.amdhsa_group_segment_fixed_size 0
		.amdhsa_private_segment_fixed_size 0
		.amdhsa_kernarg_size 56
		.amdhsa_user_sgpr_count 15
		.amdhsa_user_sgpr_dispatch_ptr 0
		.amdhsa_user_sgpr_queue_ptr 0
		.amdhsa_user_sgpr_kernarg_segment_ptr 1
		.amdhsa_user_sgpr_dispatch_id 0
		.amdhsa_user_sgpr_private_segment_size 0
		.amdhsa_wavefront_size32 1
		.amdhsa_uses_dynamic_stack 0
		.amdhsa_enable_private_segment 0
		.amdhsa_system_sgpr_workgroup_id_x 1
		.amdhsa_system_sgpr_workgroup_id_y 0
		.amdhsa_system_sgpr_workgroup_id_z 0
		.amdhsa_system_sgpr_workgroup_info 0
		.amdhsa_system_vgpr_workitem_id 0
		.amdhsa_next_free_vgpr 1
		.amdhsa_next_free_sgpr 1
		.amdhsa_reserve_vcc 0
		.amdhsa_float_round_mode_32 0
		.amdhsa_float_round_mode_16_64 0
		.amdhsa_float_denorm_mode_32 3
		.amdhsa_float_denorm_mode_16_64 3
		.amdhsa_dx10_clamp 1
		.amdhsa_ieee_mode 1
		.amdhsa_fp16_overflow 0
		.amdhsa_workgroup_processor_mode 1
		.amdhsa_memory_ordered 1
		.amdhsa_forward_progress 0
		.amdhsa_shared_vgpr_count 0
		.amdhsa_exception_fp_ieee_invalid_op 0
		.amdhsa_exception_fp_denorm_src 0
		.amdhsa_exception_fp_ieee_div_zero 0
		.amdhsa_exception_fp_ieee_overflow 0
		.amdhsa_exception_fp_ieee_underflow 0
		.amdhsa_exception_fp_ieee_inexact 0
		.amdhsa_exception_int_div_zero 0
	.end_amdhsa_kernel
	.section	.text._ZN7rocprim17ROCPRIM_400000_NS6detail17trampoline_kernelINS0_14default_configENS1_25transform_config_selectorIfLb0EEEZNS1_14transform_implILb0ES3_S5_NS0_18transform_iteratorINS0_17counting_iteratorImlEEZNS1_24adjacent_difference_implIS3_Lb1ELb0EPfSB_N6thrust23THRUST_200600_302600_NS4plusIfEEEE10hipError_tPvRmT2_T3_mT4_P12ihipStream_tbEUlmE_fEESB_NS0_8identityIvEEEESG_SJ_SK_mSL_SN_bEUlT_E_NS1_11comp_targetILNS1_3genE4ELNS1_11target_archE910ELNS1_3gpuE8ELNS1_3repE0EEENS1_30default_config_static_selectorELNS0_4arch9wavefront6targetE0EEEvT1_,"axG",@progbits,_ZN7rocprim17ROCPRIM_400000_NS6detail17trampoline_kernelINS0_14default_configENS1_25transform_config_selectorIfLb0EEEZNS1_14transform_implILb0ES3_S5_NS0_18transform_iteratorINS0_17counting_iteratorImlEEZNS1_24adjacent_difference_implIS3_Lb1ELb0EPfSB_N6thrust23THRUST_200600_302600_NS4plusIfEEEE10hipError_tPvRmT2_T3_mT4_P12ihipStream_tbEUlmE_fEESB_NS0_8identityIvEEEESG_SJ_SK_mSL_SN_bEUlT_E_NS1_11comp_targetILNS1_3genE4ELNS1_11target_archE910ELNS1_3gpuE8ELNS1_3repE0EEENS1_30default_config_static_selectorELNS0_4arch9wavefront6targetE0EEEvT1_,comdat
.Lfunc_end88:
	.size	_ZN7rocprim17ROCPRIM_400000_NS6detail17trampoline_kernelINS0_14default_configENS1_25transform_config_selectorIfLb0EEEZNS1_14transform_implILb0ES3_S5_NS0_18transform_iteratorINS0_17counting_iteratorImlEEZNS1_24adjacent_difference_implIS3_Lb1ELb0EPfSB_N6thrust23THRUST_200600_302600_NS4plusIfEEEE10hipError_tPvRmT2_T3_mT4_P12ihipStream_tbEUlmE_fEESB_NS0_8identityIvEEEESG_SJ_SK_mSL_SN_bEUlT_E_NS1_11comp_targetILNS1_3genE4ELNS1_11target_archE910ELNS1_3gpuE8ELNS1_3repE0EEENS1_30default_config_static_selectorELNS0_4arch9wavefront6targetE0EEEvT1_, .Lfunc_end88-_ZN7rocprim17ROCPRIM_400000_NS6detail17trampoline_kernelINS0_14default_configENS1_25transform_config_selectorIfLb0EEEZNS1_14transform_implILb0ES3_S5_NS0_18transform_iteratorINS0_17counting_iteratorImlEEZNS1_24adjacent_difference_implIS3_Lb1ELb0EPfSB_N6thrust23THRUST_200600_302600_NS4plusIfEEEE10hipError_tPvRmT2_T3_mT4_P12ihipStream_tbEUlmE_fEESB_NS0_8identityIvEEEESG_SJ_SK_mSL_SN_bEUlT_E_NS1_11comp_targetILNS1_3genE4ELNS1_11target_archE910ELNS1_3gpuE8ELNS1_3repE0EEENS1_30default_config_static_selectorELNS0_4arch9wavefront6targetE0EEEvT1_
                                        ; -- End function
	.section	.AMDGPU.csdata,"",@progbits
; Kernel info:
; codeLenInByte = 0
; NumSgprs: 0
; NumVgprs: 0
; ScratchSize: 0
; MemoryBound: 0
; FloatMode: 240
; IeeeMode: 1
; LDSByteSize: 0 bytes/workgroup (compile time only)
; SGPRBlocks: 0
; VGPRBlocks: 0
; NumSGPRsForWavesPerEU: 1
; NumVGPRsForWavesPerEU: 1
; Occupancy: 16
; WaveLimiterHint : 0
; COMPUTE_PGM_RSRC2:SCRATCH_EN: 0
; COMPUTE_PGM_RSRC2:USER_SGPR: 15
; COMPUTE_PGM_RSRC2:TRAP_HANDLER: 0
; COMPUTE_PGM_RSRC2:TGID_X_EN: 1
; COMPUTE_PGM_RSRC2:TGID_Y_EN: 0
; COMPUTE_PGM_RSRC2:TGID_Z_EN: 0
; COMPUTE_PGM_RSRC2:TIDIG_COMP_CNT: 0
	.section	.text._ZN7rocprim17ROCPRIM_400000_NS6detail17trampoline_kernelINS0_14default_configENS1_25transform_config_selectorIfLb0EEEZNS1_14transform_implILb0ES3_S5_NS0_18transform_iteratorINS0_17counting_iteratorImlEEZNS1_24adjacent_difference_implIS3_Lb1ELb0EPfSB_N6thrust23THRUST_200600_302600_NS4plusIfEEEE10hipError_tPvRmT2_T3_mT4_P12ihipStream_tbEUlmE_fEESB_NS0_8identityIvEEEESG_SJ_SK_mSL_SN_bEUlT_E_NS1_11comp_targetILNS1_3genE3ELNS1_11target_archE908ELNS1_3gpuE7ELNS1_3repE0EEENS1_30default_config_static_selectorELNS0_4arch9wavefront6targetE0EEEvT1_,"axG",@progbits,_ZN7rocprim17ROCPRIM_400000_NS6detail17trampoline_kernelINS0_14default_configENS1_25transform_config_selectorIfLb0EEEZNS1_14transform_implILb0ES3_S5_NS0_18transform_iteratorINS0_17counting_iteratorImlEEZNS1_24adjacent_difference_implIS3_Lb1ELb0EPfSB_N6thrust23THRUST_200600_302600_NS4plusIfEEEE10hipError_tPvRmT2_T3_mT4_P12ihipStream_tbEUlmE_fEESB_NS0_8identityIvEEEESG_SJ_SK_mSL_SN_bEUlT_E_NS1_11comp_targetILNS1_3genE3ELNS1_11target_archE908ELNS1_3gpuE7ELNS1_3repE0EEENS1_30default_config_static_selectorELNS0_4arch9wavefront6targetE0EEEvT1_,comdat
	.protected	_ZN7rocprim17ROCPRIM_400000_NS6detail17trampoline_kernelINS0_14default_configENS1_25transform_config_selectorIfLb0EEEZNS1_14transform_implILb0ES3_S5_NS0_18transform_iteratorINS0_17counting_iteratorImlEEZNS1_24adjacent_difference_implIS3_Lb1ELb0EPfSB_N6thrust23THRUST_200600_302600_NS4plusIfEEEE10hipError_tPvRmT2_T3_mT4_P12ihipStream_tbEUlmE_fEESB_NS0_8identityIvEEEESG_SJ_SK_mSL_SN_bEUlT_E_NS1_11comp_targetILNS1_3genE3ELNS1_11target_archE908ELNS1_3gpuE7ELNS1_3repE0EEENS1_30default_config_static_selectorELNS0_4arch9wavefront6targetE0EEEvT1_ ; -- Begin function _ZN7rocprim17ROCPRIM_400000_NS6detail17trampoline_kernelINS0_14default_configENS1_25transform_config_selectorIfLb0EEEZNS1_14transform_implILb0ES3_S5_NS0_18transform_iteratorINS0_17counting_iteratorImlEEZNS1_24adjacent_difference_implIS3_Lb1ELb0EPfSB_N6thrust23THRUST_200600_302600_NS4plusIfEEEE10hipError_tPvRmT2_T3_mT4_P12ihipStream_tbEUlmE_fEESB_NS0_8identityIvEEEESG_SJ_SK_mSL_SN_bEUlT_E_NS1_11comp_targetILNS1_3genE3ELNS1_11target_archE908ELNS1_3gpuE7ELNS1_3repE0EEENS1_30default_config_static_selectorELNS0_4arch9wavefront6targetE0EEEvT1_
	.globl	_ZN7rocprim17ROCPRIM_400000_NS6detail17trampoline_kernelINS0_14default_configENS1_25transform_config_selectorIfLb0EEEZNS1_14transform_implILb0ES3_S5_NS0_18transform_iteratorINS0_17counting_iteratorImlEEZNS1_24adjacent_difference_implIS3_Lb1ELb0EPfSB_N6thrust23THRUST_200600_302600_NS4plusIfEEEE10hipError_tPvRmT2_T3_mT4_P12ihipStream_tbEUlmE_fEESB_NS0_8identityIvEEEESG_SJ_SK_mSL_SN_bEUlT_E_NS1_11comp_targetILNS1_3genE3ELNS1_11target_archE908ELNS1_3gpuE7ELNS1_3repE0EEENS1_30default_config_static_selectorELNS0_4arch9wavefront6targetE0EEEvT1_
	.p2align	8
	.type	_ZN7rocprim17ROCPRIM_400000_NS6detail17trampoline_kernelINS0_14default_configENS1_25transform_config_selectorIfLb0EEEZNS1_14transform_implILb0ES3_S5_NS0_18transform_iteratorINS0_17counting_iteratorImlEEZNS1_24adjacent_difference_implIS3_Lb1ELb0EPfSB_N6thrust23THRUST_200600_302600_NS4plusIfEEEE10hipError_tPvRmT2_T3_mT4_P12ihipStream_tbEUlmE_fEESB_NS0_8identityIvEEEESG_SJ_SK_mSL_SN_bEUlT_E_NS1_11comp_targetILNS1_3genE3ELNS1_11target_archE908ELNS1_3gpuE7ELNS1_3repE0EEENS1_30default_config_static_selectorELNS0_4arch9wavefront6targetE0EEEvT1_,@function
_ZN7rocprim17ROCPRIM_400000_NS6detail17trampoline_kernelINS0_14default_configENS1_25transform_config_selectorIfLb0EEEZNS1_14transform_implILb0ES3_S5_NS0_18transform_iteratorINS0_17counting_iteratorImlEEZNS1_24adjacent_difference_implIS3_Lb1ELb0EPfSB_N6thrust23THRUST_200600_302600_NS4plusIfEEEE10hipError_tPvRmT2_T3_mT4_P12ihipStream_tbEUlmE_fEESB_NS0_8identityIvEEEESG_SJ_SK_mSL_SN_bEUlT_E_NS1_11comp_targetILNS1_3genE3ELNS1_11target_archE908ELNS1_3gpuE7ELNS1_3repE0EEENS1_30default_config_static_selectorELNS0_4arch9wavefront6targetE0EEEvT1_: ; @_ZN7rocprim17ROCPRIM_400000_NS6detail17trampoline_kernelINS0_14default_configENS1_25transform_config_selectorIfLb0EEEZNS1_14transform_implILb0ES3_S5_NS0_18transform_iteratorINS0_17counting_iteratorImlEEZNS1_24adjacent_difference_implIS3_Lb1ELb0EPfSB_N6thrust23THRUST_200600_302600_NS4plusIfEEEE10hipError_tPvRmT2_T3_mT4_P12ihipStream_tbEUlmE_fEESB_NS0_8identityIvEEEESG_SJ_SK_mSL_SN_bEUlT_E_NS1_11comp_targetILNS1_3genE3ELNS1_11target_archE908ELNS1_3gpuE7ELNS1_3repE0EEENS1_30default_config_static_selectorELNS0_4arch9wavefront6targetE0EEEvT1_
; %bb.0:
	.section	.rodata,"a",@progbits
	.p2align	6, 0x0
	.amdhsa_kernel _ZN7rocprim17ROCPRIM_400000_NS6detail17trampoline_kernelINS0_14default_configENS1_25transform_config_selectorIfLb0EEEZNS1_14transform_implILb0ES3_S5_NS0_18transform_iteratorINS0_17counting_iteratorImlEEZNS1_24adjacent_difference_implIS3_Lb1ELb0EPfSB_N6thrust23THRUST_200600_302600_NS4plusIfEEEE10hipError_tPvRmT2_T3_mT4_P12ihipStream_tbEUlmE_fEESB_NS0_8identityIvEEEESG_SJ_SK_mSL_SN_bEUlT_E_NS1_11comp_targetILNS1_3genE3ELNS1_11target_archE908ELNS1_3gpuE7ELNS1_3repE0EEENS1_30default_config_static_selectorELNS0_4arch9wavefront6targetE0EEEvT1_
		.amdhsa_group_segment_fixed_size 0
		.amdhsa_private_segment_fixed_size 0
		.amdhsa_kernarg_size 56
		.amdhsa_user_sgpr_count 15
		.amdhsa_user_sgpr_dispatch_ptr 0
		.amdhsa_user_sgpr_queue_ptr 0
		.amdhsa_user_sgpr_kernarg_segment_ptr 1
		.amdhsa_user_sgpr_dispatch_id 0
		.amdhsa_user_sgpr_private_segment_size 0
		.amdhsa_wavefront_size32 1
		.amdhsa_uses_dynamic_stack 0
		.amdhsa_enable_private_segment 0
		.amdhsa_system_sgpr_workgroup_id_x 1
		.amdhsa_system_sgpr_workgroup_id_y 0
		.amdhsa_system_sgpr_workgroup_id_z 0
		.amdhsa_system_sgpr_workgroup_info 0
		.amdhsa_system_vgpr_workitem_id 0
		.amdhsa_next_free_vgpr 1
		.amdhsa_next_free_sgpr 1
		.amdhsa_reserve_vcc 0
		.amdhsa_float_round_mode_32 0
		.amdhsa_float_round_mode_16_64 0
		.amdhsa_float_denorm_mode_32 3
		.amdhsa_float_denorm_mode_16_64 3
		.amdhsa_dx10_clamp 1
		.amdhsa_ieee_mode 1
		.amdhsa_fp16_overflow 0
		.amdhsa_workgroup_processor_mode 1
		.amdhsa_memory_ordered 1
		.amdhsa_forward_progress 0
		.amdhsa_shared_vgpr_count 0
		.amdhsa_exception_fp_ieee_invalid_op 0
		.amdhsa_exception_fp_denorm_src 0
		.amdhsa_exception_fp_ieee_div_zero 0
		.amdhsa_exception_fp_ieee_overflow 0
		.amdhsa_exception_fp_ieee_underflow 0
		.amdhsa_exception_fp_ieee_inexact 0
		.amdhsa_exception_int_div_zero 0
	.end_amdhsa_kernel
	.section	.text._ZN7rocprim17ROCPRIM_400000_NS6detail17trampoline_kernelINS0_14default_configENS1_25transform_config_selectorIfLb0EEEZNS1_14transform_implILb0ES3_S5_NS0_18transform_iteratorINS0_17counting_iteratorImlEEZNS1_24adjacent_difference_implIS3_Lb1ELb0EPfSB_N6thrust23THRUST_200600_302600_NS4plusIfEEEE10hipError_tPvRmT2_T3_mT4_P12ihipStream_tbEUlmE_fEESB_NS0_8identityIvEEEESG_SJ_SK_mSL_SN_bEUlT_E_NS1_11comp_targetILNS1_3genE3ELNS1_11target_archE908ELNS1_3gpuE7ELNS1_3repE0EEENS1_30default_config_static_selectorELNS0_4arch9wavefront6targetE0EEEvT1_,"axG",@progbits,_ZN7rocprim17ROCPRIM_400000_NS6detail17trampoline_kernelINS0_14default_configENS1_25transform_config_selectorIfLb0EEEZNS1_14transform_implILb0ES3_S5_NS0_18transform_iteratorINS0_17counting_iteratorImlEEZNS1_24adjacent_difference_implIS3_Lb1ELb0EPfSB_N6thrust23THRUST_200600_302600_NS4plusIfEEEE10hipError_tPvRmT2_T3_mT4_P12ihipStream_tbEUlmE_fEESB_NS0_8identityIvEEEESG_SJ_SK_mSL_SN_bEUlT_E_NS1_11comp_targetILNS1_3genE3ELNS1_11target_archE908ELNS1_3gpuE7ELNS1_3repE0EEENS1_30default_config_static_selectorELNS0_4arch9wavefront6targetE0EEEvT1_,comdat
.Lfunc_end89:
	.size	_ZN7rocprim17ROCPRIM_400000_NS6detail17trampoline_kernelINS0_14default_configENS1_25transform_config_selectorIfLb0EEEZNS1_14transform_implILb0ES3_S5_NS0_18transform_iteratorINS0_17counting_iteratorImlEEZNS1_24adjacent_difference_implIS3_Lb1ELb0EPfSB_N6thrust23THRUST_200600_302600_NS4plusIfEEEE10hipError_tPvRmT2_T3_mT4_P12ihipStream_tbEUlmE_fEESB_NS0_8identityIvEEEESG_SJ_SK_mSL_SN_bEUlT_E_NS1_11comp_targetILNS1_3genE3ELNS1_11target_archE908ELNS1_3gpuE7ELNS1_3repE0EEENS1_30default_config_static_selectorELNS0_4arch9wavefront6targetE0EEEvT1_, .Lfunc_end89-_ZN7rocprim17ROCPRIM_400000_NS6detail17trampoline_kernelINS0_14default_configENS1_25transform_config_selectorIfLb0EEEZNS1_14transform_implILb0ES3_S5_NS0_18transform_iteratorINS0_17counting_iteratorImlEEZNS1_24adjacent_difference_implIS3_Lb1ELb0EPfSB_N6thrust23THRUST_200600_302600_NS4plusIfEEEE10hipError_tPvRmT2_T3_mT4_P12ihipStream_tbEUlmE_fEESB_NS0_8identityIvEEEESG_SJ_SK_mSL_SN_bEUlT_E_NS1_11comp_targetILNS1_3genE3ELNS1_11target_archE908ELNS1_3gpuE7ELNS1_3repE0EEENS1_30default_config_static_selectorELNS0_4arch9wavefront6targetE0EEEvT1_
                                        ; -- End function
	.section	.AMDGPU.csdata,"",@progbits
; Kernel info:
; codeLenInByte = 0
; NumSgprs: 0
; NumVgprs: 0
; ScratchSize: 0
; MemoryBound: 0
; FloatMode: 240
; IeeeMode: 1
; LDSByteSize: 0 bytes/workgroup (compile time only)
; SGPRBlocks: 0
; VGPRBlocks: 0
; NumSGPRsForWavesPerEU: 1
; NumVGPRsForWavesPerEU: 1
; Occupancy: 16
; WaveLimiterHint : 0
; COMPUTE_PGM_RSRC2:SCRATCH_EN: 0
; COMPUTE_PGM_RSRC2:USER_SGPR: 15
; COMPUTE_PGM_RSRC2:TRAP_HANDLER: 0
; COMPUTE_PGM_RSRC2:TGID_X_EN: 1
; COMPUTE_PGM_RSRC2:TGID_Y_EN: 0
; COMPUTE_PGM_RSRC2:TGID_Z_EN: 0
; COMPUTE_PGM_RSRC2:TIDIG_COMP_CNT: 0
	.section	.text._ZN7rocprim17ROCPRIM_400000_NS6detail17trampoline_kernelINS0_14default_configENS1_25transform_config_selectorIfLb0EEEZNS1_14transform_implILb0ES3_S5_NS0_18transform_iteratorINS0_17counting_iteratorImlEEZNS1_24adjacent_difference_implIS3_Lb1ELb0EPfSB_N6thrust23THRUST_200600_302600_NS4plusIfEEEE10hipError_tPvRmT2_T3_mT4_P12ihipStream_tbEUlmE_fEESB_NS0_8identityIvEEEESG_SJ_SK_mSL_SN_bEUlT_E_NS1_11comp_targetILNS1_3genE2ELNS1_11target_archE906ELNS1_3gpuE6ELNS1_3repE0EEENS1_30default_config_static_selectorELNS0_4arch9wavefront6targetE0EEEvT1_,"axG",@progbits,_ZN7rocprim17ROCPRIM_400000_NS6detail17trampoline_kernelINS0_14default_configENS1_25transform_config_selectorIfLb0EEEZNS1_14transform_implILb0ES3_S5_NS0_18transform_iteratorINS0_17counting_iteratorImlEEZNS1_24adjacent_difference_implIS3_Lb1ELb0EPfSB_N6thrust23THRUST_200600_302600_NS4plusIfEEEE10hipError_tPvRmT2_T3_mT4_P12ihipStream_tbEUlmE_fEESB_NS0_8identityIvEEEESG_SJ_SK_mSL_SN_bEUlT_E_NS1_11comp_targetILNS1_3genE2ELNS1_11target_archE906ELNS1_3gpuE6ELNS1_3repE0EEENS1_30default_config_static_selectorELNS0_4arch9wavefront6targetE0EEEvT1_,comdat
	.protected	_ZN7rocprim17ROCPRIM_400000_NS6detail17trampoline_kernelINS0_14default_configENS1_25transform_config_selectorIfLb0EEEZNS1_14transform_implILb0ES3_S5_NS0_18transform_iteratorINS0_17counting_iteratorImlEEZNS1_24adjacent_difference_implIS3_Lb1ELb0EPfSB_N6thrust23THRUST_200600_302600_NS4plusIfEEEE10hipError_tPvRmT2_T3_mT4_P12ihipStream_tbEUlmE_fEESB_NS0_8identityIvEEEESG_SJ_SK_mSL_SN_bEUlT_E_NS1_11comp_targetILNS1_3genE2ELNS1_11target_archE906ELNS1_3gpuE6ELNS1_3repE0EEENS1_30default_config_static_selectorELNS0_4arch9wavefront6targetE0EEEvT1_ ; -- Begin function _ZN7rocprim17ROCPRIM_400000_NS6detail17trampoline_kernelINS0_14default_configENS1_25transform_config_selectorIfLb0EEEZNS1_14transform_implILb0ES3_S5_NS0_18transform_iteratorINS0_17counting_iteratorImlEEZNS1_24adjacent_difference_implIS3_Lb1ELb0EPfSB_N6thrust23THRUST_200600_302600_NS4plusIfEEEE10hipError_tPvRmT2_T3_mT4_P12ihipStream_tbEUlmE_fEESB_NS0_8identityIvEEEESG_SJ_SK_mSL_SN_bEUlT_E_NS1_11comp_targetILNS1_3genE2ELNS1_11target_archE906ELNS1_3gpuE6ELNS1_3repE0EEENS1_30default_config_static_selectorELNS0_4arch9wavefront6targetE0EEEvT1_
	.globl	_ZN7rocprim17ROCPRIM_400000_NS6detail17trampoline_kernelINS0_14default_configENS1_25transform_config_selectorIfLb0EEEZNS1_14transform_implILb0ES3_S5_NS0_18transform_iteratorINS0_17counting_iteratorImlEEZNS1_24adjacent_difference_implIS3_Lb1ELb0EPfSB_N6thrust23THRUST_200600_302600_NS4plusIfEEEE10hipError_tPvRmT2_T3_mT4_P12ihipStream_tbEUlmE_fEESB_NS0_8identityIvEEEESG_SJ_SK_mSL_SN_bEUlT_E_NS1_11comp_targetILNS1_3genE2ELNS1_11target_archE906ELNS1_3gpuE6ELNS1_3repE0EEENS1_30default_config_static_selectorELNS0_4arch9wavefront6targetE0EEEvT1_
	.p2align	8
	.type	_ZN7rocprim17ROCPRIM_400000_NS6detail17trampoline_kernelINS0_14default_configENS1_25transform_config_selectorIfLb0EEEZNS1_14transform_implILb0ES3_S5_NS0_18transform_iteratorINS0_17counting_iteratorImlEEZNS1_24adjacent_difference_implIS3_Lb1ELb0EPfSB_N6thrust23THRUST_200600_302600_NS4plusIfEEEE10hipError_tPvRmT2_T3_mT4_P12ihipStream_tbEUlmE_fEESB_NS0_8identityIvEEEESG_SJ_SK_mSL_SN_bEUlT_E_NS1_11comp_targetILNS1_3genE2ELNS1_11target_archE906ELNS1_3gpuE6ELNS1_3repE0EEENS1_30default_config_static_selectorELNS0_4arch9wavefront6targetE0EEEvT1_,@function
_ZN7rocprim17ROCPRIM_400000_NS6detail17trampoline_kernelINS0_14default_configENS1_25transform_config_selectorIfLb0EEEZNS1_14transform_implILb0ES3_S5_NS0_18transform_iteratorINS0_17counting_iteratorImlEEZNS1_24adjacent_difference_implIS3_Lb1ELb0EPfSB_N6thrust23THRUST_200600_302600_NS4plusIfEEEE10hipError_tPvRmT2_T3_mT4_P12ihipStream_tbEUlmE_fEESB_NS0_8identityIvEEEESG_SJ_SK_mSL_SN_bEUlT_E_NS1_11comp_targetILNS1_3genE2ELNS1_11target_archE906ELNS1_3gpuE6ELNS1_3repE0EEENS1_30default_config_static_selectorELNS0_4arch9wavefront6targetE0EEEvT1_: ; @_ZN7rocprim17ROCPRIM_400000_NS6detail17trampoline_kernelINS0_14default_configENS1_25transform_config_selectorIfLb0EEEZNS1_14transform_implILb0ES3_S5_NS0_18transform_iteratorINS0_17counting_iteratorImlEEZNS1_24adjacent_difference_implIS3_Lb1ELb0EPfSB_N6thrust23THRUST_200600_302600_NS4plusIfEEEE10hipError_tPvRmT2_T3_mT4_P12ihipStream_tbEUlmE_fEESB_NS0_8identityIvEEEESG_SJ_SK_mSL_SN_bEUlT_E_NS1_11comp_targetILNS1_3genE2ELNS1_11target_archE906ELNS1_3gpuE6ELNS1_3repE0EEENS1_30default_config_static_selectorELNS0_4arch9wavefront6targetE0EEEvT1_
; %bb.0:
	.section	.rodata,"a",@progbits
	.p2align	6, 0x0
	.amdhsa_kernel _ZN7rocprim17ROCPRIM_400000_NS6detail17trampoline_kernelINS0_14default_configENS1_25transform_config_selectorIfLb0EEEZNS1_14transform_implILb0ES3_S5_NS0_18transform_iteratorINS0_17counting_iteratorImlEEZNS1_24adjacent_difference_implIS3_Lb1ELb0EPfSB_N6thrust23THRUST_200600_302600_NS4plusIfEEEE10hipError_tPvRmT2_T3_mT4_P12ihipStream_tbEUlmE_fEESB_NS0_8identityIvEEEESG_SJ_SK_mSL_SN_bEUlT_E_NS1_11comp_targetILNS1_3genE2ELNS1_11target_archE906ELNS1_3gpuE6ELNS1_3repE0EEENS1_30default_config_static_selectorELNS0_4arch9wavefront6targetE0EEEvT1_
		.amdhsa_group_segment_fixed_size 0
		.amdhsa_private_segment_fixed_size 0
		.amdhsa_kernarg_size 56
		.amdhsa_user_sgpr_count 15
		.amdhsa_user_sgpr_dispatch_ptr 0
		.amdhsa_user_sgpr_queue_ptr 0
		.amdhsa_user_sgpr_kernarg_segment_ptr 1
		.amdhsa_user_sgpr_dispatch_id 0
		.amdhsa_user_sgpr_private_segment_size 0
		.amdhsa_wavefront_size32 1
		.amdhsa_uses_dynamic_stack 0
		.amdhsa_enable_private_segment 0
		.amdhsa_system_sgpr_workgroup_id_x 1
		.amdhsa_system_sgpr_workgroup_id_y 0
		.amdhsa_system_sgpr_workgroup_id_z 0
		.amdhsa_system_sgpr_workgroup_info 0
		.amdhsa_system_vgpr_workitem_id 0
		.amdhsa_next_free_vgpr 1
		.amdhsa_next_free_sgpr 1
		.amdhsa_reserve_vcc 0
		.amdhsa_float_round_mode_32 0
		.amdhsa_float_round_mode_16_64 0
		.amdhsa_float_denorm_mode_32 3
		.amdhsa_float_denorm_mode_16_64 3
		.amdhsa_dx10_clamp 1
		.amdhsa_ieee_mode 1
		.amdhsa_fp16_overflow 0
		.amdhsa_workgroup_processor_mode 1
		.amdhsa_memory_ordered 1
		.amdhsa_forward_progress 0
		.amdhsa_shared_vgpr_count 0
		.amdhsa_exception_fp_ieee_invalid_op 0
		.amdhsa_exception_fp_denorm_src 0
		.amdhsa_exception_fp_ieee_div_zero 0
		.amdhsa_exception_fp_ieee_overflow 0
		.amdhsa_exception_fp_ieee_underflow 0
		.amdhsa_exception_fp_ieee_inexact 0
		.amdhsa_exception_int_div_zero 0
	.end_amdhsa_kernel
	.section	.text._ZN7rocprim17ROCPRIM_400000_NS6detail17trampoline_kernelINS0_14default_configENS1_25transform_config_selectorIfLb0EEEZNS1_14transform_implILb0ES3_S5_NS0_18transform_iteratorINS0_17counting_iteratorImlEEZNS1_24adjacent_difference_implIS3_Lb1ELb0EPfSB_N6thrust23THRUST_200600_302600_NS4plusIfEEEE10hipError_tPvRmT2_T3_mT4_P12ihipStream_tbEUlmE_fEESB_NS0_8identityIvEEEESG_SJ_SK_mSL_SN_bEUlT_E_NS1_11comp_targetILNS1_3genE2ELNS1_11target_archE906ELNS1_3gpuE6ELNS1_3repE0EEENS1_30default_config_static_selectorELNS0_4arch9wavefront6targetE0EEEvT1_,"axG",@progbits,_ZN7rocprim17ROCPRIM_400000_NS6detail17trampoline_kernelINS0_14default_configENS1_25transform_config_selectorIfLb0EEEZNS1_14transform_implILb0ES3_S5_NS0_18transform_iteratorINS0_17counting_iteratorImlEEZNS1_24adjacent_difference_implIS3_Lb1ELb0EPfSB_N6thrust23THRUST_200600_302600_NS4plusIfEEEE10hipError_tPvRmT2_T3_mT4_P12ihipStream_tbEUlmE_fEESB_NS0_8identityIvEEEESG_SJ_SK_mSL_SN_bEUlT_E_NS1_11comp_targetILNS1_3genE2ELNS1_11target_archE906ELNS1_3gpuE6ELNS1_3repE0EEENS1_30default_config_static_selectorELNS0_4arch9wavefront6targetE0EEEvT1_,comdat
.Lfunc_end90:
	.size	_ZN7rocprim17ROCPRIM_400000_NS6detail17trampoline_kernelINS0_14default_configENS1_25transform_config_selectorIfLb0EEEZNS1_14transform_implILb0ES3_S5_NS0_18transform_iteratorINS0_17counting_iteratorImlEEZNS1_24adjacent_difference_implIS3_Lb1ELb0EPfSB_N6thrust23THRUST_200600_302600_NS4plusIfEEEE10hipError_tPvRmT2_T3_mT4_P12ihipStream_tbEUlmE_fEESB_NS0_8identityIvEEEESG_SJ_SK_mSL_SN_bEUlT_E_NS1_11comp_targetILNS1_3genE2ELNS1_11target_archE906ELNS1_3gpuE6ELNS1_3repE0EEENS1_30default_config_static_selectorELNS0_4arch9wavefront6targetE0EEEvT1_, .Lfunc_end90-_ZN7rocprim17ROCPRIM_400000_NS6detail17trampoline_kernelINS0_14default_configENS1_25transform_config_selectorIfLb0EEEZNS1_14transform_implILb0ES3_S5_NS0_18transform_iteratorINS0_17counting_iteratorImlEEZNS1_24adjacent_difference_implIS3_Lb1ELb0EPfSB_N6thrust23THRUST_200600_302600_NS4plusIfEEEE10hipError_tPvRmT2_T3_mT4_P12ihipStream_tbEUlmE_fEESB_NS0_8identityIvEEEESG_SJ_SK_mSL_SN_bEUlT_E_NS1_11comp_targetILNS1_3genE2ELNS1_11target_archE906ELNS1_3gpuE6ELNS1_3repE0EEENS1_30default_config_static_selectorELNS0_4arch9wavefront6targetE0EEEvT1_
                                        ; -- End function
	.section	.AMDGPU.csdata,"",@progbits
; Kernel info:
; codeLenInByte = 0
; NumSgprs: 0
; NumVgprs: 0
; ScratchSize: 0
; MemoryBound: 0
; FloatMode: 240
; IeeeMode: 1
; LDSByteSize: 0 bytes/workgroup (compile time only)
; SGPRBlocks: 0
; VGPRBlocks: 0
; NumSGPRsForWavesPerEU: 1
; NumVGPRsForWavesPerEU: 1
; Occupancy: 16
; WaveLimiterHint : 0
; COMPUTE_PGM_RSRC2:SCRATCH_EN: 0
; COMPUTE_PGM_RSRC2:USER_SGPR: 15
; COMPUTE_PGM_RSRC2:TRAP_HANDLER: 0
; COMPUTE_PGM_RSRC2:TGID_X_EN: 1
; COMPUTE_PGM_RSRC2:TGID_Y_EN: 0
; COMPUTE_PGM_RSRC2:TGID_Z_EN: 0
; COMPUTE_PGM_RSRC2:TIDIG_COMP_CNT: 0
	.section	.text._ZN7rocprim17ROCPRIM_400000_NS6detail17trampoline_kernelINS0_14default_configENS1_25transform_config_selectorIfLb0EEEZNS1_14transform_implILb0ES3_S5_NS0_18transform_iteratorINS0_17counting_iteratorImlEEZNS1_24adjacent_difference_implIS3_Lb1ELb0EPfSB_N6thrust23THRUST_200600_302600_NS4plusIfEEEE10hipError_tPvRmT2_T3_mT4_P12ihipStream_tbEUlmE_fEESB_NS0_8identityIvEEEESG_SJ_SK_mSL_SN_bEUlT_E_NS1_11comp_targetILNS1_3genE10ELNS1_11target_archE1201ELNS1_3gpuE5ELNS1_3repE0EEENS1_30default_config_static_selectorELNS0_4arch9wavefront6targetE0EEEvT1_,"axG",@progbits,_ZN7rocprim17ROCPRIM_400000_NS6detail17trampoline_kernelINS0_14default_configENS1_25transform_config_selectorIfLb0EEEZNS1_14transform_implILb0ES3_S5_NS0_18transform_iteratorINS0_17counting_iteratorImlEEZNS1_24adjacent_difference_implIS3_Lb1ELb0EPfSB_N6thrust23THRUST_200600_302600_NS4plusIfEEEE10hipError_tPvRmT2_T3_mT4_P12ihipStream_tbEUlmE_fEESB_NS0_8identityIvEEEESG_SJ_SK_mSL_SN_bEUlT_E_NS1_11comp_targetILNS1_3genE10ELNS1_11target_archE1201ELNS1_3gpuE5ELNS1_3repE0EEENS1_30default_config_static_selectorELNS0_4arch9wavefront6targetE0EEEvT1_,comdat
	.protected	_ZN7rocprim17ROCPRIM_400000_NS6detail17trampoline_kernelINS0_14default_configENS1_25transform_config_selectorIfLb0EEEZNS1_14transform_implILb0ES3_S5_NS0_18transform_iteratorINS0_17counting_iteratorImlEEZNS1_24adjacent_difference_implIS3_Lb1ELb0EPfSB_N6thrust23THRUST_200600_302600_NS4plusIfEEEE10hipError_tPvRmT2_T3_mT4_P12ihipStream_tbEUlmE_fEESB_NS0_8identityIvEEEESG_SJ_SK_mSL_SN_bEUlT_E_NS1_11comp_targetILNS1_3genE10ELNS1_11target_archE1201ELNS1_3gpuE5ELNS1_3repE0EEENS1_30default_config_static_selectorELNS0_4arch9wavefront6targetE0EEEvT1_ ; -- Begin function _ZN7rocprim17ROCPRIM_400000_NS6detail17trampoline_kernelINS0_14default_configENS1_25transform_config_selectorIfLb0EEEZNS1_14transform_implILb0ES3_S5_NS0_18transform_iteratorINS0_17counting_iteratorImlEEZNS1_24adjacent_difference_implIS3_Lb1ELb0EPfSB_N6thrust23THRUST_200600_302600_NS4plusIfEEEE10hipError_tPvRmT2_T3_mT4_P12ihipStream_tbEUlmE_fEESB_NS0_8identityIvEEEESG_SJ_SK_mSL_SN_bEUlT_E_NS1_11comp_targetILNS1_3genE10ELNS1_11target_archE1201ELNS1_3gpuE5ELNS1_3repE0EEENS1_30default_config_static_selectorELNS0_4arch9wavefront6targetE0EEEvT1_
	.globl	_ZN7rocprim17ROCPRIM_400000_NS6detail17trampoline_kernelINS0_14default_configENS1_25transform_config_selectorIfLb0EEEZNS1_14transform_implILb0ES3_S5_NS0_18transform_iteratorINS0_17counting_iteratorImlEEZNS1_24adjacent_difference_implIS3_Lb1ELb0EPfSB_N6thrust23THRUST_200600_302600_NS4plusIfEEEE10hipError_tPvRmT2_T3_mT4_P12ihipStream_tbEUlmE_fEESB_NS0_8identityIvEEEESG_SJ_SK_mSL_SN_bEUlT_E_NS1_11comp_targetILNS1_3genE10ELNS1_11target_archE1201ELNS1_3gpuE5ELNS1_3repE0EEENS1_30default_config_static_selectorELNS0_4arch9wavefront6targetE0EEEvT1_
	.p2align	8
	.type	_ZN7rocprim17ROCPRIM_400000_NS6detail17trampoline_kernelINS0_14default_configENS1_25transform_config_selectorIfLb0EEEZNS1_14transform_implILb0ES3_S5_NS0_18transform_iteratorINS0_17counting_iteratorImlEEZNS1_24adjacent_difference_implIS3_Lb1ELb0EPfSB_N6thrust23THRUST_200600_302600_NS4plusIfEEEE10hipError_tPvRmT2_T3_mT4_P12ihipStream_tbEUlmE_fEESB_NS0_8identityIvEEEESG_SJ_SK_mSL_SN_bEUlT_E_NS1_11comp_targetILNS1_3genE10ELNS1_11target_archE1201ELNS1_3gpuE5ELNS1_3repE0EEENS1_30default_config_static_selectorELNS0_4arch9wavefront6targetE0EEEvT1_,@function
_ZN7rocprim17ROCPRIM_400000_NS6detail17trampoline_kernelINS0_14default_configENS1_25transform_config_selectorIfLb0EEEZNS1_14transform_implILb0ES3_S5_NS0_18transform_iteratorINS0_17counting_iteratorImlEEZNS1_24adjacent_difference_implIS3_Lb1ELb0EPfSB_N6thrust23THRUST_200600_302600_NS4plusIfEEEE10hipError_tPvRmT2_T3_mT4_P12ihipStream_tbEUlmE_fEESB_NS0_8identityIvEEEESG_SJ_SK_mSL_SN_bEUlT_E_NS1_11comp_targetILNS1_3genE10ELNS1_11target_archE1201ELNS1_3gpuE5ELNS1_3repE0EEENS1_30default_config_static_selectorELNS0_4arch9wavefront6targetE0EEEvT1_: ; @_ZN7rocprim17ROCPRIM_400000_NS6detail17trampoline_kernelINS0_14default_configENS1_25transform_config_selectorIfLb0EEEZNS1_14transform_implILb0ES3_S5_NS0_18transform_iteratorINS0_17counting_iteratorImlEEZNS1_24adjacent_difference_implIS3_Lb1ELb0EPfSB_N6thrust23THRUST_200600_302600_NS4plusIfEEEE10hipError_tPvRmT2_T3_mT4_P12ihipStream_tbEUlmE_fEESB_NS0_8identityIvEEEESG_SJ_SK_mSL_SN_bEUlT_E_NS1_11comp_targetILNS1_3genE10ELNS1_11target_archE1201ELNS1_3gpuE5ELNS1_3repE0EEENS1_30default_config_static_selectorELNS0_4arch9wavefront6targetE0EEEvT1_
; %bb.0:
	.section	.rodata,"a",@progbits
	.p2align	6, 0x0
	.amdhsa_kernel _ZN7rocprim17ROCPRIM_400000_NS6detail17trampoline_kernelINS0_14default_configENS1_25transform_config_selectorIfLb0EEEZNS1_14transform_implILb0ES3_S5_NS0_18transform_iteratorINS0_17counting_iteratorImlEEZNS1_24adjacent_difference_implIS3_Lb1ELb0EPfSB_N6thrust23THRUST_200600_302600_NS4plusIfEEEE10hipError_tPvRmT2_T3_mT4_P12ihipStream_tbEUlmE_fEESB_NS0_8identityIvEEEESG_SJ_SK_mSL_SN_bEUlT_E_NS1_11comp_targetILNS1_3genE10ELNS1_11target_archE1201ELNS1_3gpuE5ELNS1_3repE0EEENS1_30default_config_static_selectorELNS0_4arch9wavefront6targetE0EEEvT1_
		.amdhsa_group_segment_fixed_size 0
		.amdhsa_private_segment_fixed_size 0
		.amdhsa_kernarg_size 56
		.amdhsa_user_sgpr_count 15
		.amdhsa_user_sgpr_dispatch_ptr 0
		.amdhsa_user_sgpr_queue_ptr 0
		.amdhsa_user_sgpr_kernarg_segment_ptr 1
		.amdhsa_user_sgpr_dispatch_id 0
		.amdhsa_user_sgpr_private_segment_size 0
		.amdhsa_wavefront_size32 1
		.amdhsa_uses_dynamic_stack 0
		.amdhsa_enable_private_segment 0
		.amdhsa_system_sgpr_workgroup_id_x 1
		.amdhsa_system_sgpr_workgroup_id_y 0
		.amdhsa_system_sgpr_workgroup_id_z 0
		.amdhsa_system_sgpr_workgroup_info 0
		.amdhsa_system_vgpr_workitem_id 0
		.amdhsa_next_free_vgpr 1
		.amdhsa_next_free_sgpr 1
		.amdhsa_reserve_vcc 0
		.amdhsa_float_round_mode_32 0
		.amdhsa_float_round_mode_16_64 0
		.amdhsa_float_denorm_mode_32 3
		.amdhsa_float_denorm_mode_16_64 3
		.amdhsa_dx10_clamp 1
		.amdhsa_ieee_mode 1
		.amdhsa_fp16_overflow 0
		.amdhsa_workgroup_processor_mode 1
		.amdhsa_memory_ordered 1
		.amdhsa_forward_progress 0
		.amdhsa_shared_vgpr_count 0
		.amdhsa_exception_fp_ieee_invalid_op 0
		.amdhsa_exception_fp_denorm_src 0
		.amdhsa_exception_fp_ieee_div_zero 0
		.amdhsa_exception_fp_ieee_overflow 0
		.amdhsa_exception_fp_ieee_underflow 0
		.amdhsa_exception_fp_ieee_inexact 0
		.amdhsa_exception_int_div_zero 0
	.end_amdhsa_kernel
	.section	.text._ZN7rocprim17ROCPRIM_400000_NS6detail17trampoline_kernelINS0_14default_configENS1_25transform_config_selectorIfLb0EEEZNS1_14transform_implILb0ES3_S5_NS0_18transform_iteratorINS0_17counting_iteratorImlEEZNS1_24adjacent_difference_implIS3_Lb1ELb0EPfSB_N6thrust23THRUST_200600_302600_NS4plusIfEEEE10hipError_tPvRmT2_T3_mT4_P12ihipStream_tbEUlmE_fEESB_NS0_8identityIvEEEESG_SJ_SK_mSL_SN_bEUlT_E_NS1_11comp_targetILNS1_3genE10ELNS1_11target_archE1201ELNS1_3gpuE5ELNS1_3repE0EEENS1_30default_config_static_selectorELNS0_4arch9wavefront6targetE0EEEvT1_,"axG",@progbits,_ZN7rocprim17ROCPRIM_400000_NS6detail17trampoline_kernelINS0_14default_configENS1_25transform_config_selectorIfLb0EEEZNS1_14transform_implILb0ES3_S5_NS0_18transform_iteratorINS0_17counting_iteratorImlEEZNS1_24adjacent_difference_implIS3_Lb1ELb0EPfSB_N6thrust23THRUST_200600_302600_NS4plusIfEEEE10hipError_tPvRmT2_T3_mT4_P12ihipStream_tbEUlmE_fEESB_NS0_8identityIvEEEESG_SJ_SK_mSL_SN_bEUlT_E_NS1_11comp_targetILNS1_3genE10ELNS1_11target_archE1201ELNS1_3gpuE5ELNS1_3repE0EEENS1_30default_config_static_selectorELNS0_4arch9wavefront6targetE0EEEvT1_,comdat
.Lfunc_end91:
	.size	_ZN7rocprim17ROCPRIM_400000_NS6detail17trampoline_kernelINS0_14default_configENS1_25transform_config_selectorIfLb0EEEZNS1_14transform_implILb0ES3_S5_NS0_18transform_iteratorINS0_17counting_iteratorImlEEZNS1_24adjacent_difference_implIS3_Lb1ELb0EPfSB_N6thrust23THRUST_200600_302600_NS4plusIfEEEE10hipError_tPvRmT2_T3_mT4_P12ihipStream_tbEUlmE_fEESB_NS0_8identityIvEEEESG_SJ_SK_mSL_SN_bEUlT_E_NS1_11comp_targetILNS1_3genE10ELNS1_11target_archE1201ELNS1_3gpuE5ELNS1_3repE0EEENS1_30default_config_static_selectorELNS0_4arch9wavefront6targetE0EEEvT1_, .Lfunc_end91-_ZN7rocprim17ROCPRIM_400000_NS6detail17trampoline_kernelINS0_14default_configENS1_25transform_config_selectorIfLb0EEEZNS1_14transform_implILb0ES3_S5_NS0_18transform_iteratorINS0_17counting_iteratorImlEEZNS1_24adjacent_difference_implIS3_Lb1ELb0EPfSB_N6thrust23THRUST_200600_302600_NS4plusIfEEEE10hipError_tPvRmT2_T3_mT4_P12ihipStream_tbEUlmE_fEESB_NS0_8identityIvEEEESG_SJ_SK_mSL_SN_bEUlT_E_NS1_11comp_targetILNS1_3genE10ELNS1_11target_archE1201ELNS1_3gpuE5ELNS1_3repE0EEENS1_30default_config_static_selectorELNS0_4arch9wavefront6targetE0EEEvT1_
                                        ; -- End function
	.section	.AMDGPU.csdata,"",@progbits
; Kernel info:
; codeLenInByte = 0
; NumSgprs: 0
; NumVgprs: 0
; ScratchSize: 0
; MemoryBound: 0
; FloatMode: 240
; IeeeMode: 1
; LDSByteSize: 0 bytes/workgroup (compile time only)
; SGPRBlocks: 0
; VGPRBlocks: 0
; NumSGPRsForWavesPerEU: 1
; NumVGPRsForWavesPerEU: 1
; Occupancy: 16
; WaveLimiterHint : 0
; COMPUTE_PGM_RSRC2:SCRATCH_EN: 0
; COMPUTE_PGM_RSRC2:USER_SGPR: 15
; COMPUTE_PGM_RSRC2:TRAP_HANDLER: 0
; COMPUTE_PGM_RSRC2:TGID_X_EN: 1
; COMPUTE_PGM_RSRC2:TGID_Y_EN: 0
; COMPUTE_PGM_RSRC2:TGID_Z_EN: 0
; COMPUTE_PGM_RSRC2:TIDIG_COMP_CNT: 0
	.section	.text._ZN7rocprim17ROCPRIM_400000_NS6detail17trampoline_kernelINS0_14default_configENS1_25transform_config_selectorIfLb0EEEZNS1_14transform_implILb0ES3_S5_NS0_18transform_iteratorINS0_17counting_iteratorImlEEZNS1_24adjacent_difference_implIS3_Lb1ELb0EPfSB_N6thrust23THRUST_200600_302600_NS4plusIfEEEE10hipError_tPvRmT2_T3_mT4_P12ihipStream_tbEUlmE_fEESB_NS0_8identityIvEEEESG_SJ_SK_mSL_SN_bEUlT_E_NS1_11comp_targetILNS1_3genE10ELNS1_11target_archE1200ELNS1_3gpuE4ELNS1_3repE0EEENS1_30default_config_static_selectorELNS0_4arch9wavefront6targetE0EEEvT1_,"axG",@progbits,_ZN7rocprim17ROCPRIM_400000_NS6detail17trampoline_kernelINS0_14default_configENS1_25transform_config_selectorIfLb0EEEZNS1_14transform_implILb0ES3_S5_NS0_18transform_iteratorINS0_17counting_iteratorImlEEZNS1_24adjacent_difference_implIS3_Lb1ELb0EPfSB_N6thrust23THRUST_200600_302600_NS4plusIfEEEE10hipError_tPvRmT2_T3_mT4_P12ihipStream_tbEUlmE_fEESB_NS0_8identityIvEEEESG_SJ_SK_mSL_SN_bEUlT_E_NS1_11comp_targetILNS1_3genE10ELNS1_11target_archE1200ELNS1_3gpuE4ELNS1_3repE0EEENS1_30default_config_static_selectorELNS0_4arch9wavefront6targetE0EEEvT1_,comdat
	.protected	_ZN7rocprim17ROCPRIM_400000_NS6detail17trampoline_kernelINS0_14default_configENS1_25transform_config_selectorIfLb0EEEZNS1_14transform_implILb0ES3_S5_NS0_18transform_iteratorINS0_17counting_iteratorImlEEZNS1_24adjacent_difference_implIS3_Lb1ELb0EPfSB_N6thrust23THRUST_200600_302600_NS4plusIfEEEE10hipError_tPvRmT2_T3_mT4_P12ihipStream_tbEUlmE_fEESB_NS0_8identityIvEEEESG_SJ_SK_mSL_SN_bEUlT_E_NS1_11comp_targetILNS1_3genE10ELNS1_11target_archE1200ELNS1_3gpuE4ELNS1_3repE0EEENS1_30default_config_static_selectorELNS0_4arch9wavefront6targetE0EEEvT1_ ; -- Begin function _ZN7rocprim17ROCPRIM_400000_NS6detail17trampoline_kernelINS0_14default_configENS1_25transform_config_selectorIfLb0EEEZNS1_14transform_implILb0ES3_S5_NS0_18transform_iteratorINS0_17counting_iteratorImlEEZNS1_24adjacent_difference_implIS3_Lb1ELb0EPfSB_N6thrust23THRUST_200600_302600_NS4plusIfEEEE10hipError_tPvRmT2_T3_mT4_P12ihipStream_tbEUlmE_fEESB_NS0_8identityIvEEEESG_SJ_SK_mSL_SN_bEUlT_E_NS1_11comp_targetILNS1_3genE10ELNS1_11target_archE1200ELNS1_3gpuE4ELNS1_3repE0EEENS1_30default_config_static_selectorELNS0_4arch9wavefront6targetE0EEEvT1_
	.globl	_ZN7rocprim17ROCPRIM_400000_NS6detail17trampoline_kernelINS0_14default_configENS1_25transform_config_selectorIfLb0EEEZNS1_14transform_implILb0ES3_S5_NS0_18transform_iteratorINS0_17counting_iteratorImlEEZNS1_24adjacent_difference_implIS3_Lb1ELb0EPfSB_N6thrust23THRUST_200600_302600_NS4plusIfEEEE10hipError_tPvRmT2_T3_mT4_P12ihipStream_tbEUlmE_fEESB_NS0_8identityIvEEEESG_SJ_SK_mSL_SN_bEUlT_E_NS1_11comp_targetILNS1_3genE10ELNS1_11target_archE1200ELNS1_3gpuE4ELNS1_3repE0EEENS1_30default_config_static_selectorELNS0_4arch9wavefront6targetE0EEEvT1_
	.p2align	8
	.type	_ZN7rocprim17ROCPRIM_400000_NS6detail17trampoline_kernelINS0_14default_configENS1_25transform_config_selectorIfLb0EEEZNS1_14transform_implILb0ES3_S5_NS0_18transform_iteratorINS0_17counting_iteratorImlEEZNS1_24adjacent_difference_implIS3_Lb1ELb0EPfSB_N6thrust23THRUST_200600_302600_NS4plusIfEEEE10hipError_tPvRmT2_T3_mT4_P12ihipStream_tbEUlmE_fEESB_NS0_8identityIvEEEESG_SJ_SK_mSL_SN_bEUlT_E_NS1_11comp_targetILNS1_3genE10ELNS1_11target_archE1200ELNS1_3gpuE4ELNS1_3repE0EEENS1_30default_config_static_selectorELNS0_4arch9wavefront6targetE0EEEvT1_,@function
_ZN7rocprim17ROCPRIM_400000_NS6detail17trampoline_kernelINS0_14default_configENS1_25transform_config_selectorIfLb0EEEZNS1_14transform_implILb0ES3_S5_NS0_18transform_iteratorINS0_17counting_iteratorImlEEZNS1_24adjacent_difference_implIS3_Lb1ELb0EPfSB_N6thrust23THRUST_200600_302600_NS4plusIfEEEE10hipError_tPvRmT2_T3_mT4_P12ihipStream_tbEUlmE_fEESB_NS0_8identityIvEEEESG_SJ_SK_mSL_SN_bEUlT_E_NS1_11comp_targetILNS1_3genE10ELNS1_11target_archE1200ELNS1_3gpuE4ELNS1_3repE0EEENS1_30default_config_static_selectorELNS0_4arch9wavefront6targetE0EEEvT1_: ; @_ZN7rocprim17ROCPRIM_400000_NS6detail17trampoline_kernelINS0_14default_configENS1_25transform_config_selectorIfLb0EEEZNS1_14transform_implILb0ES3_S5_NS0_18transform_iteratorINS0_17counting_iteratorImlEEZNS1_24adjacent_difference_implIS3_Lb1ELb0EPfSB_N6thrust23THRUST_200600_302600_NS4plusIfEEEE10hipError_tPvRmT2_T3_mT4_P12ihipStream_tbEUlmE_fEESB_NS0_8identityIvEEEESG_SJ_SK_mSL_SN_bEUlT_E_NS1_11comp_targetILNS1_3genE10ELNS1_11target_archE1200ELNS1_3gpuE4ELNS1_3repE0EEENS1_30default_config_static_selectorELNS0_4arch9wavefront6targetE0EEEvT1_
; %bb.0:
	.section	.rodata,"a",@progbits
	.p2align	6, 0x0
	.amdhsa_kernel _ZN7rocprim17ROCPRIM_400000_NS6detail17trampoline_kernelINS0_14default_configENS1_25transform_config_selectorIfLb0EEEZNS1_14transform_implILb0ES3_S5_NS0_18transform_iteratorINS0_17counting_iteratorImlEEZNS1_24adjacent_difference_implIS3_Lb1ELb0EPfSB_N6thrust23THRUST_200600_302600_NS4plusIfEEEE10hipError_tPvRmT2_T3_mT4_P12ihipStream_tbEUlmE_fEESB_NS0_8identityIvEEEESG_SJ_SK_mSL_SN_bEUlT_E_NS1_11comp_targetILNS1_3genE10ELNS1_11target_archE1200ELNS1_3gpuE4ELNS1_3repE0EEENS1_30default_config_static_selectorELNS0_4arch9wavefront6targetE0EEEvT1_
		.amdhsa_group_segment_fixed_size 0
		.amdhsa_private_segment_fixed_size 0
		.amdhsa_kernarg_size 56
		.amdhsa_user_sgpr_count 15
		.amdhsa_user_sgpr_dispatch_ptr 0
		.amdhsa_user_sgpr_queue_ptr 0
		.amdhsa_user_sgpr_kernarg_segment_ptr 1
		.amdhsa_user_sgpr_dispatch_id 0
		.amdhsa_user_sgpr_private_segment_size 0
		.amdhsa_wavefront_size32 1
		.amdhsa_uses_dynamic_stack 0
		.amdhsa_enable_private_segment 0
		.amdhsa_system_sgpr_workgroup_id_x 1
		.amdhsa_system_sgpr_workgroup_id_y 0
		.amdhsa_system_sgpr_workgroup_id_z 0
		.amdhsa_system_sgpr_workgroup_info 0
		.amdhsa_system_vgpr_workitem_id 0
		.amdhsa_next_free_vgpr 1
		.amdhsa_next_free_sgpr 1
		.amdhsa_reserve_vcc 0
		.amdhsa_float_round_mode_32 0
		.amdhsa_float_round_mode_16_64 0
		.amdhsa_float_denorm_mode_32 3
		.amdhsa_float_denorm_mode_16_64 3
		.amdhsa_dx10_clamp 1
		.amdhsa_ieee_mode 1
		.amdhsa_fp16_overflow 0
		.amdhsa_workgroup_processor_mode 1
		.amdhsa_memory_ordered 1
		.amdhsa_forward_progress 0
		.amdhsa_shared_vgpr_count 0
		.amdhsa_exception_fp_ieee_invalid_op 0
		.amdhsa_exception_fp_denorm_src 0
		.amdhsa_exception_fp_ieee_div_zero 0
		.amdhsa_exception_fp_ieee_overflow 0
		.amdhsa_exception_fp_ieee_underflow 0
		.amdhsa_exception_fp_ieee_inexact 0
		.amdhsa_exception_int_div_zero 0
	.end_amdhsa_kernel
	.section	.text._ZN7rocprim17ROCPRIM_400000_NS6detail17trampoline_kernelINS0_14default_configENS1_25transform_config_selectorIfLb0EEEZNS1_14transform_implILb0ES3_S5_NS0_18transform_iteratorINS0_17counting_iteratorImlEEZNS1_24adjacent_difference_implIS3_Lb1ELb0EPfSB_N6thrust23THRUST_200600_302600_NS4plusIfEEEE10hipError_tPvRmT2_T3_mT4_P12ihipStream_tbEUlmE_fEESB_NS0_8identityIvEEEESG_SJ_SK_mSL_SN_bEUlT_E_NS1_11comp_targetILNS1_3genE10ELNS1_11target_archE1200ELNS1_3gpuE4ELNS1_3repE0EEENS1_30default_config_static_selectorELNS0_4arch9wavefront6targetE0EEEvT1_,"axG",@progbits,_ZN7rocprim17ROCPRIM_400000_NS6detail17trampoline_kernelINS0_14default_configENS1_25transform_config_selectorIfLb0EEEZNS1_14transform_implILb0ES3_S5_NS0_18transform_iteratorINS0_17counting_iteratorImlEEZNS1_24adjacent_difference_implIS3_Lb1ELb0EPfSB_N6thrust23THRUST_200600_302600_NS4plusIfEEEE10hipError_tPvRmT2_T3_mT4_P12ihipStream_tbEUlmE_fEESB_NS0_8identityIvEEEESG_SJ_SK_mSL_SN_bEUlT_E_NS1_11comp_targetILNS1_3genE10ELNS1_11target_archE1200ELNS1_3gpuE4ELNS1_3repE0EEENS1_30default_config_static_selectorELNS0_4arch9wavefront6targetE0EEEvT1_,comdat
.Lfunc_end92:
	.size	_ZN7rocprim17ROCPRIM_400000_NS6detail17trampoline_kernelINS0_14default_configENS1_25transform_config_selectorIfLb0EEEZNS1_14transform_implILb0ES3_S5_NS0_18transform_iteratorINS0_17counting_iteratorImlEEZNS1_24adjacent_difference_implIS3_Lb1ELb0EPfSB_N6thrust23THRUST_200600_302600_NS4plusIfEEEE10hipError_tPvRmT2_T3_mT4_P12ihipStream_tbEUlmE_fEESB_NS0_8identityIvEEEESG_SJ_SK_mSL_SN_bEUlT_E_NS1_11comp_targetILNS1_3genE10ELNS1_11target_archE1200ELNS1_3gpuE4ELNS1_3repE0EEENS1_30default_config_static_selectorELNS0_4arch9wavefront6targetE0EEEvT1_, .Lfunc_end92-_ZN7rocprim17ROCPRIM_400000_NS6detail17trampoline_kernelINS0_14default_configENS1_25transform_config_selectorIfLb0EEEZNS1_14transform_implILb0ES3_S5_NS0_18transform_iteratorINS0_17counting_iteratorImlEEZNS1_24adjacent_difference_implIS3_Lb1ELb0EPfSB_N6thrust23THRUST_200600_302600_NS4plusIfEEEE10hipError_tPvRmT2_T3_mT4_P12ihipStream_tbEUlmE_fEESB_NS0_8identityIvEEEESG_SJ_SK_mSL_SN_bEUlT_E_NS1_11comp_targetILNS1_3genE10ELNS1_11target_archE1200ELNS1_3gpuE4ELNS1_3repE0EEENS1_30default_config_static_selectorELNS0_4arch9wavefront6targetE0EEEvT1_
                                        ; -- End function
	.section	.AMDGPU.csdata,"",@progbits
; Kernel info:
; codeLenInByte = 0
; NumSgprs: 0
; NumVgprs: 0
; ScratchSize: 0
; MemoryBound: 0
; FloatMode: 240
; IeeeMode: 1
; LDSByteSize: 0 bytes/workgroup (compile time only)
; SGPRBlocks: 0
; VGPRBlocks: 0
; NumSGPRsForWavesPerEU: 1
; NumVGPRsForWavesPerEU: 1
; Occupancy: 16
; WaveLimiterHint : 0
; COMPUTE_PGM_RSRC2:SCRATCH_EN: 0
; COMPUTE_PGM_RSRC2:USER_SGPR: 15
; COMPUTE_PGM_RSRC2:TRAP_HANDLER: 0
; COMPUTE_PGM_RSRC2:TGID_X_EN: 1
; COMPUTE_PGM_RSRC2:TGID_Y_EN: 0
; COMPUTE_PGM_RSRC2:TGID_Z_EN: 0
; COMPUTE_PGM_RSRC2:TIDIG_COMP_CNT: 0
	.section	.text._ZN7rocprim17ROCPRIM_400000_NS6detail17trampoline_kernelINS0_14default_configENS1_25transform_config_selectorIfLb0EEEZNS1_14transform_implILb0ES3_S5_NS0_18transform_iteratorINS0_17counting_iteratorImlEEZNS1_24adjacent_difference_implIS3_Lb1ELb0EPfSB_N6thrust23THRUST_200600_302600_NS4plusIfEEEE10hipError_tPvRmT2_T3_mT4_P12ihipStream_tbEUlmE_fEESB_NS0_8identityIvEEEESG_SJ_SK_mSL_SN_bEUlT_E_NS1_11comp_targetILNS1_3genE9ELNS1_11target_archE1100ELNS1_3gpuE3ELNS1_3repE0EEENS1_30default_config_static_selectorELNS0_4arch9wavefront6targetE0EEEvT1_,"axG",@progbits,_ZN7rocprim17ROCPRIM_400000_NS6detail17trampoline_kernelINS0_14default_configENS1_25transform_config_selectorIfLb0EEEZNS1_14transform_implILb0ES3_S5_NS0_18transform_iteratorINS0_17counting_iteratorImlEEZNS1_24adjacent_difference_implIS3_Lb1ELb0EPfSB_N6thrust23THRUST_200600_302600_NS4plusIfEEEE10hipError_tPvRmT2_T3_mT4_P12ihipStream_tbEUlmE_fEESB_NS0_8identityIvEEEESG_SJ_SK_mSL_SN_bEUlT_E_NS1_11comp_targetILNS1_3genE9ELNS1_11target_archE1100ELNS1_3gpuE3ELNS1_3repE0EEENS1_30default_config_static_selectorELNS0_4arch9wavefront6targetE0EEEvT1_,comdat
	.protected	_ZN7rocprim17ROCPRIM_400000_NS6detail17trampoline_kernelINS0_14default_configENS1_25transform_config_selectorIfLb0EEEZNS1_14transform_implILb0ES3_S5_NS0_18transform_iteratorINS0_17counting_iteratorImlEEZNS1_24adjacent_difference_implIS3_Lb1ELb0EPfSB_N6thrust23THRUST_200600_302600_NS4plusIfEEEE10hipError_tPvRmT2_T3_mT4_P12ihipStream_tbEUlmE_fEESB_NS0_8identityIvEEEESG_SJ_SK_mSL_SN_bEUlT_E_NS1_11comp_targetILNS1_3genE9ELNS1_11target_archE1100ELNS1_3gpuE3ELNS1_3repE0EEENS1_30default_config_static_selectorELNS0_4arch9wavefront6targetE0EEEvT1_ ; -- Begin function _ZN7rocprim17ROCPRIM_400000_NS6detail17trampoline_kernelINS0_14default_configENS1_25transform_config_selectorIfLb0EEEZNS1_14transform_implILb0ES3_S5_NS0_18transform_iteratorINS0_17counting_iteratorImlEEZNS1_24adjacent_difference_implIS3_Lb1ELb0EPfSB_N6thrust23THRUST_200600_302600_NS4plusIfEEEE10hipError_tPvRmT2_T3_mT4_P12ihipStream_tbEUlmE_fEESB_NS0_8identityIvEEEESG_SJ_SK_mSL_SN_bEUlT_E_NS1_11comp_targetILNS1_3genE9ELNS1_11target_archE1100ELNS1_3gpuE3ELNS1_3repE0EEENS1_30default_config_static_selectorELNS0_4arch9wavefront6targetE0EEEvT1_
	.globl	_ZN7rocprim17ROCPRIM_400000_NS6detail17trampoline_kernelINS0_14default_configENS1_25transform_config_selectorIfLb0EEEZNS1_14transform_implILb0ES3_S5_NS0_18transform_iteratorINS0_17counting_iteratorImlEEZNS1_24adjacent_difference_implIS3_Lb1ELb0EPfSB_N6thrust23THRUST_200600_302600_NS4plusIfEEEE10hipError_tPvRmT2_T3_mT4_P12ihipStream_tbEUlmE_fEESB_NS0_8identityIvEEEESG_SJ_SK_mSL_SN_bEUlT_E_NS1_11comp_targetILNS1_3genE9ELNS1_11target_archE1100ELNS1_3gpuE3ELNS1_3repE0EEENS1_30default_config_static_selectorELNS0_4arch9wavefront6targetE0EEEvT1_
	.p2align	8
	.type	_ZN7rocprim17ROCPRIM_400000_NS6detail17trampoline_kernelINS0_14default_configENS1_25transform_config_selectorIfLb0EEEZNS1_14transform_implILb0ES3_S5_NS0_18transform_iteratorINS0_17counting_iteratorImlEEZNS1_24adjacent_difference_implIS3_Lb1ELb0EPfSB_N6thrust23THRUST_200600_302600_NS4plusIfEEEE10hipError_tPvRmT2_T3_mT4_P12ihipStream_tbEUlmE_fEESB_NS0_8identityIvEEEESG_SJ_SK_mSL_SN_bEUlT_E_NS1_11comp_targetILNS1_3genE9ELNS1_11target_archE1100ELNS1_3gpuE3ELNS1_3repE0EEENS1_30default_config_static_selectorELNS0_4arch9wavefront6targetE0EEEvT1_,@function
_ZN7rocprim17ROCPRIM_400000_NS6detail17trampoline_kernelINS0_14default_configENS1_25transform_config_selectorIfLb0EEEZNS1_14transform_implILb0ES3_S5_NS0_18transform_iteratorINS0_17counting_iteratorImlEEZNS1_24adjacent_difference_implIS3_Lb1ELb0EPfSB_N6thrust23THRUST_200600_302600_NS4plusIfEEEE10hipError_tPvRmT2_T3_mT4_P12ihipStream_tbEUlmE_fEESB_NS0_8identityIvEEEESG_SJ_SK_mSL_SN_bEUlT_E_NS1_11comp_targetILNS1_3genE9ELNS1_11target_archE1100ELNS1_3gpuE3ELNS1_3repE0EEENS1_30default_config_static_selectorELNS0_4arch9wavefront6targetE0EEEvT1_: ; @_ZN7rocprim17ROCPRIM_400000_NS6detail17trampoline_kernelINS0_14default_configENS1_25transform_config_selectorIfLb0EEEZNS1_14transform_implILb0ES3_S5_NS0_18transform_iteratorINS0_17counting_iteratorImlEEZNS1_24adjacent_difference_implIS3_Lb1ELb0EPfSB_N6thrust23THRUST_200600_302600_NS4plusIfEEEE10hipError_tPvRmT2_T3_mT4_P12ihipStream_tbEUlmE_fEESB_NS0_8identityIvEEEESG_SJ_SK_mSL_SN_bEUlT_E_NS1_11comp_targetILNS1_3genE9ELNS1_11target_archE1100ELNS1_3gpuE3ELNS1_3repE0EEENS1_30default_config_static_selectorELNS0_4arch9wavefront6targetE0EEEvT1_
; %bb.0:
	s_clause 0x4
	s_load_b128 s[4:7], s[0:1], 0x0
	s_load_b64 s[2:3], s[0:1], 0x18
	s_load_b64 s[12:13], s[0:1], 0x28
	s_load_b32 s11, s[0:1], 0x38
	s_load_b32 s8, s[0:1], 0x10
	s_waitcnt lgkmcnt(0)
	s_add_u32 s9, s2, s4
	s_addc_u32 s10, s3, s5
	s_lshl_b64 s[2:3], s[2:3], 2
	s_delay_alu instid0(SALU_CYCLE_1)
	s_add_u32 s4, s12, s2
	s_addc_u32 s5, s13, s3
	s_add_i32 s11, s11, -1
	s_lshl_b32 s2, s15, 10
	s_mov_b32 s3, 0
	s_cmp_lg_u32 s15, s11
	s_mov_b32 s11, -1
	s_cbranch_scc0 .LBB93_2
; %bb.1:
	s_add_u32 s11, s9, s2
	s_addc_u32 s12, s10, 0
	v_add_co_u32 v3, s11, s11, v0
	s_delay_alu instid0(VALU_DEP_1) | instskip(SKIP_1) | instid1(VALU_DEP_2)
	v_add_co_ci_u32_e64 v5, null, s12, 0, s11
	s_lshl_b64 s[12:13], s[2:3], 2
	v_mad_u64_u32 v[1:2], null, v3, s8, 0
	s_add_u32 s12, s4, s12
	s_addc_u32 s13, s5, s13
	s_mov_b32 s11, s3
	s_delay_alu instid0(VALU_DEP_1) | instskip(NEXT) | instid1(VALU_DEP_1)
	v_mad_u64_u32 v[3:4], null, v5, s8, v[2:3]
	v_mov_b32_e32 v2, v3
	s_delay_alu instid0(VALU_DEP_1) | instskip(NEXT) | instid1(VALU_DEP_1)
	v_lshlrev_b64 v[1:2], 2, v[1:2]
	v_add_co_u32 v1, vcc_lo, s6, v1
	s_delay_alu instid0(VALU_DEP_2)
	v_add_co_ci_u32_e32 v2, vcc_lo, s7, v2, vcc_lo
	global_load_b32 v1, v[1:2], off
	v_lshlrev_b32_e32 v2, 2, v0
	s_waitcnt vmcnt(0)
	global_store_b32 v2, v1, s[12:13]
.LBB93_2:
	s_and_not1_b32 vcc_lo, exec_lo, s11
	s_cbranch_vccnz .LBB93_7
; %bb.3:
	s_load_b32 s0, s[0:1], 0x20
                                        ; implicit-def: $vgpr1
	s_waitcnt lgkmcnt(0)
	s_sub_i32 s0, s0, s2
	s_delay_alu instid0(SALU_CYCLE_1)
	v_cmp_gt_u32_e32 vcc_lo, s0, v0
	s_and_saveexec_b32 s1, vcc_lo
	s_cbranch_execz .LBB93_5
; %bb.4:
	s_add_u32 s0, s9, s2
	s_addc_u32 s9, s10, 0
	v_add_co_u32 v3, s0, s0, v0
	s_delay_alu instid0(VALU_DEP_1) | instskip(NEXT) | instid1(VALU_DEP_2)
	v_add_co_ci_u32_e64 v5, null, s9, 0, s0
	v_mad_u64_u32 v[1:2], null, v3, s8, 0
	s_delay_alu instid0(VALU_DEP_1) | instskip(NEXT) | instid1(VALU_DEP_1)
	v_mad_u64_u32 v[3:4], null, v5, s8, v[2:3]
	v_mov_b32_e32 v2, v3
	s_delay_alu instid0(VALU_DEP_1) | instskip(NEXT) | instid1(VALU_DEP_1)
	v_lshlrev_b64 v[1:2], 2, v[1:2]
	v_add_co_u32 v1, s0, s6, v1
	s_delay_alu instid0(VALU_DEP_1)
	v_add_co_ci_u32_e64 v2, s0, s7, v2, s0
	global_load_b32 v1, v[1:2], off
.LBB93_5:
	s_or_b32 exec_lo, exec_lo, s1
	s_and_saveexec_b32 s0, vcc_lo
	s_cbranch_execz .LBB93_7
; %bb.6:
	s_lshl_b64 s[0:1], s[2:3], 2
	v_lshlrev_b32_e32 v0, 2, v0
	s_add_u32 s0, s4, s0
	s_addc_u32 s1, s5, s1
	s_waitcnt vmcnt(0)
	global_store_b32 v0, v1, s[0:1]
.LBB93_7:
	s_nop 0
	s_sendmsg sendmsg(MSG_DEALLOC_VGPRS)
	s_endpgm
	.section	.rodata,"a",@progbits
	.p2align	6, 0x0
	.amdhsa_kernel _ZN7rocprim17ROCPRIM_400000_NS6detail17trampoline_kernelINS0_14default_configENS1_25transform_config_selectorIfLb0EEEZNS1_14transform_implILb0ES3_S5_NS0_18transform_iteratorINS0_17counting_iteratorImlEEZNS1_24adjacent_difference_implIS3_Lb1ELb0EPfSB_N6thrust23THRUST_200600_302600_NS4plusIfEEEE10hipError_tPvRmT2_T3_mT4_P12ihipStream_tbEUlmE_fEESB_NS0_8identityIvEEEESG_SJ_SK_mSL_SN_bEUlT_E_NS1_11comp_targetILNS1_3genE9ELNS1_11target_archE1100ELNS1_3gpuE3ELNS1_3repE0EEENS1_30default_config_static_selectorELNS0_4arch9wavefront6targetE0EEEvT1_
		.amdhsa_group_segment_fixed_size 0
		.amdhsa_private_segment_fixed_size 0
		.amdhsa_kernarg_size 312
		.amdhsa_user_sgpr_count 15
		.amdhsa_user_sgpr_dispatch_ptr 0
		.amdhsa_user_sgpr_queue_ptr 0
		.amdhsa_user_sgpr_kernarg_segment_ptr 1
		.amdhsa_user_sgpr_dispatch_id 0
		.amdhsa_user_sgpr_private_segment_size 0
		.amdhsa_wavefront_size32 1
		.amdhsa_uses_dynamic_stack 0
		.amdhsa_enable_private_segment 0
		.amdhsa_system_sgpr_workgroup_id_x 1
		.amdhsa_system_sgpr_workgroup_id_y 0
		.amdhsa_system_sgpr_workgroup_id_z 0
		.amdhsa_system_sgpr_workgroup_info 0
		.amdhsa_system_vgpr_workitem_id 0
		.amdhsa_next_free_vgpr 6
		.amdhsa_next_free_sgpr 16
		.amdhsa_reserve_vcc 1
		.amdhsa_float_round_mode_32 0
		.amdhsa_float_round_mode_16_64 0
		.amdhsa_float_denorm_mode_32 3
		.amdhsa_float_denorm_mode_16_64 3
		.amdhsa_dx10_clamp 1
		.amdhsa_ieee_mode 1
		.amdhsa_fp16_overflow 0
		.amdhsa_workgroup_processor_mode 1
		.amdhsa_memory_ordered 1
		.amdhsa_forward_progress 0
		.amdhsa_shared_vgpr_count 0
		.amdhsa_exception_fp_ieee_invalid_op 0
		.amdhsa_exception_fp_denorm_src 0
		.amdhsa_exception_fp_ieee_div_zero 0
		.amdhsa_exception_fp_ieee_overflow 0
		.amdhsa_exception_fp_ieee_underflow 0
		.amdhsa_exception_fp_ieee_inexact 0
		.amdhsa_exception_int_div_zero 0
	.end_amdhsa_kernel
	.section	.text._ZN7rocprim17ROCPRIM_400000_NS6detail17trampoline_kernelINS0_14default_configENS1_25transform_config_selectorIfLb0EEEZNS1_14transform_implILb0ES3_S5_NS0_18transform_iteratorINS0_17counting_iteratorImlEEZNS1_24adjacent_difference_implIS3_Lb1ELb0EPfSB_N6thrust23THRUST_200600_302600_NS4plusIfEEEE10hipError_tPvRmT2_T3_mT4_P12ihipStream_tbEUlmE_fEESB_NS0_8identityIvEEEESG_SJ_SK_mSL_SN_bEUlT_E_NS1_11comp_targetILNS1_3genE9ELNS1_11target_archE1100ELNS1_3gpuE3ELNS1_3repE0EEENS1_30default_config_static_selectorELNS0_4arch9wavefront6targetE0EEEvT1_,"axG",@progbits,_ZN7rocprim17ROCPRIM_400000_NS6detail17trampoline_kernelINS0_14default_configENS1_25transform_config_selectorIfLb0EEEZNS1_14transform_implILb0ES3_S5_NS0_18transform_iteratorINS0_17counting_iteratorImlEEZNS1_24adjacent_difference_implIS3_Lb1ELb0EPfSB_N6thrust23THRUST_200600_302600_NS4plusIfEEEE10hipError_tPvRmT2_T3_mT4_P12ihipStream_tbEUlmE_fEESB_NS0_8identityIvEEEESG_SJ_SK_mSL_SN_bEUlT_E_NS1_11comp_targetILNS1_3genE9ELNS1_11target_archE1100ELNS1_3gpuE3ELNS1_3repE0EEENS1_30default_config_static_selectorELNS0_4arch9wavefront6targetE0EEEvT1_,comdat
.Lfunc_end93:
	.size	_ZN7rocprim17ROCPRIM_400000_NS6detail17trampoline_kernelINS0_14default_configENS1_25transform_config_selectorIfLb0EEEZNS1_14transform_implILb0ES3_S5_NS0_18transform_iteratorINS0_17counting_iteratorImlEEZNS1_24adjacent_difference_implIS3_Lb1ELb0EPfSB_N6thrust23THRUST_200600_302600_NS4plusIfEEEE10hipError_tPvRmT2_T3_mT4_P12ihipStream_tbEUlmE_fEESB_NS0_8identityIvEEEESG_SJ_SK_mSL_SN_bEUlT_E_NS1_11comp_targetILNS1_3genE9ELNS1_11target_archE1100ELNS1_3gpuE3ELNS1_3repE0EEENS1_30default_config_static_selectorELNS0_4arch9wavefront6targetE0EEEvT1_, .Lfunc_end93-_ZN7rocprim17ROCPRIM_400000_NS6detail17trampoline_kernelINS0_14default_configENS1_25transform_config_selectorIfLb0EEEZNS1_14transform_implILb0ES3_S5_NS0_18transform_iteratorINS0_17counting_iteratorImlEEZNS1_24adjacent_difference_implIS3_Lb1ELb0EPfSB_N6thrust23THRUST_200600_302600_NS4plusIfEEEE10hipError_tPvRmT2_T3_mT4_P12ihipStream_tbEUlmE_fEESB_NS0_8identityIvEEEESG_SJ_SK_mSL_SN_bEUlT_E_NS1_11comp_targetILNS1_3genE9ELNS1_11target_archE1100ELNS1_3gpuE3ELNS1_3repE0EEENS1_30default_config_static_selectorELNS0_4arch9wavefront6targetE0EEEvT1_
                                        ; -- End function
	.section	.AMDGPU.csdata,"",@progbits
; Kernel info:
; codeLenInByte = 400
; NumSgprs: 18
; NumVgprs: 6
; ScratchSize: 0
; MemoryBound: 0
; FloatMode: 240
; IeeeMode: 1
; LDSByteSize: 0 bytes/workgroup (compile time only)
; SGPRBlocks: 2
; VGPRBlocks: 0
; NumSGPRsForWavesPerEU: 18
; NumVGPRsForWavesPerEU: 6
; Occupancy: 16
; WaveLimiterHint : 0
; COMPUTE_PGM_RSRC2:SCRATCH_EN: 0
; COMPUTE_PGM_RSRC2:USER_SGPR: 15
; COMPUTE_PGM_RSRC2:TRAP_HANDLER: 0
; COMPUTE_PGM_RSRC2:TGID_X_EN: 1
; COMPUTE_PGM_RSRC2:TGID_Y_EN: 0
; COMPUTE_PGM_RSRC2:TGID_Z_EN: 0
; COMPUTE_PGM_RSRC2:TIDIG_COMP_CNT: 0
	.section	.text._ZN7rocprim17ROCPRIM_400000_NS6detail17trampoline_kernelINS0_14default_configENS1_25transform_config_selectorIfLb0EEEZNS1_14transform_implILb0ES3_S5_NS0_18transform_iteratorINS0_17counting_iteratorImlEEZNS1_24adjacent_difference_implIS3_Lb1ELb0EPfSB_N6thrust23THRUST_200600_302600_NS4plusIfEEEE10hipError_tPvRmT2_T3_mT4_P12ihipStream_tbEUlmE_fEESB_NS0_8identityIvEEEESG_SJ_SK_mSL_SN_bEUlT_E_NS1_11comp_targetILNS1_3genE8ELNS1_11target_archE1030ELNS1_3gpuE2ELNS1_3repE0EEENS1_30default_config_static_selectorELNS0_4arch9wavefront6targetE0EEEvT1_,"axG",@progbits,_ZN7rocprim17ROCPRIM_400000_NS6detail17trampoline_kernelINS0_14default_configENS1_25transform_config_selectorIfLb0EEEZNS1_14transform_implILb0ES3_S5_NS0_18transform_iteratorINS0_17counting_iteratorImlEEZNS1_24adjacent_difference_implIS3_Lb1ELb0EPfSB_N6thrust23THRUST_200600_302600_NS4plusIfEEEE10hipError_tPvRmT2_T3_mT4_P12ihipStream_tbEUlmE_fEESB_NS0_8identityIvEEEESG_SJ_SK_mSL_SN_bEUlT_E_NS1_11comp_targetILNS1_3genE8ELNS1_11target_archE1030ELNS1_3gpuE2ELNS1_3repE0EEENS1_30default_config_static_selectorELNS0_4arch9wavefront6targetE0EEEvT1_,comdat
	.protected	_ZN7rocprim17ROCPRIM_400000_NS6detail17trampoline_kernelINS0_14default_configENS1_25transform_config_selectorIfLb0EEEZNS1_14transform_implILb0ES3_S5_NS0_18transform_iteratorINS0_17counting_iteratorImlEEZNS1_24adjacent_difference_implIS3_Lb1ELb0EPfSB_N6thrust23THRUST_200600_302600_NS4plusIfEEEE10hipError_tPvRmT2_T3_mT4_P12ihipStream_tbEUlmE_fEESB_NS0_8identityIvEEEESG_SJ_SK_mSL_SN_bEUlT_E_NS1_11comp_targetILNS1_3genE8ELNS1_11target_archE1030ELNS1_3gpuE2ELNS1_3repE0EEENS1_30default_config_static_selectorELNS0_4arch9wavefront6targetE0EEEvT1_ ; -- Begin function _ZN7rocprim17ROCPRIM_400000_NS6detail17trampoline_kernelINS0_14default_configENS1_25transform_config_selectorIfLb0EEEZNS1_14transform_implILb0ES3_S5_NS0_18transform_iteratorINS0_17counting_iteratorImlEEZNS1_24adjacent_difference_implIS3_Lb1ELb0EPfSB_N6thrust23THRUST_200600_302600_NS4plusIfEEEE10hipError_tPvRmT2_T3_mT4_P12ihipStream_tbEUlmE_fEESB_NS0_8identityIvEEEESG_SJ_SK_mSL_SN_bEUlT_E_NS1_11comp_targetILNS1_3genE8ELNS1_11target_archE1030ELNS1_3gpuE2ELNS1_3repE0EEENS1_30default_config_static_selectorELNS0_4arch9wavefront6targetE0EEEvT1_
	.globl	_ZN7rocprim17ROCPRIM_400000_NS6detail17trampoline_kernelINS0_14default_configENS1_25transform_config_selectorIfLb0EEEZNS1_14transform_implILb0ES3_S5_NS0_18transform_iteratorINS0_17counting_iteratorImlEEZNS1_24adjacent_difference_implIS3_Lb1ELb0EPfSB_N6thrust23THRUST_200600_302600_NS4plusIfEEEE10hipError_tPvRmT2_T3_mT4_P12ihipStream_tbEUlmE_fEESB_NS0_8identityIvEEEESG_SJ_SK_mSL_SN_bEUlT_E_NS1_11comp_targetILNS1_3genE8ELNS1_11target_archE1030ELNS1_3gpuE2ELNS1_3repE0EEENS1_30default_config_static_selectorELNS0_4arch9wavefront6targetE0EEEvT1_
	.p2align	8
	.type	_ZN7rocprim17ROCPRIM_400000_NS6detail17trampoline_kernelINS0_14default_configENS1_25transform_config_selectorIfLb0EEEZNS1_14transform_implILb0ES3_S5_NS0_18transform_iteratorINS0_17counting_iteratorImlEEZNS1_24adjacent_difference_implIS3_Lb1ELb0EPfSB_N6thrust23THRUST_200600_302600_NS4plusIfEEEE10hipError_tPvRmT2_T3_mT4_P12ihipStream_tbEUlmE_fEESB_NS0_8identityIvEEEESG_SJ_SK_mSL_SN_bEUlT_E_NS1_11comp_targetILNS1_3genE8ELNS1_11target_archE1030ELNS1_3gpuE2ELNS1_3repE0EEENS1_30default_config_static_selectorELNS0_4arch9wavefront6targetE0EEEvT1_,@function
_ZN7rocprim17ROCPRIM_400000_NS6detail17trampoline_kernelINS0_14default_configENS1_25transform_config_selectorIfLb0EEEZNS1_14transform_implILb0ES3_S5_NS0_18transform_iteratorINS0_17counting_iteratorImlEEZNS1_24adjacent_difference_implIS3_Lb1ELb0EPfSB_N6thrust23THRUST_200600_302600_NS4plusIfEEEE10hipError_tPvRmT2_T3_mT4_P12ihipStream_tbEUlmE_fEESB_NS0_8identityIvEEEESG_SJ_SK_mSL_SN_bEUlT_E_NS1_11comp_targetILNS1_3genE8ELNS1_11target_archE1030ELNS1_3gpuE2ELNS1_3repE0EEENS1_30default_config_static_selectorELNS0_4arch9wavefront6targetE0EEEvT1_: ; @_ZN7rocprim17ROCPRIM_400000_NS6detail17trampoline_kernelINS0_14default_configENS1_25transform_config_selectorIfLb0EEEZNS1_14transform_implILb0ES3_S5_NS0_18transform_iteratorINS0_17counting_iteratorImlEEZNS1_24adjacent_difference_implIS3_Lb1ELb0EPfSB_N6thrust23THRUST_200600_302600_NS4plusIfEEEE10hipError_tPvRmT2_T3_mT4_P12ihipStream_tbEUlmE_fEESB_NS0_8identityIvEEEESG_SJ_SK_mSL_SN_bEUlT_E_NS1_11comp_targetILNS1_3genE8ELNS1_11target_archE1030ELNS1_3gpuE2ELNS1_3repE0EEENS1_30default_config_static_selectorELNS0_4arch9wavefront6targetE0EEEvT1_
; %bb.0:
	.section	.rodata,"a",@progbits
	.p2align	6, 0x0
	.amdhsa_kernel _ZN7rocprim17ROCPRIM_400000_NS6detail17trampoline_kernelINS0_14default_configENS1_25transform_config_selectorIfLb0EEEZNS1_14transform_implILb0ES3_S5_NS0_18transform_iteratorINS0_17counting_iteratorImlEEZNS1_24adjacent_difference_implIS3_Lb1ELb0EPfSB_N6thrust23THRUST_200600_302600_NS4plusIfEEEE10hipError_tPvRmT2_T3_mT4_P12ihipStream_tbEUlmE_fEESB_NS0_8identityIvEEEESG_SJ_SK_mSL_SN_bEUlT_E_NS1_11comp_targetILNS1_3genE8ELNS1_11target_archE1030ELNS1_3gpuE2ELNS1_3repE0EEENS1_30default_config_static_selectorELNS0_4arch9wavefront6targetE0EEEvT1_
		.amdhsa_group_segment_fixed_size 0
		.amdhsa_private_segment_fixed_size 0
		.amdhsa_kernarg_size 56
		.amdhsa_user_sgpr_count 15
		.amdhsa_user_sgpr_dispatch_ptr 0
		.amdhsa_user_sgpr_queue_ptr 0
		.amdhsa_user_sgpr_kernarg_segment_ptr 1
		.amdhsa_user_sgpr_dispatch_id 0
		.amdhsa_user_sgpr_private_segment_size 0
		.amdhsa_wavefront_size32 1
		.amdhsa_uses_dynamic_stack 0
		.amdhsa_enable_private_segment 0
		.amdhsa_system_sgpr_workgroup_id_x 1
		.amdhsa_system_sgpr_workgroup_id_y 0
		.amdhsa_system_sgpr_workgroup_id_z 0
		.amdhsa_system_sgpr_workgroup_info 0
		.amdhsa_system_vgpr_workitem_id 0
		.amdhsa_next_free_vgpr 1
		.amdhsa_next_free_sgpr 1
		.amdhsa_reserve_vcc 0
		.amdhsa_float_round_mode_32 0
		.amdhsa_float_round_mode_16_64 0
		.amdhsa_float_denorm_mode_32 3
		.amdhsa_float_denorm_mode_16_64 3
		.amdhsa_dx10_clamp 1
		.amdhsa_ieee_mode 1
		.amdhsa_fp16_overflow 0
		.amdhsa_workgroup_processor_mode 1
		.amdhsa_memory_ordered 1
		.amdhsa_forward_progress 0
		.amdhsa_shared_vgpr_count 0
		.amdhsa_exception_fp_ieee_invalid_op 0
		.amdhsa_exception_fp_denorm_src 0
		.amdhsa_exception_fp_ieee_div_zero 0
		.amdhsa_exception_fp_ieee_overflow 0
		.amdhsa_exception_fp_ieee_underflow 0
		.amdhsa_exception_fp_ieee_inexact 0
		.amdhsa_exception_int_div_zero 0
	.end_amdhsa_kernel
	.section	.text._ZN7rocprim17ROCPRIM_400000_NS6detail17trampoline_kernelINS0_14default_configENS1_25transform_config_selectorIfLb0EEEZNS1_14transform_implILb0ES3_S5_NS0_18transform_iteratorINS0_17counting_iteratorImlEEZNS1_24adjacent_difference_implIS3_Lb1ELb0EPfSB_N6thrust23THRUST_200600_302600_NS4plusIfEEEE10hipError_tPvRmT2_T3_mT4_P12ihipStream_tbEUlmE_fEESB_NS0_8identityIvEEEESG_SJ_SK_mSL_SN_bEUlT_E_NS1_11comp_targetILNS1_3genE8ELNS1_11target_archE1030ELNS1_3gpuE2ELNS1_3repE0EEENS1_30default_config_static_selectorELNS0_4arch9wavefront6targetE0EEEvT1_,"axG",@progbits,_ZN7rocprim17ROCPRIM_400000_NS6detail17trampoline_kernelINS0_14default_configENS1_25transform_config_selectorIfLb0EEEZNS1_14transform_implILb0ES3_S5_NS0_18transform_iteratorINS0_17counting_iteratorImlEEZNS1_24adjacent_difference_implIS3_Lb1ELb0EPfSB_N6thrust23THRUST_200600_302600_NS4plusIfEEEE10hipError_tPvRmT2_T3_mT4_P12ihipStream_tbEUlmE_fEESB_NS0_8identityIvEEEESG_SJ_SK_mSL_SN_bEUlT_E_NS1_11comp_targetILNS1_3genE8ELNS1_11target_archE1030ELNS1_3gpuE2ELNS1_3repE0EEENS1_30default_config_static_selectorELNS0_4arch9wavefront6targetE0EEEvT1_,comdat
.Lfunc_end94:
	.size	_ZN7rocprim17ROCPRIM_400000_NS6detail17trampoline_kernelINS0_14default_configENS1_25transform_config_selectorIfLb0EEEZNS1_14transform_implILb0ES3_S5_NS0_18transform_iteratorINS0_17counting_iteratorImlEEZNS1_24adjacent_difference_implIS3_Lb1ELb0EPfSB_N6thrust23THRUST_200600_302600_NS4plusIfEEEE10hipError_tPvRmT2_T3_mT4_P12ihipStream_tbEUlmE_fEESB_NS0_8identityIvEEEESG_SJ_SK_mSL_SN_bEUlT_E_NS1_11comp_targetILNS1_3genE8ELNS1_11target_archE1030ELNS1_3gpuE2ELNS1_3repE0EEENS1_30default_config_static_selectorELNS0_4arch9wavefront6targetE0EEEvT1_, .Lfunc_end94-_ZN7rocprim17ROCPRIM_400000_NS6detail17trampoline_kernelINS0_14default_configENS1_25transform_config_selectorIfLb0EEEZNS1_14transform_implILb0ES3_S5_NS0_18transform_iteratorINS0_17counting_iteratorImlEEZNS1_24adjacent_difference_implIS3_Lb1ELb0EPfSB_N6thrust23THRUST_200600_302600_NS4plusIfEEEE10hipError_tPvRmT2_T3_mT4_P12ihipStream_tbEUlmE_fEESB_NS0_8identityIvEEEESG_SJ_SK_mSL_SN_bEUlT_E_NS1_11comp_targetILNS1_3genE8ELNS1_11target_archE1030ELNS1_3gpuE2ELNS1_3repE0EEENS1_30default_config_static_selectorELNS0_4arch9wavefront6targetE0EEEvT1_
                                        ; -- End function
	.section	.AMDGPU.csdata,"",@progbits
; Kernel info:
; codeLenInByte = 0
; NumSgprs: 0
; NumVgprs: 0
; ScratchSize: 0
; MemoryBound: 0
; FloatMode: 240
; IeeeMode: 1
; LDSByteSize: 0 bytes/workgroup (compile time only)
; SGPRBlocks: 0
; VGPRBlocks: 0
; NumSGPRsForWavesPerEU: 1
; NumVGPRsForWavesPerEU: 1
; Occupancy: 16
; WaveLimiterHint : 0
; COMPUTE_PGM_RSRC2:SCRATCH_EN: 0
; COMPUTE_PGM_RSRC2:USER_SGPR: 15
; COMPUTE_PGM_RSRC2:TRAP_HANDLER: 0
; COMPUTE_PGM_RSRC2:TGID_X_EN: 1
; COMPUTE_PGM_RSRC2:TGID_Y_EN: 0
; COMPUTE_PGM_RSRC2:TGID_Z_EN: 0
; COMPUTE_PGM_RSRC2:TIDIG_COMP_CNT: 0
	.section	.text._ZN7rocprim17ROCPRIM_400000_NS6detail17trampoline_kernelINS0_14default_configENS1_35adjacent_difference_config_selectorILb1EfEEZNS1_24adjacent_difference_implIS3_Lb1ELb0EPfS7_N6thrust23THRUST_200600_302600_NS4plusIfEEEE10hipError_tPvRmT2_T3_mT4_P12ihipStream_tbEUlT_E_NS1_11comp_targetILNS1_3genE0ELNS1_11target_archE4294967295ELNS1_3gpuE0ELNS1_3repE0EEENS1_30default_config_static_selectorELNS0_4arch9wavefront6targetE0EEEvT1_,"axG",@progbits,_ZN7rocprim17ROCPRIM_400000_NS6detail17trampoline_kernelINS0_14default_configENS1_35adjacent_difference_config_selectorILb1EfEEZNS1_24adjacent_difference_implIS3_Lb1ELb0EPfS7_N6thrust23THRUST_200600_302600_NS4plusIfEEEE10hipError_tPvRmT2_T3_mT4_P12ihipStream_tbEUlT_E_NS1_11comp_targetILNS1_3genE0ELNS1_11target_archE4294967295ELNS1_3gpuE0ELNS1_3repE0EEENS1_30default_config_static_selectorELNS0_4arch9wavefront6targetE0EEEvT1_,comdat
	.protected	_ZN7rocprim17ROCPRIM_400000_NS6detail17trampoline_kernelINS0_14default_configENS1_35adjacent_difference_config_selectorILb1EfEEZNS1_24adjacent_difference_implIS3_Lb1ELb0EPfS7_N6thrust23THRUST_200600_302600_NS4plusIfEEEE10hipError_tPvRmT2_T3_mT4_P12ihipStream_tbEUlT_E_NS1_11comp_targetILNS1_3genE0ELNS1_11target_archE4294967295ELNS1_3gpuE0ELNS1_3repE0EEENS1_30default_config_static_selectorELNS0_4arch9wavefront6targetE0EEEvT1_ ; -- Begin function _ZN7rocprim17ROCPRIM_400000_NS6detail17trampoline_kernelINS0_14default_configENS1_35adjacent_difference_config_selectorILb1EfEEZNS1_24adjacent_difference_implIS3_Lb1ELb0EPfS7_N6thrust23THRUST_200600_302600_NS4plusIfEEEE10hipError_tPvRmT2_T3_mT4_P12ihipStream_tbEUlT_E_NS1_11comp_targetILNS1_3genE0ELNS1_11target_archE4294967295ELNS1_3gpuE0ELNS1_3repE0EEENS1_30default_config_static_selectorELNS0_4arch9wavefront6targetE0EEEvT1_
	.globl	_ZN7rocprim17ROCPRIM_400000_NS6detail17trampoline_kernelINS0_14default_configENS1_35adjacent_difference_config_selectorILb1EfEEZNS1_24adjacent_difference_implIS3_Lb1ELb0EPfS7_N6thrust23THRUST_200600_302600_NS4plusIfEEEE10hipError_tPvRmT2_T3_mT4_P12ihipStream_tbEUlT_E_NS1_11comp_targetILNS1_3genE0ELNS1_11target_archE4294967295ELNS1_3gpuE0ELNS1_3repE0EEENS1_30default_config_static_selectorELNS0_4arch9wavefront6targetE0EEEvT1_
	.p2align	8
	.type	_ZN7rocprim17ROCPRIM_400000_NS6detail17trampoline_kernelINS0_14default_configENS1_35adjacent_difference_config_selectorILb1EfEEZNS1_24adjacent_difference_implIS3_Lb1ELb0EPfS7_N6thrust23THRUST_200600_302600_NS4plusIfEEEE10hipError_tPvRmT2_T3_mT4_P12ihipStream_tbEUlT_E_NS1_11comp_targetILNS1_3genE0ELNS1_11target_archE4294967295ELNS1_3gpuE0ELNS1_3repE0EEENS1_30default_config_static_selectorELNS0_4arch9wavefront6targetE0EEEvT1_,@function
_ZN7rocprim17ROCPRIM_400000_NS6detail17trampoline_kernelINS0_14default_configENS1_35adjacent_difference_config_selectorILb1EfEEZNS1_24adjacent_difference_implIS3_Lb1ELb0EPfS7_N6thrust23THRUST_200600_302600_NS4plusIfEEEE10hipError_tPvRmT2_T3_mT4_P12ihipStream_tbEUlT_E_NS1_11comp_targetILNS1_3genE0ELNS1_11target_archE4294967295ELNS1_3gpuE0ELNS1_3repE0EEENS1_30default_config_static_selectorELNS0_4arch9wavefront6targetE0EEEvT1_: ; @_ZN7rocprim17ROCPRIM_400000_NS6detail17trampoline_kernelINS0_14default_configENS1_35adjacent_difference_config_selectorILb1EfEEZNS1_24adjacent_difference_implIS3_Lb1ELb0EPfS7_N6thrust23THRUST_200600_302600_NS4plusIfEEEE10hipError_tPvRmT2_T3_mT4_P12ihipStream_tbEUlT_E_NS1_11comp_targetILNS1_3genE0ELNS1_11target_archE4294967295ELNS1_3gpuE0ELNS1_3repE0EEENS1_30default_config_static_selectorELNS0_4arch9wavefront6targetE0EEEvT1_
; %bb.0:
	.section	.rodata,"a",@progbits
	.p2align	6, 0x0
	.amdhsa_kernel _ZN7rocprim17ROCPRIM_400000_NS6detail17trampoline_kernelINS0_14default_configENS1_35adjacent_difference_config_selectorILb1EfEEZNS1_24adjacent_difference_implIS3_Lb1ELb0EPfS7_N6thrust23THRUST_200600_302600_NS4plusIfEEEE10hipError_tPvRmT2_T3_mT4_P12ihipStream_tbEUlT_E_NS1_11comp_targetILNS1_3genE0ELNS1_11target_archE4294967295ELNS1_3gpuE0ELNS1_3repE0EEENS1_30default_config_static_selectorELNS0_4arch9wavefront6targetE0EEEvT1_
		.amdhsa_group_segment_fixed_size 0
		.amdhsa_private_segment_fixed_size 0
		.amdhsa_kernarg_size 56
		.amdhsa_user_sgpr_count 15
		.amdhsa_user_sgpr_dispatch_ptr 0
		.amdhsa_user_sgpr_queue_ptr 0
		.amdhsa_user_sgpr_kernarg_segment_ptr 1
		.amdhsa_user_sgpr_dispatch_id 0
		.amdhsa_user_sgpr_private_segment_size 0
		.amdhsa_wavefront_size32 1
		.amdhsa_uses_dynamic_stack 0
		.amdhsa_enable_private_segment 0
		.amdhsa_system_sgpr_workgroup_id_x 1
		.amdhsa_system_sgpr_workgroup_id_y 0
		.amdhsa_system_sgpr_workgroup_id_z 0
		.amdhsa_system_sgpr_workgroup_info 0
		.amdhsa_system_vgpr_workitem_id 0
		.amdhsa_next_free_vgpr 1
		.amdhsa_next_free_sgpr 1
		.amdhsa_reserve_vcc 0
		.amdhsa_float_round_mode_32 0
		.amdhsa_float_round_mode_16_64 0
		.amdhsa_float_denorm_mode_32 3
		.amdhsa_float_denorm_mode_16_64 3
		.amdhsa_dx10_clamp 1
		.amdhsa_ieee_mode 1
		.amdhsa_fp16_overflow 0
		.amdhsa_workgroup_processor_mode 1
		.amdhsa_memory_ordered 1
		.amdhsa_forward_progress 0
		.amdhsa_shared_vgpr_count 0
		.amdhsa_exception_fp_ieee_invalid_op 0
		.amdhsa_exception_fp_denorm_src 0
		.amdhsa_exception_fp_ieee_div_zero 0
		.amdhsa_exception_fp_ieee_overflow 0
		.amdhsa_exception_fp_ieee_underflow 0
		.amdhsa_exception_fp_ieee_inexact 0
		.amdhsa_exception_int_div_zero 0
	.end_amdhsa_kernel
	.section	.text._ZN7rocprim17ROCPRIM_400000_NS6detail17trampoline_kernelINS0_14default_configENS1_35adjacent_difference_config_selectorILb1EfEEZNS1_24adjacent_difference_implIS3_Lb1ELb0EPfS7_N6thrust23THRUST_200600_302600_NS4plusIfEEEE10hipError_tPvRmT2_T3_mT4_P12ihipStream_tbEUlT_E_NS1_11comp_targetILNS1_3genE0ELNS1_11target_archE4294967295ELNS1_3gpuE0ELNS1_3repE0EEENS1_30default_config_static_selectorELNS0_4arch9wavefront6targetE0EEEvT1_,"axG",@progbits,_ZN7rocprim17ROCPRIM_400000_NS6detail17trampoline_kernelINS0_14default_configENS1_35adjacent_difference_config_selectorILb1EfEEZNS1_24adjacent_difference_implIS3_Lb1ELb0EPfS7_N6thrust23THRUST_200600_302600_NS4plusIfEEEE10hipError_tPvRmT2_T3_mT4_P12ihipStream_tbEUlT_E_NS1_11comp_targetILNS1_3genE0ELNS1_11target_archE4294967295ELNS1_3gpuE0ELNS1_3repE0EEENS1_30default_config_static_selectorELNS0_4arch9wavefront6targetE0EEEvT1_,comdat
.Lfunc_end95:
	.size	_ZN7rocprim17ROCPRIM_400000_NS6detail17trampoline_kernelINS0_14default_configENS1_35adjacent_difference_config_selectorILb1EfEEZNS1_24adjacent_difference_implIS3_Lb1ELb0EPfS7_N6thrust23THRUST_200600_302600_NS4plusIfEEEE10hipError_tPvRmT2_T3_mT4_P12ihipStream_tbEUlT_E_NS1_11comp_targetILNS1_3genE0ELNS1_11target_archE4294967295ELNS1_3gpuE0ELNS1_3repE0EEENS1_30default_config_static_selectorELNS0_4arch9wavefront6targetE0EEEvT1_, .Lfunc_end95-_ZN7rocprim17ROCPRIM_400000_NS6detail17trampoline_kernelINS0_14default_configENS1_35adjacent_difference_config_selectorILb1EfEEZNS1_24adjacent_difference_implIS3_Lb1ELb0EPfS7_N6thrust23THRUST_200600_302600_NS4plusIfEEEE10hipError_tPvRmT2_T3_mT4_P12ihipStream_tbEUlT_E_NS1_11comp_targetILNS1_3genE0ELNS1_11target_archE4294967295ELNS1_3gpuE0ELNS1_3repE0EEENS1_30default_config_static_selectorELNS0_4arch9wavefront6targetE0EEEvT1_
                                        ; -- End function
	.section	.AMDGPU.csdata,"",@progbits
; Kernel info:
; codeLenInByte = 0
; NumSgprs: 0
; NumVgprs: 0
; ScratchSize: 0
; MemoryBound: 0
; FloatMode: 240
; IeeeMode: 1
; LDSByteSize: 0 bytes/workgroup (compile time only)
; SGPRBlocks: 0
; VGPRBlocks: 0
; NumSGPRsForWavesPerEU: 1
; NumVGPRsForWavesPerEU: 1
; Occupancy: 16
; WaveLimiterHint : 0
; COMPUTE_PGM_RSRC2:SCRATCH_EN: 0
; COMPUTE_PGM_RSRC2:USER_SGPR: 15
; COMPUTE_PGM_RSRC2:TRAP_HANDLER: 0
; COMPUTE_PGM_RSRC2:TGID_X_EN: 1
; COMPUTE_PGM_RSRC2:TGID_Y_EN: 0
; COMPUTE_PGM_RSRC2:TGID_Z_EN: 0
; COMPUTE_PGM_RSRC2:TIDIG_COMP_CNT: 0
	.section	.text._ZN7rocprim17ROCPRIM_400000_NS6detail17trampoline_kernelINS0_14default_configENS1_35adjacent_difference_config_selectorILb1EfEEZNS1_24adjacent_difference_implIS3_Lb1ELb0EPfS7_N6thrust23THRUST_200600_302600_NS4plusIfEEEE10hipError_tPvRmT2_T3_mT4_P12ihipStream_tbEUlT_E_NS1_11comp_targetILNS1_3genE10ELNS1_11target_archE1201ELNS1_3gpuE5ELNS1_3repE0EEENS1_30default_config_static_selectorELNS0_4arch9wavefront6targetE0EEEvT1_,"axG",@progbits,_ZN7rocprim17ROCPRIM_400000_NS6detail17trampoline_kernelINS0_14default_configENS1_35adjacent_difference_config_selectorILb1EfEEZNS1_24adjacent_difference_implIS3_Lb1ELb0EPfS7_N6thrust23THRUST_200600_302600_NS4plusIfEEEE10hipError_tPvRmT2_T3_mT4_P12ihipStream_tbEUlT_E_NS1_11comp_targetILNS1_3genE10ELNS1_11target_archE1201ELNS1_3gpuE5ELNS1_3repE0EEENS1_30default_config_static_selectorELNS0_4arch9wavefront6targetE0EEEvT1_,comdat
	.protected	_ZN7rocprim17ROCPRIM_400000_NS6detail17trampoline_kernelINS0_14default_configENS1_35adjacent_difference_config_selectorILb1EfEEZNS1_24adjacent_difference_implIS3_Lb1ELb0EPfS7_N6thrust23THRUST_200600_302600_NS4plusIfEEEE10hipError_tPvRmT2_T3_mT4_P12ihipStream_tbEUlT_E_NS1_11comp_targetILNS1_3genE10ELNS1_11target_archE1201ELNS1_3gpuE5ELNS1_3repE0EEENS1_30default_config_static_selectorELNS0_4arch9wavefront6targetE0EEEvT1_ ; -- Begin function _ZN7rocprim17ROCPRIM_400000_NS6detail17trampoline_kernelINS0_14default_configENS1_35adjacent_difference_config_selectorILb1EfEEZNS1_24adjacent_difference_implIS3_Lb1ELb0EPfS7_N6thrust23THRUST_200600_302600_NS4plusIfEEEE10hipError_tPvRmT2_T3_mT4_P12ihipStream_tbEUlT_E_NS1_11comp_targetILNS1_3genE10ELNS1_11target_archE1201ELNS1_3gpuE5ELNS1_3repE0EEENS1_30default_config_static_selectorELNS0_4arch9wavefront6targetE0EEEvT1_
	.globl	_ZN7rocprim17ROCPRIM_400000_NS6detail17trampoline_kernelINS0_14default_configENS1_35adjacent_difference_config_selectorILb1EfEEZNS1_24adjacent_difference_implIS3_Lb1ELb0EPfS7_N6thrust23THRUST_200600_302600_NS4plusIfEEEE10hipError_tPvRmT2_T3_mT4_P12ihipStream_tbEUlT_E_NS1_11comp_targetILNS1_3genE10ELNS1_11target_archE1201ELNS1_3gpuE5ELNS1_3repE0EEENS1_30default_config_static_selectorELNS0_4arch9wavefront6targetE0EEEvT1_
	.p2align	8
	.type	_ZN7rocprim17ROCPRIM_400000_NS6detail17trampoline_kernelINS0_14default_configENS1_35adjacent_difference_config_selectorILb1EfEEZNS1_24adjacent_difference_implIS3_Lb1ELb0EPfS7_N6thrust23THRUST_200600_302600_NS4plusIfEEEE10hipError_tPvRmT2_T3_mT4_P12ihipStream_tbEUlT_E_NS1_11comp_targetILNS1_3genE10ELNS1_11target_archE1201ELNS1_3gpuE5ELNS1_3repE0EEENS1_30default_config_static_selectorELNS0_4arch9wavefront6targetE0EEEvT1_,@function
_ZN7rocprim17ROCPRIM_400000_NS6detail17trampoline_kernelINS0_14default_configENS1_35adjacent_difference_config_selectorILb1EfEEZNS1_24adjacent_difference_implIS3_Lb1ELb0EPfS7_N6thrust23THRUST_200600_302600_NS4plusIfEEEE10hipError_tPvRmT2_T3_mT4_P12ihipStream_tbEUlT_E_NS1_11comp_targetILNS1_3genE10ELNS1_11target_archE1201ELNS1_3gpuE5ELNS1_3repE0EEENS1_30default_config_static_selectorELNS0_4arch9wavefront6targetE0EEEvT1_: ; @_ZN7rocprim17ROCPRIM_400000_NS6detail17trampoline_kernelINS0_14default_configENS1_35adjacent_difference_config_selectorILb1EfEEZNS1_24adjacent_difference_implIS3_Lb1ELb0EPfS7_N6thrust23THRUST_200600_302600_NS4plusIfEEEE10hipError_tPvRmT2_T3_mT4_P12ihipStream_tbEUlT_E_NS1_11comp_targetILNS1_3genE10ELNS1_11target_archE1201ELNS1_3gpuE5ELNS1_3repE0EEENS1_30default_config_static_selectorELNS0_4arch9wavefront6targetE0EEEvT1_
; %bb.0:
	.section	.rodata,"a",@progbits
	.p2align	6, 0x0
	.amdhsa_kernel _ZN7rocprim17ROCPRIM_400000_NS6detail17trampoline_kernelINS0_14default_configENS1_35adjacent_difference_config_selectorILb1EfEEZNS1_24adjacent_difference_implIS3_Lb1ELb0EPfS7_N6thrust23THRUST_200600_302600_NS4plusIfEEEE10hipError_tPvRmT2_T3_mT4_P12ihipStream_tbEUlT_E_NS1_11comp_targetILNS1_3genE10ELNS1_11target_archE1201ELNS1_3gpuE5ELNS1_3repE0EEENS1_30default_config_static_selectorELNS0_4arch9wavefront6targetE0EEEvT1_
		.amdhsa_group_segment_fixed_size 0
		.amdhsa_private_segment_fixed_size 0
		.amdhsa_kernarg_size 56
		.amdhsa_user_sgpr_count 15
		.amdhsa_user_sgpr_dispatch_ptr 0
		.amdhsa_user_sgpr_queue_ptr 0
		.amdhsa_user_sgpr_kernarg_segment_ptr 1
		.amdhsa_user_sgpr_dispatch_id 0
		.amdhsa_user_sgpr_private_segment_size 0
		.amdhsa_wavefront_size32 1
		.amdhsa_uses_dynamic_stack 0
		.amdhsa_enable_private_segment 0
		.amdhsa_system_sgpr_workgroup_id_x 1
		.amdhsa_system_sgpr_workgroup_id_y 0
		.amdhsa_system_sgpr_workgroup_id_z 0
		.amdhsa_system_sgpr_workgroup_info 0
		.amdhsa_system_vgpr_workitem_id 0
		.amdhsa_next_free_vgpr 1
		.amdhsa_next_free_sgpr 1
		.amdhsa_reserve_vcc 0
		.amdhsa_float_round_mode_32 0
		.amdhsa_float_round_mode_16_64 0
		.amdhsa_float_denorm_mode_32 3
		.amdhsa_float_denorm_mode_16_64 3
		.amdhsa_dx10_clamp 1
		.amdhsa_ieee_mode 1
		.amdhsa_fp16_overflow 0
		.amdhsa_workgroup_processor_mode 1
		.amdhsa_memory_ordered 1
		.amdhsa_forward_progress 0
		.amdhsa_shared_vgpr_count 0
		.amdhsa_exception_fp_ieee_invalid_op 0
		.amdhsa_exception_fp_denorm_src 0
		.amdhsa_exception_fp_ieee_div_zero 0
		.amdhsa_exception_fp_ieee_overflow 0
		.amdhsa_exception_fp_ieee_underflow 0
		.amdhsa_exception_fp_ieee_inexact 0
		.amdhsa_exception_int_div_zero 0
	.end_amdhsa_kernel
	.section	.text._ZN7rocprim17ROCPRIM_400000_NS6detail17trampoline_kernelINS0_14default_configENS1_35adjacent_difference_config_selectorILb1EfEEZNS1_24adjacent_difference_implIS3_Lb1ELb0EPfS7_N6thrust23THRUST_200600_302600_NS4plusIfEEEE10hipError_tPvRmT2_T3_mT4_P12ihipStream_tbEUlT_E_NS1_11comp_targetILNS1_3genE10ELNS1_11target_archE1201ELNS1_3gpuE5ELNS1_3repE0EEENS1_30default_config_static_selectorELNS0_4arch9wavefront6targetE0EEEvT1_,"axG",@progbits,_ZN7rocprim17ROCPRIM_400000_NS6detail17trampoline_kernelINS0_14default_configENS1_35adjacent_difference_config_selectorILb1EfEEZNS1_24adjacent_difference_implIS3_Lb1ELb0EPfS7_N6thrust23THRUST_200600_302600_NS4plusIfEEEE10hipError_tPvRmT2_T3_mT4_P12ihipStream_tbEUlT_E_NS1_11comp_targetILNS1_3genE10ELNS1_11target_archE1201ELNS1_3gpuE5ELNS1_3repE0EEENS1_30default_config_static_selectorELNS0_4arch9wavefront6targetE0EEEvT1_,comdat
.Lfunc_end96:
	.size	_ZN7rocprim17ROCPRIM_400000_NS6detail17trampoline_kernelINS0_14default_configENS1_35adjacent_difference_config_selectorILb1EfEEZNS1_24adjacent_difference_implIS3_Lb1ELb0EPfS7_N6thrust23THRUST_200600_302600_NS4plusIfEEEE10hipError_tPvRmT2_T3_mT4_P12ihipStream_tbEUlT_E_NS1_11comp_targetILNS1_3genE10ELNS1_11target_archE1201ELNS1_3gpuE5ELNS1_3repE0EEENS1_30default_config_static_selectorELNS0_4arch9wavefront6targetE0EEEvT1_, .Lfunc_end96-_ZN7rocprim17ROCPRIM_400000_NS6detail17trampoline_kernelINS0_14default_configENS1_35adjacent_difference_config_selectorILb1EfEEZNS1_24adjacent_difference_implIS3_Lb1ELb0EPfS7_N6thrust23THRUST_200600_302600_NS4plusIfEEEE10hipError_tPvRmT2_T3_mT4_P12ihipStream_tbEUlT_E_NS1_11comp_targetILNS1_3genE10ELNS1_11target_archE1201ELNS1_3gpuE5ELNS1_3repE0EEENS1_30default_config_static_selectorELNS0_4arch9wavefront6targetE0EEEvT1_
                                        ; -- End function
	.section	.AMDGPU.csdata,"",@progbits
; Kernel info:
; codeLenInByte = 0
; NumSgprs: 0
; NumVgprs: 0
; ScratchSize: 0
; MemoryBound: 0
; FloatMode: 240
; IeeeMode: 1
; LDSByteSize: 0 bytes/workgroup (compile time only)
; SGPRBlocks: 0
; VGPRBlocks: 0
; NumSGPRsForWavesPerEU: 1
; NumVGPRsForWavesPerEU: 1
; Occupancy: 16
; WaveLimiterHint : 0
; COMPUTE_PGM_RSRC2:SCRATCH_EN: 0
; COMPUTE_PGM_RSRC2:USER_SGPR: 15
; COMPUTE_PGM_RSRC2:TRAP_HANDLER: 0
; COMPUTE_PGM_RSRC2:TGID_X_EN: 1
; COMPUTE_PGM_RSRC2:TGID_Y_EN: 0
; COMPUTE_PGM_RSRC2:TGID_Z_EN: 0
; COMPUTE_PGM_RSRC2:TIDIG_COMP_CNT: 0
	.section	.text._ZN7rocprim17ROCPRIM_400000_NS6detail17trampoline_kernelINS0_14default_configENS1_35adjacent_difference_config_selectorILb1EfEEZNS1_24adjacent_difference_implIS3_Lb1ELb0EPfS7_N6thrust23THRUST_200600_302600_NS4plusIfEEEE10hipError_tPvRmT2_T3_mT4_P12ihipStream_tbEUlT_E_NS1_11comp_targetILNS1_3genE5ELNS1_11target_archE942ELNS1_3gpuE9ELNS1_3repE0EEENS1_30default_config_static_selectorELNS0_4arch9wavefront6targetE0EEEvT1_,"axG",@progbits,_ZN7rocprim17ROCPRIM_400000_NS6detail17trampoline_kernelINS0_14default_configENS1_35adjacent_difference_config_selectorILb1EfEEZNS1_24adjacent_difference_implIS3_Lb1ELb0EPfS7_N6thrust23THRUST_200600_302600_NS4plusIfEEEE10hipError_tPvRmT2_T3_mT4_P12ihipStream_tbEUlT_E_NS1_11comp_targetILNS1_3genE5ELNS1_11target_archE942ELNS1_3gpuE9ELNS1_3repE0EEENS1_30default_config_static_selectorELNS0_4arch9wavefront6targetE0EEEvT1_,comdat
	.protected	_ZN7rocprim17ROCPRIM_400000_NS6detail17trampoline_kernelINS0_14default_configENS1_35adjacent_difference_config_selectorILb1EfEEZNS1_24adjacent_difference_implIS3_Lb1ELb0EPfS7_N6thrust23THRUST_200600_302600_NS4plusIfEEEE10hipError_tPvRmT2_T3_mT4_P12ihipStream_tbEUlT_E_NS1_11comp_targetILNS1_3genE5ELNS1_11target_archE942ELNS1_3gpuE9ELNS1_3repE0EEENS1_30default_config_static_selectorELNS0_4arch9wavefront6targetE0EEEvT1_ ; -- Begin function _ZN7rocprim17ROCPRIM_400000_NS6detail17trampoline_kernelINS0_14default_configENS1_35adjacent_difference_config_selectorILb1EfEEZNS1_24adjacent_difference_implIS3_Lb1ELb0EPfS7_N6thrust23THRUST_200600_302600_NS4plusIfEEEE10hipError_tPvRmT2_T3_mT4_P12ihipStream_tbEUlT_E_NS1_11comp_targetILNS1_3genE5ELNS1_11target_archE942ELNS1_3gpuE9ELNS1_3repE0EEENS1_30default_config_static_selectorELNS0_4arch9wavefront6targetE0EEEvT1_
	.globl	_ZN7rocprim17ROCPRIM_400000_NS6detail17trampoline_kernelINS0_14default_configENS1_35adjacent_difference_config_selectorILb1EfEEZNS1_24adjacent_difference_implIS3_Lb1ELb0EPfS7_N6thrust23THRUST_200600_302600_NS4plusIfEEEE10hipError_tPvRmT2_T3_mT4_P12ihipStream_tbEUlT_E_NS1_11comp_targetILNS1_3genE5ELNS1_11target_archE942ELNS1_3gpuE9ELNS1_3repE0EEENS1_30default_config_static_selectorELNS0_4arch9wavefront6targetE0EEEvT1_
	.p2align	8
	.type	_ZN7rocprim17ROCPRIM_400000_NS6detail17trampoline_kernelINS0_14default_configENS1_35adjacent_difference_config_selectorILb1EfEEZNS1_24adjacent_difference_implIS3_Lb1ELb0EPfS7_N6thrust23THRUST_200600_302600_NS4plusIfEEEE10hipError_tPvRmT2_T3_mT4_P12ihipStream_tbEUlT_E_NS1_11comp_targetILNS1_3genE5ELNS1_11target_archE942ELNS1_3gpuE9ELNS1_3repE0EEENS1_30default_config_static_selectorELNS0_4arch9wavefront6targetE0EEEvT1_,@function
_ZN7rocprim17ROCPRIM_400000_NS6detail17trampoline_kernelINS0_14default_configENS1_35adjacent_difference_config_selectorILb1EfEEZNS1_24adjacent_difference_implIS3_Lb1ELb0EPfS7_N6thrust23THRUST_200600_302600_NS4plusIfEEEE10hipError_tPvRmT2_T3_mT4_P12ihipStream_tbEUlT_E_NS1_11comp_targetILNS1_3genE5ELNS1_11target_archE942ELNS1_3gpuE9ELNS1_3repE0EEENS1_30default_config_static_selectorELNS0_4arch9wavefront6targetE0EEEvT1_: ; @_ZN7rocprim17ROCPRIM_400000_NS6detail17trampoline_kernelINS0_14default_configENS1_35adjacent_difference_config_selectorILb1EfEEZNS1_24adjacent_difference_implIS3_Lb1ELb0EPfS7_N6thrust23THRUST_200600_302600_NS4plusIfEEEE10hipError_tPvRmT2_T3_mT4_P12ihipStream_tbEUlT_E_NS1_11comp_targetILNS1_3genE5ELNS1_11target_archE942ELNS1_3gpuE9ELNS1_3repE0EEENS1_30default_config_static_selectorELNS0_4arch9wavefront6targetE0EEEvT1_
; %bb.0:
	.section	.rodata,"a",@progbits
	.p2align	6, 0x0
	.amdhsa_kernel _ZN7rocprim17ROCPRIM_400000_NS6detail17trampoline_kernelINS0_14default_configENS1_35adjacent_difference_config_selectorILb1EfEEZNS1_24adjacent_difference_implIS3_Lb1ELb0EPfS7_N6thrust23THRUST_200600_302600_NS4plusIfEEEE10hipError_tPvRmT2_T3_mT4_P12ihipStream_tbEUlT_E_NS1_11comp_targetILNS1_3genE5ELNS1_11target_archE942ELNS1_3gpuE9ELNS1_3repE0EEENS1_30default_config_static_selectorELNS0_4arch9wavefront6targetE0EEEvT1_
		.amdhsa_group_segment_fixed_size 0
		.amdhsa_private_segment_fixed_size 0
		.amdhsa_kernarg_size 56
		.amdhsa_user_sgpr_count 15
		.amdhsa_user_sgpr_dispatch_ptr 0
		.amdhsa_user_sgpr_queue_ptr 0
		.amdhsa_user_sgpr_kernarg_segment_ptr 1
		.amdhsa_user_sgpr_dispatch_id 0
		.amdhsa_user_sgpr_private_segment_size 0
		.amdhsa_wavefront_size32 1
		.amdhsa_uses_dynamic_stack 0
		.amdhsa_enable_private_segment 0
		.amdhsa_system_sgpr_workgroup_id_x 1
		.amdhsa_system_sgpr_workgroup_id_y 0
		.amdhsa_system_sgpr_workgroup_id_z 0
		.amdhsa_system_sgpr_workgroup_info 0
		.amdhsa_system_vgpr_workitem_id 0
		.amdhsa_next_free_vgpr 1
		.amdhsa_next_free_sgpr 1
		.amdhsa_reserve_vcc 0
		.amdhsa_float_round_mode_32 0
		.amdhsa_float_round_mode_16_64 0
		.amdhsa_float_denorm_mode_32 3
		.amdhsa_float_denorm_mode_16_64 3
		.amdhsa_dx10_clamp 1
		.amdhsa_ieee_mode 1
		.amdhsa_fp16_overflow 0
		.amdhsa_workgroup_processor_mode 1
		.amdhsa_memory_ordered 1
		.amdhsa_forward_progress 0
		.amdhsa_shared_vgpr_count 0
		.amdhsa_exception_fp_ieee_invalid_op 0
		.amdhsa_exception_fp_denorm_src 0
		.amdhsa_exception_fp_ieee_div_zero 0
		.amdhsa_exception_fp_ieee_overflow 0
		.amdhsa_exception_fp_ieee_underflow 0
		.amdhsa_exception_fp_ieee_inexact 0
		.amdhsa_exception_int_div_zero 0
	.end_amdhsa_kernel
	.section	.text._ZN7rocprim17ROCPRIM_400000_NS6detail17trampoline_kernelINS0_14default_configENS1_35adjacent_difference_config_selectorILb1EfEEZNS1_24adjacent_difference_implIS3_Lb1ELb0EPfS7_N6thrust23THRUST_200600_302600_NS4plusIfEEEE10hipError_tPvRmT2_T3_mT4_P12ihipStream_tbEUlT_E_NS1_11comp_targetILNS1_3genE5ELNS1_11target_archE942ELNS1_3gpuE9ELNS1_3repE0EEENS1_30default_config_static_selectorELNS0_4arch9wavefront6targetE0EEEvT1_,"axG",@progbits,_ZN7rocprim17ROCPRIM_400000_NS6detail17trampoline_kernelINS0_14default_configENS1_35adjacent_difference_config_selectorILb1EfEEZNS1_24adjacent_difference_implIS3_Lb1ELb0EPfS7_N6thrust23THRUST_200600_302600_NS4plusIfEEEE10hipError_tPvRmT2_T3_mT4_P12ihipStream_tbEUlT_E_NS1_11comp_targetILNS1_3genE5ELNS1_11target_archE942ELNS1_3gpuE9ELNS1_3repE0EEENS1_30default_config_static_selectorELNS0_4arch9wavefront6targetE0EEEvT1_,comdat
.Lfunc_end97:
	.size	_ZN7rocprim17ROCPRIM_400000_NS6detail17trampoline_kernelINS0_14default_configENS1_35adjacent_difference_config_selectorILb1EfEEZNS1_24adjacent_difference_implIS3_Lb1ELb0EPfS7_N6thrust23THRUST_200600_302600_NS4plusIfEEEE10hipError_tPvRmT2_T3_mT4_P12ihipStream_tbEUlT_E_NS1_11comp_targetILNS1_3genE5ELNS1_11target_archE942ELNS1_3gpuE9ELNS1_3repE0EEENS1_30default_config_static_selectorELNS0_4arch9wavefront6targetE0EEEvT1_, .Lfunc_end97-_ZN7rocprim17ROCPRIM_400000_NS6detail17trampoline_kernelINS0_14default_configENS1_35adjacent_difference_config_selectorILb1EfEEZNS1_24adjacent_difference_implIS3_Lb1ELb0EPfS7_N6thrust23THRUST_200600_302600_NS4plusIfEEEE10hipError_tPvRmT2_T3_mT4_P12ihipStream_tbEUlT_E_NS1_11comp_targetILNS1_3genE5ELNS1_11target_archE942ELNS1_3gpuE9ELNS1_3repE0EEENS1_30default_config_static_selectorELNS0_4arch9wavefront6targetE0EEEvT1_
                                        ; -- End function
	.section	.AMDGPU.csdata,"",@progbits
; Kernel info:
; codeLenInByte = 0
; NumSgprs: 0
; NumVgprs: 0
; ScratchSize: 0
; MemoryBound: 0
; FloatMode: 240
; IeeeMode: 1
; LDSByteSize: 0 bytes/workgroup (compile time only)
; SGPRBlocks: 0
; VGPRBlocks: 0
; NumSGPRsForWavesPerEU: 1
; NumVGPRsForWavesPerEU: 1
; Occupancy: 16
; WaveLimiterHint : 0
; COMPUTE_PGM_RSRC2:SCRATCH_EN: 0
; COMPUTE_PGM_RSRC2:USER_SGPR: 15
; COMPUTE_PGM_RSRC2:TRAP_HANDLER: 0
; COMPUTE_PGM_RSRC2:TGID_X_EN: 1
; COMPUTE_PGM_RSRC2:TGID_Y_EN: 0
; COMPUTE_PGM_RSRC2:TGID_Z_EN: 0
; COMPUTE_PGM_RSRC2:TIDIG_COMP_CNT: 0
	.section	.text._ZN7rocprim17ROCPRIM_400000_NS6detail17trampoline_kernelINS0_14default_configENS1_35adjacent_difference_config_selectorILb1EfEEZNS1_24adjacent_difference_implIS3_Lb1ELb0EPfS7_N6thrust23THRUST_200600_302600_NS4plusIfEEEE10hipError_tPvRmT2_T3_mT4_P12ihipStream_tbEUlT_E_NS1_11comp_targetILNS1_3genE4ELNS1_11target_archE910ELNS1_3gpuE8ELNS1_3repE0EEENS1_30default_config_static_selectorELNS0_4arch9wavefront6targetE0EEEvT1_,"axG",@progbits,_ZN7rocprim17ROCPRIM_400000_NS6detail17trampoline_kernelINS0_14default_configENS1_35adjacent_difference_config_selectorILb1EfEEZNS1_24adjacent_difference_implIS3_Lb1ELb0EPfS7_N6thrust23THRUST_200600_302600_NS4plusIfEEEE10hipError_tPvRmT2_T3_mT4_P12ihipStream_tbEUlT_E_NS1_11comp_targetILNS1_3genE4ELNS1_11target_archE910ELNS1_3gpuE8ELNS1_3repE0EEENS1_30default_config_static_selectorELNS0_4arch9wavefront6targetE0EEEvT1_,comdat
	.protected	_ZN7rocprim17ROCPRIM_400000_NS6detail17trampoline_kernelINS0_14default_configENS1_35adjacent_difference_config_selectorILb1EfEEZNS1_24adjacent_difference_implIS3_Lb1ELb0EPfS7_N6thrust23THRUST_200600_302600_NS4plusIfEEEE10hipError_tPvRmT2_T3_mT4_P12ihipStream_tbEUlT_E_NS1_11comp_targetILNS1_3genE4ELNS1_11target_archE910ELNS1_3gpuE8ELNS1_3repE0EEENS1_30default_config_static_selectorELNS0_4arch9wavefront6targetE0EEEvT1_ ; -- Begin function _ZN7rocprim17ROCPRIM_400000_NS6detail17trampoline_kernelINS0_14default_configENS1_35adjacent_difference_config_selectorILb1EfEEZNS1_24adjacent_difference_implIS3_Lb1ELb0EPfS7_N6thrust23THRUST_200600_302600_NS4plusIfEEEE10hipError_tPvRmT2_T3_mT4_P12ihipStream_tbEUlT_E_NS1_11comp_targetILNS1_3genE4ELNS1_11target_archE910ELNS1_3gpuE8ELNS1_3repE0EEENS1_30default_config_static_selectorELNS0_4arch9wavefront6targetE0EEEvT1_
	.globl	_ZN7rocprim17ROCPRIM_400000_NS6detail17trampoline_kernelINS0_14default_configENS1_35adjacent_difference_config_selectorILb1EfEEZNS1_24adjacent_difference_implIS3_Lb1ELb0EPfS7_N6thrust23THRUST_200600_302600_NS4plusIfEEEE10hipError_tPvRmT2_T3_mT4_P12ihipStream_tbEUlT_E_NS1_11comp_targetILNS1_3genE4ELNS1_11target_archE910ELNS1_3gpuE8ELNS1_3repE0EEENS1_30default_config_static_selectorELNS0_4arch9wavefront6targetE0EEEvT1_
	.p2align	8
	.type	_ZN7rocprim17ROCPRIM_400000_NS6detail17trampoline_kernelINS0_14default_configENS1_35adjacent_difference_config_selectorILb1EfEEZNS1_24adjacent_difference_implIS3_Lb1ELb0EPfS7_N6thrust23THRUST_200600_302600_NS4plusIfEEEE10hipError_tPvRmT2_T3_mT4_P12ihipStream_tbEUlT_E_NS1_11comp_targetILNS1_3genE4ELNS1_11target_archE910ELNS1_3gpuE8ELNS1_3repE0EEENS1_30default_config_static_selectorELNS0_4arch9wavefront6targetE0EEEvT1_,@function
_ZN7rocprim17ROCPRIM_400000_NS6detail17trampoline_kernelINS0_14default_configENS1_35adjacent_difference_config_selectorILb1EfEEZNS1_24adjacent_difference_implIS3_Lb1ELb0EPfS7_N6thrust23THRUST_200600_302600_NS4plusIfEEEE10hipError_tPvRmT2_T3_mT4_P12ihipStream_tbEUlT_E_NS1_11comp_targetILNS1_3genE4ELNS1_11target_archE910ELNS1_3gpuE8ELNS1_3repE0EEENS1_30default_config_static_selectorELNS0_4arch9wavefront6targetE0EEEvT1_: ; @_ZN7rocprim17ROCPRIM_400000_NS6detail17trampoline_kernelINS0_14default_configENS1_35adjacent_difference_config_selectorILb1EfEEZNS1_24adjacent_difference_implIS3_Lb1ELb0EPfS7_N6thrust23THRUST_200600_302600_NS4plusIfEEEE10hipError_tPvRmT2_T3_mT4_P12ihipStream_tbEUlT_E_NS1_11comp_targetILNS1_3genE4ELNS1_11target_archE910ELNS1_3gpuE8ELNS1_3repE0EEENS1_30default_config_static_selectorELNS0_4arch9wavefront6targetE0EEEvT1_
; %bb.0:
	.section	.rodata,"a",@progbits
	.p2align	6, 0x0
	.amdhsa_kernel _ZN7rocprim17ROCPRIM_400000_NS6detail17trampoline_kernelINS0_14default_configENS1_35adjacent_difference_config_selectorILb1EfEEZNS1_24adjacent_difference_implIS3_Lb1ELb0EPfS7_N6thrust23THRUST_200600_302600_NS4plusIfEEEE10hipError_tPvRmT2_T3_mT4_P12ihipStream_tbEUlT_E_NS1_11comp_targetILNS1_3genE4ELNS1_11target_archE910ELNS1_3gpuE8ELNS1_3repE0EEENS1_30default_config_static_selectorELNS0_4arch9wavefront6targetE0EEEvT1_
		.amdhsa_group_segment_fixed_size 0
		.amdhsa_private_segment_fixed_size 0
		.amdhsa_kernarg_size 56
		.amdhsa_user_sgpr_count 15
		.amdhsa_user_sgpr_dispatch_ptr 0
		.amdhsa_user_sgpr_queue_ptr 0
		.amdhsa_user_sgpr_kernarg_segment_ptr 1
		.amdhsa_user_sgpr_dispatch_id 0
		.amdhsa_user_sgpr_private_segment_size 0
		.amdhsa_wavefront_size32 1
		.amdhsa_uses_dynamic_stack 0
		.amdhsa_enable_private_segment 0
		.amdhsa_system_sgpr_workgroup_id_x 1
		.amdhsa_system_sgpr_workgroup_id_y 0
		.amdhsa_system_sgpr_workgroup_id_z 0
		.amdhsa_system_sgpr_workgroup_info 0
		.amdhsa_system_vgpr_workitem_id 0
		.amdhsa_next_free_vgpr 1
		.amdhsa_next_free_sgpr 1
		.amdhsa_reserve_vcc 0
		.amdhsa_float_round_mode_32 0
		.amdhsa_float_round_mode_16_64 0
		.amdhsa_float_denorm_mode_32 3
		.amdhsa_float_denorm_mode_16_64 3
		.amdhsa_dx10_clamp 1
		.amdhsa_ieee_mode 1
		.amdhsa_fp16_overflow 0
		.amdhsa_workgroup_processor_mode 1
		.amdhsa_memory_ordered 1
		.amdhsa_forward_progress 0
		.amdhsa_shared_vgpr_count 0
		.amdhsa_exception_fp_ieee_invalid_op 0
		.amdhsa_exception_fp_denorm_src 0
		.amdhsa_exception_fp_ieee_div_zero 0
		.amdhsa_exception_fp_ieee_overflow 0
		.amdhsa_exception_fp_ieee_underflow 0
		.amdhsa_exception_fp_ieee_inexact 0
		.amdhsa_exception_int_div_zero 0
	.end_amdhsa_kernel
	.section	.text._ZN7rocprim17ROCPRIM_400000_NS6detail17trampoline_kernelINS0_14default_configENS1_35adjacent_difference_config_selectorILb1EfEEZNS1_24adjacent_difference_implIS3_Lb1ELb0EPfS7_N6thrust23THRUST_200600_302600_NS4plusIfEEEE10hipError_tPvRmT2_T3_mT4_P12ihipStream_tbEUlT_E_NS1_11comp_targetILNS1_3genE4ELNS1_11target_archE910ELNS1_3gpuE8ELNS1_3repE0EEENS1_30default_config_static_selectorELNS0_4arch9wavefront6targetE0EEEvT1_,"axG",@progbits,_ZN7rocprim17ROCPRIM_400000_NS6detail17trampoline_kernelINS0_14default_configENS1_35adjacent_difference_config_selectorILb1EfEEZNS1_24adjacent_difference_implIS3_Lb1ELb0EPfS7_N6thrust23THRUST_200600_302600_NS4plusIfEEEE10hipError_tPvRmT2_T3_mT4_P12ihipStream_tbEUlT_E_NS1_11comp_targetILNS1_3genE4ELNS1_11target_archE910ELNS1_3gpuE8ELNS1_3repE0EEENS1_30default_config_static_selectorELNS0_4arch9wavefront6targetE0EEEvT1_,comdat
.Lfunc_end98:
	.size	_ZN7rocprim17ROCPRIM_400000_NS6detail17trampoline_kernelINS0_14default_configENS1_35adjacent_difference_config_selectorILb1EfEEZNS1_24adjacent_difference_implIS3_Lb1ELb0EPfS7_N6thrust23THRUST_200600_302600_NS4plusIfEEEE10hipError_tPvRmT2_T3_mT4_P12ihipStream_tbEUlT_E_NS1_11comp_targetILNS1_3genE4ELNS1_11target_archE910ELNS1_3gpuE8ELNS1_3repE0EEENS1_30default_config_static_selectorELNS0_4arch9wavefront6targetE0EEEvT1_, .Lfunc_end98-_ZN7rocprim17ROCPRIM_400000_NS6detail17trampoline_kernelINS0_14default_configENS1_35adjacent_difference_config_selectorILb1EfEEZNS1_24adjacent_difference_implIS3_Lb1ELb0EPfS7_N6thrust23THRUST_200600_302600_NS4plusIfEEEE10hipError_tPvRmT2_T3_mT4_P12ihipStream_tbEUlT_E_NS1_11comp_targetILNS1_3genE4ELNS1_11target_archE910ELNS1_3gpuE8ELNS1_3repE0EEENS1_30default_config_static_selectorELNS0_4arch9wavefront6targetE0EEEvT1_
                                        ; -- End function
	.section	.AMDGPU.csdata,"",@progbits
; Kernel info:
; codeLenInByte = 0
; NumSgprs: 0
; NumVgprs: 0
; ScratchSize: 0
; MemoryBound: 0
; FloatMode: 240
; IeeeMode: 1
; LDSByteSize: 0 bytes/workgroup (compile time only)
; SGPRBlocks: 0
; VGPRBlocks: 0
; NumSGPRsForWavesPerEU: 1
; NumVGPRsForWavesPerEU: 1
; Occupancy: 16
; WaveLimiterHint : 0
; COMPUTE_PGM_RSRC2:SCRATCH_EN: 0
; COMPUTE_PGM_RSRC2:USER_SGPR: 15
; COMPUTE_PGM_RSRC2:TRAP_HANDLER: 0
; COMPUTE_PGM_RSRC2:TGID_X_EN: 1
; COMPUTE_PGM_RSRC2:TGID_Y_EN: 0
; COMPUTE_PGM_RSRC2:TGID_Z_EN: 0
; COMPUTE_PGM_RSRC2:TIDIG_COMP_CNT: 0
	.section	.text._ZN7rocprim17ROCPRIM_400000_NS6detail17trampoline_kernelINS0_14default_configENS1_35adjacent_difference_config_selectorILb1EfEEZNS1_24adjacent_difference_implIS3_Lb1ELb0EPfS7_N6thrust23THRUST_200600_302600_NS4plusIfEEEE10hipError_tPvRmT2_T3_mT4_P12ihipStream_tbEUlT_E_NS1_11comp_targetILNS1_3genE3ELNS1_11target_archE908ELNS1_3gpuE7ELNS1_3repE0EEENS1_30default_config_static_selectorELNS0_4arch9wavefront6targetE0EEEvT1_,"axG",@progbits,_ZN7rocprim17ROCPRIM_400000_NS6detail17trampoline_kernelINS0_14default_configENS1_35adjacent_difference_config_selectorILb1EfEEZNS1_24adjacent_difference_implIS3_Lb1ELb0EPfS7_N6thrust23THRUST_200600_302600_NS4plusIfEEEE10hipError_tPvRmT2_T3_mT4_P12ihipStream_tbEUlT_E_NS1_11comp_targetILNS1_3genE3ELNS1_11target_archE908ELNS1_3gpuE7ELNS1_3repE0EEENS1_30default_config_static_selectorELNS0_4arch9wavefront6targetE0EEEvT1_,comdat
	.protected	_ZN7rocprim17ROCPRIM_400000_NS6detail17trampoline_kernelINS0_14default_configENS1_35adjacent_difference_config_selectorILb1EfEEZNS1_24adjacent_difference_implIS3_Lb1ELb0EPfS7_N6thrust23THRUST_200600_302600_NS4plusIfEEEE10hipError_tPvRmT2_T3_mT4_P12ihipStream_tbEUlT_E_NS1_11comp_targetILNS1_3genE3ELNS1_11target_archE908ELNS1_3gpuE7ELNS1_3repE0EEENS1_30default_config_static_selectorELNS0_4arch9wavefront6targetE0EEEvT1_ ; -- Begin function _ZN7rocprim17ROCPRIM_400000_NS6detail17trampoline_kernelINS0_14default_configENS1_35adjacent_difference_config_selectorILb1EfEEZNS1_24adjacent_difference_implIS3_Lb1ELb0EPfS7_N6thrust23THRUST_200600_302600_NS4plusIfEEEE10hipError_tPvRmT2_T3_mT4_P12ihipStream_tbEUlT_E_NS1_11comp_targetILNS1_3genE3ELNS1_11target_archE908ELNS1_3gpuE7ELNS1_3repE0EEENS1_30default_config_static_selectorELNS0_4arch9wavefront6targetE0EEEvT1_
	.globl	_ZN7rocprim17ROCPRIM_400000_NS6detail17trampoline_kernelINS0_14default_configENS1_35adjacent_difference_config_selectorILb1EfEEZNS1_24adjacent_difference_implIS3_Lb1ELb0EPfS7_N6thrust23THRUST_200600_302600_NS4plusIfEEEE10hipError_tPvRmT2_T3_mT4_P12ihipStream_tbEUlT_E_NS1_11comp_targetILNS1_3genE3ELNS1_11target_archE908ELNS1_3gpuE7ELNS1_3repE0EEENS1_30default_config_static_selectorELNS0_4arch9wavefront6targetE0EEEvT1_
	.p2align	8
	.type	_ZN7rocprim17ROCPRIM_400000_NS6detail17trampoline_kernelINS0_14default_configENS1_35adjacent_difference_config_selectorILb1EfEEZNS1_24adjacent_difference_implIS3_Lb1ELb0EPfS7_N6thrust23THRUST_200600_302600_NS4plusIfEEEE10hipError_tPvRmT2_T3_mT4_P12ihipStream_tbEUlT_E_NS1_11comp_targetILNS1_3genE3ELNS1_11target_archE908ELNS1_3gpuE7ELNS1_3repE0EEENS1_30default_config_static_selectorELNS0_4arch9wavefront6targetE0EEEvT1_,@function
_ZN7rocprim17ROCPRIM_400000_NS6detail17trampoline_kernelINS0_14default_configENS1_35adjacent_difference_config_selectorILb1EfEEZNS1_24adjacent_difference_implIS3_Lb1ELb0EPfS7_N6thrust23THRUST_200600_302600_NS4plusIfEEEE10hipError_tPvRmT2_T3_mT4_P12ihipStream_tbEUlT_E_NS1_11comp_targetILNS1_3genE3ELNS1_11target_archE908ELNS1_3gpuE7ELNS1_3repE0EEENS1_30default_config_static_selectorELNS0_4arch9wavefront6targetE0EEEvT1_: ; @_ZN7rocprim17ROCPRIM_400000_NS6detail17trampoline_kernelINS0_14default_configENS1_35adjacent_difference_config_selectorILb1EfEEZNS1_24adjacent_difference_implIS3_Lb1ELb0EPfS7_N6thrust23THRUST_200600_302600_NS4plusIfEEEE10hipError_tPvRmT2_T3_mT4_P12ihipStream_tbEUlT_E_NS1_11comp_targetILNS1_3genE3ELNS1_11target_archE908ELNS1_3gpuE7ELNS1_3repE0EEENS1_30default_config_static_selectorELNS0_4arch9wavefront6targetE0EEEvT1_
; %bb.0:
	.section	.rodata,"a",@progbits
	.p2align	6, 0x0
	.amdhsa_kernel _ZN7rocprim17ROCPRIM_400000_NS6detail17trampoline_kernelINS0_14default_configENS1_35adjacent_difference_config_selectorILb1EfEEZNS1_24adjacent_difference_implIS3_Lb1ELb0EPfS7_N6thrust23THRUST_200600_302600_NS4plusIfEEEE10hipError_tPvRmT2_T3_mT4_P12ihipStream_tbEUlT_E_NS1_11comp_targetILNS1_3genE3ELNS1_11target_archE908ELNS1_3gpuE7ELNS1_3repE0EEENS1_30default_config_static_selectorELNS0_4arch9wavefront6targetE0EEEvT1_
		.amdhsa_group_segment_fixed_size 0
		.amdhsa_private_segment_fixed_size 0
		.amdhsa_kernarg_size 56
		.amdhsa_user_sgpr_count 15
		.amdhsa_user_sgpr_dispatch_ptr 0
		.amdhsa_user_sgpr_queue_ptr 0
		.amdhsa_user_sgpr_kernarg_segment_ptr 1
		.amdhsa_user_sgpr_dispatch_id 0
		.amdhsa_user_sgpr_private_segment_size 0
		.amdhsa_wavefront_size32 1
		.amdhsa_uses_dynamic_stack 0
		.amdhsa_enable_private_segment 0
		.amdhsa_system_sgpr_workgroup_id_x 1
		.amdhsa_system_sgpr_workgroup_id_y 0
		.amdhsa_system_sgpr_workgroup_id_z 0
		.amdhsa_system_sgpr_workgroup_info 0
		.amdhsa_system_vgpr_workitem_id 0
		.amdhsa_next_free_vgpr 1
		.amdhsa_next_free_sgpr 1
		.amdhsa_reserve_vcc 0
		.amdhsa_float_round_mode_32 0
		.amdhsa_float_round_mode_16_64 0
		.amdhsa_float_denorm_mode_32 3
		.amdhsa_float_denorm_mode_16_64 3
		.amdhsa_dx10_clamp 1
		.amdhsa_ieee_mode 1
		.amdhsa_fp16_overflow 0
		.amdhsa_workgroup_processor_mode 1
		.amdhsa_memory_ordered 1
		.amdhsa_forward_progress 0
		.amdhsa_shared_vgpr_count 0
		.amdhsa_exception_fp_ieee_invalid_op 0
		.amdhsa_exception_fp_denorm_src 0
		.amdhsa_exception_fp_ieee_div_zero 0
		.amdhsa_exception_fp_ieee_overflow 0
		.amdhsa_exception_fp_ieee_underflow 0
		.amdhsa_exception_fp_ieee_inexact 0
		.amdhsa_exception_int_div_zero 0
	.end_amdhsa_kernel
	.section	.text._ZN7rocprim17ROCPRIM_400000_NS6detail17trampoline_kernelINS0_14default_configENS1_35adjacent_difference_config_selectorILb1EfEEZNS1_24adjacent_difference_implIS3_Lb1ELb0EPfS7_N6thrust23THRUST_200600_302600_NS4plusIfEEEE10hipError_tPvRmT2_T3_mT4_P12ihipStream_tbEUlT_E_NS1_11comp_targetILNS1_3genE3ELNS1_11target_archE908ELNS1_3gpuE7ELNS1_3repE0EEENS1_30default_config_static_selectorELNS0_4arch9wavefront6targetE0EEEvT1_,"axG",@progbits,_ZN7rocprim17ROCPRIM_400000_NS6detail17trampoline_kernelINS0_14default_configENS1_35adjacent_difference_config_selectorILb1EfEEZNS1_24adjacent_difference_implIS3_Lb1ELb0EPfS7_N6thrust23THRUST_200600_302600_NS4plusIfEEEE10hipError_tPvRmT2_T3_mT4_P12ihipStream_tbEUlT_E_NS1_11comp_targetILNS1_3genE3ELNS1_11target_archE908ELNS1_3gpuE7ELNS1_3repE0EEENS1_30default_config_static_selectorELNS0_4arch9wavefront6targetE0EEEvT1_,comdat
.Lfunc_end99:
	.size	_ZN7rocprim17ROCPRIM_400000_NS6detail17trampoline_kernelINS0_14default_configENS1_35adjacent_difference_config_selectorILb1EfEEZNS1_24adjacent_difference_implIS3_Lb1ELb0EPfS7_N6thrust23THRUST_200600_302600_NS4plusIfEEEE10hipError_tPvRmT2_T3_mT4_P12ihipStream_tbEUlT_E_NS1_11comp_targetILNS1_3genE3ELNS1_11target_archE908ELNS1_3gpuE7ELNS1_3repE0EEENS1_30default_config_static_selectorELNS0_4arch9wavefront6targetE0EEEvT1_, .Lfunc_end99-_ZN7rocprim17ROCPRIM_400000_NS6detail17trampoline_kernelINS0_14default_configENS1_35adjacent_difference_config_selectorILb1EfEEZNS1_24adjacent_difference_implIS3_Lb1ELb0EPfS7_N6thrust23THRUST_200600_302600_NS4plusIfEEEE10hipError_tPvRmT2_T3_mT4_P12ihipStream_tbEUlT_E_NS1_11comp_targetILNS1_3genE3ELNS1_11target_archE908ELNS1_3gpuE7ELNS1_3repE0EEENS1_30default_config_static_selectorELNS0_4arch9wavefront6targetE0EEEvT1_
                                        ; -- End function
	.section	.AMDGPU.csdata,"",@progbits
; Kernel info:
; codeLenInByte = 0
; NumSgprs: 0
; NumVgprs: 0
; ScratchSize: 0
; MemoryBound: 0
; FloatMode: 240
; IeeeMode: 1
; LDSByteSize: 0 bytes/workgroup (compile time only)
; SGPRBlocks: 0
; VGPRBlocks: 0
; NumSGPRsForWavesPerEU: 1
; NumVGPRsForWavesPerEU: 1
; Occupancy: 16
; WaveLimiterHint : 0
; COMPUTE_PGM_RSRC2:SCRATCH_EN: 0
; COMPUTE_PGM_RSRC2:USER_SGPR: 15
; COMPUTE_PGM_RSRC2:TRAP_HANDLER: 0
; COMPUTE_PGM_RSRC2:TGID_X_EN: 1
; COMPUTE_PGM_RSRC2:TGID_Y_EN: 0
; COMPUTE_PGM_RSRC2:TGID_Z_EN: 0
; COMPUTE_PGM_RSRC2:TIDIG_COMP_CNT: 0
	.section	.text._ZN7rocprim17ROCPRIM_400000_NS6detail17trampoline_kernelINS0_14default_configENS1_35adjacent_difference_config_selectorILb1EfEEZNS1_24adjacent_difference_implIS3_Lb1ELb0EPfS7_N6thrust23THRUST_200600_302600_NS4plusIfEEEE10hipError_tPvRmT2_T3_mT4_P12ihipStream_tbEUlT_E_NS1_11comp_targetILNS1_3genE2ELNS1_11target_archE906ELNS1_3gpuE6ELNS1_3repE0EEENS1_30default_config_static_selectorELNS0_4arch9wavefront6targetE0EEEvT1_,"axG",@progbits,_ZN7rocprim17ROCPRIM_400000_NS6detail17trampoline_kernelINS0_14default_configENS1_35adjacent_difference_config_selectorILb1EfEEZNS1_24adjacent_difference_implIS3_Lb1ELb0EPfS7_N6thrust23THRUST_200600_302600_NS4plusIfEEEE10hipError_tPvRmT2_T3_mT4_P12ihipStream_tbEUlT_E_NS1_11comp_targetILNS1_3genE2ELNS1_11target_archE906ELNS1_3gpuE6ELNS1_3repE0EEENS1_30default_config_static_selectorELNS0_4arch9wavefront6targetE0EEEvT1_,comdat
	.protected	_ZN7rocprim17ROCPRIM_400000_NS6detail17trampoline_kernelINS0_14default_configENS1_35adjacent_difference_config_selectorILb1EfEEZNS1_24adjacent_difference_implIS3_Lb1ELb0EPfS7_N6thrust23THRUST_200600_302600_NS4plusIfEEEE10hipError_tPvRmT2_T3_mT4_P12ihipStream_tbEUlT_E_NS1_11comp_targetILNS1_3genE2ELNS1_11target_archE906ELNS1_3gpuE6ELNS1_3repE0EEENS1_30default_config_static_selectorELNS0_4arch9wavefront6targetE0EEEvT1_ ; -- Begin function _ZN7rocprim17ROCPRIM_400000_NS6detail17trampoline_kernelINS0_14default_configENS1_35adjacent_difference_config_selectorILb1EfEEZNS1_24adjacent_difference_implIS3_Lb1ELb0EPfS7_N6thrust23THRUST_200600_302600_NS4plusIfEEEE10hipError_tPvRmT2_T3_mT4_P12ihipStream_tbEUlT_E_NS1_11comp_targetILNS1_3genE2ELNS1_11target_archE906ELNS1_3gpuE6ELNS1_3repE0EEENS1_30default_config_static_selectorELNS0_4arch9wavefront6targetE0EEEvT1_
	.globl	_ZN7rocprim17ROCPRIM_400000_NS6detail17trampoline_kernelINS0_14default_configENS1_35adjacent_difference_config_selectorILb1EfEEZNS1_24adjacent_difference_implIS3_Lb1ELb0EPfS7_N6thrust23THRUST_200600_302600_NS4plusIfEEEE10hipError_tPvRmT2_T3_mT4_P12ihipStream_tbEUlT_E_NS1_11comp_targetILNS1_3genE2ELNS1_11target_archE906ELNS1_3gpuE6ELNS1_3repE0EEENS1_30default_config_static_selectorELNS0_4arch9wavefront6targetE0EEEvT1_
	.p2align	8
	.type	_ZN7rocprim17ROCPRIM_400000_NS6detail17trampoline_kernelINS0_14default_configENS1_35adjacent_difference_config_selectorILb1EfEEZNS1_24adjacent_difference_implIS3_Lb1ELb0EPfS7_N6thrust23THRUST_200600_302600_NS4plusIfEEEE10hipError_tPvRmT2_T3_mT4_P12ihipStream_tbEUlT_E_NS1_11comp_targetILNS1_3genE2ELNS1_11target_archE906ELNS1_3gpuE6ELNS1_3repE0EEENS1_30default_config_static_selectorELNS0_4arch9wavefront6targetE0EEEvT1_,@function
_ZN7rocprim17ROCPRIM_400000_NS6detail17trampoline_kernelINS0_14default_configENS1_35adjacent_difference_config_selectorILb1EfEEZNS1_24adjacent_difference_implIS3_Lb1ELb0EPfS7_N6thrust23THRUST_200600_302600_NS4plusIfEEEE10hipError_tPvRmT2_T3_mT4_P12ihipStream_tbEUlT_E_NS1_11comp_targetILNS1_3genE2ELNS1_11target_archE906ELNS1_3gpuE6ELNS1_3repE0EEENS1_30default_config_static_selectorELNS0_4arch9wavefront6targetE0EEEvT1_: ; @_ZN7rocprim17ROCPRIM_400000_NS6detail17trampoline_kernelINS0_14default_configENS1_35adjacent_difference_config_selectorILb1EfEEZNS1_24adjacent_difference_implIS3_Lb1ELb0EPfS7_N6thrust23THRUST_200600_302600_NS4plusIfEEEE10hipError_tPvRmT2_T3_mT4_P12ihipStream_tbEUlT_E_NS1_11comp_targetILNS1_3genE2ELNS1_11target_archE906ELNS1_3gpuE6ELNS1_3repE0EEENS1_30default_config_static_selectorELNS0_4arch9wavefront6targetE0EEEvT1_
; %bb.0:
	.section	.rodata,"a",@progbits
	.p2align	6, 0x0
	.amdhsa_kernel _ZN7rocprim17ROCPRIM_400000_NS6detail17trampoline_kernelINS0_14default_configENS1_35adjacent_difference_config_selectorILb1EfEEZNS1_24adjacent_difference_implIS3_Lb1ELb0EPfS7_N6thrust23THRUST_200600_302600_NS4plusIfEEEE10hipError_tPvRmT2_T3_mT4_P12ihipStream_tbEUlT_E_NS1_11comp_targetILNS1_3genE2ELNS1_11target_archE906ELNS1_3gpuE6ELNS1_3repE0EEENS1_30default_config_static_selectorELNS0_4arch9wavefront6targetE0EEEvT1_
		.amdhsa_group_segment_fixed_size 0
		.amdhsa_private_segment_fixed_size 0
		.amdhsa_kernarg_size 56
		.amdhsa_user_sgpr_count 15
		.amdhsa_user_sgpr_dispatch_ptr 0
		.amdhsa_user_sgpr_queue_ptr 0
		.amdhsa_user_sgpr_kernarg_segment_ptr 1
		.amdhsa_user_sgpr_dispatch_id 0
		.amdhsa_user_sgpr_private_segment_size 0
		.amdhsa_wavefront_size32 1
		.amdhsa_uses_dynamic_stack 0
		.amdhsa_enable_private_segment 0
		.amdhsa_system_sgpr_workgroup_id_x 1
		.amdhsa_system_sgpr_workgroup_id_y 0
		.amdhsa_system_sgpr_workgroup_id_z 0
		.amdhsa_system_sgpr_workgroup_info 0
		.amdhsa_system_vgpr_workitem_id 0
		.amdhsa_next_free_vgpr 1
		.amdhsa_next_free_sgpr 1
		.amdhsa_reserve_vcc 0
		.amdhsa_float_round_mode_32 0
		.amdhsa_float_round_mode_16_64 0
		.amdhsa_float_denorm_mode_32 3
		.amdhsa_float_denorm_mode_16_64 3
		.amdhsa_dx10_clamp 1
		.amdhsa_ieee_mode 1
		.amdhsa_fp16_overflow 0
		.amdhsa_workgroup_processor_mode 1
		.amdhsa_memory_ordered 1
		.amdhsa_forward_progress 0
		.amdhsa_shared_vgpr_count 0
		.amdhsa_exception_fp_ieee_invalid_op 0
		.amdhsa_exception_fp_denorm_src 0
		.amdhsa_exception_fp_ieee_div_zero 0
		.amdhsa_exception_fp_ieee_overflow 0
		.amdhsa_exception_fp_ieee_underflow 0
		.amdhsa_exception_fp_ieee_inexact 0
		.amdhsa_exception_int_div_zero 0
	.end_amdhsa_kernel
	.section	.text._ZN7rocprim17ROCPRIM_400000_NS6detail17trampoline_kernelINS0_14default_configENS1_35adjacent_difference_config_selectorILb1EfEEZNS1_24adjacent_difference_implIS3_Lb1ELb0EPfS7_N6thrust23THRUST_200600_302600_NS4plusIfEEEE10hipError_tPvRmT2_T3_mT4_P12ihipStream_tbEUlT_E_NS1_11comp_targetILNS1_3genE2ELNS1_11target_archE906ELNS1_3gpuE6ELNS1_3repE0EEENS1_30default_config_static_selectorELNS0_4arch9wavefront6targetE0EEEvT1_,"axG",@progbits,_ZN7rocprim17ROCPRIM_400000_NS6detail17trampoline_kernelINS0_14default_configENS1_35adjacent_difference_config_selectorILb1EfEEZNS1_24adjacent_difference_implIS3_Lb1ELb0EPfS7_N6thrust23THRUST_200600_302600_NS4plusIfEEEE10hipError_tPvRmT2_T3_mT4_P12ihipStream_tbEUlT_E_NS1_11comp_targetILNS1_3genE2ELNS1_11target_archE906ELNS1_3gpuE6ELNS1_3repE0EEENS1_30default_config_static_selectorELNS0_4arch9wavefront6targetE0EEEvT1_,comdat
.Lfunc_end100:
	.size	_ZN7rocprim17ROCPRIM_400000_NS6detail17trampoline_kernelINS0_14default_configENS1_35adjacent_difference_config_selectorILb1EfEEZNS1_24adjacent_difference_implIS3_Lb1ELb0EPfS7_N6thrust23THRUST_200600_302600_NS4plusIfEEEE10hipError_tPvRmT2_T3_mT4_P12ihipStream_tbEUlT_E_NS1_11comp_targetILNS1_3genE2ELNS1_11target_archE906ELNS1_3gpuE6ELNS1_3repE0EEENS1_30default_config_static_selectorELNS0_4arch9wavefront6targetE0EEEvT1_, .Lfunc_end100-_ZN7rocprim17ROCPRIM_400000_NS6detail17trampoline_kernelINS0_14default_configENS1_35adjacent_difference_config_selectorILb1EfEEZNS1_24adjacent_difference_implIS3_Lb1ELb0EPfS7_N6thrust23THRUST_200600_302600_NS4plusIfEEEE10hipError_tPvRmT2_T3_mT4_P12ihipStream_tbEUlT_E_NS1_11comp_targetILNS1_3genE2ELNS1_11target_archE906ELNS1_3gpuE6ELNS1_3repE0EEENS1_30default_config_static_selectorELNS0_4arch9wavefront6targetE0EEEvT1_
                                        ; -- End function
	.section	.AMDGPU.csdata,"",@progbits
; Kernel info:
; codeLenInByte = 0
; NumSgprs: 0
; NumVgprs: 0
; ScratchSize: 0
; MemoryBound: 0
; FloatMode: 240
; IeeeMode: 1
; LDSByteSize: 0 bytes/workgroup (compile time only)
; SGPRBlocks: 0
; VGPRBlocks: 0
; NumSGPRsForWavesPerEU: 1
; NumVGPRsForWavesPerEU: 1
; Occupancy: 16
; WaveLimiterHint : 0
; COMPUTE_PGM_RSRC2:SCRATCH_EN: 0
; COMPUTE_PGM_RSRC2:USER_SGPR: 15
; COMPUTE_PGM_RSRC2:TRAP_HANDLER: 0
; COMPUTE_PGM_RSRC2:TGID_X_EN: 1
; COMPUTE_PGM_RSRC2:TGID_Y_EN: 0
; COMPUTE_PGM_RSRC2:TGID_Z_EN: 0
; COMPUTE_PGM_RSRC2:TIDIG_COMP_CNT: 0
	.section	.text._ZN7rocprim17ROCPRIM_400000_NS6detail17trampoline_kernelINS0_14default_configENS1_35adjacent_difference_config_selectorILb1EfEEZNS1_24adjacent_difference_implIS3_Lb1ELb0EPfS7_N6thrust23THRUST_200600_302600_NS4plusIfEEEE10hipError_tPvRmT2_T3_mT4_P12ihipStream_tbEUlT_E_NS1_11comp_targetILNS1_3genE9ELNS1_11target_archE1100ELNS1_3gpuE3ELNS1_3repE0EEENS1_30default_config_static_selectorELNS0_4arch9wavefront6targetE0EEEvT1_,"axG",@progbits,_ZN7rocprim17ROCPRIM_400000_NS6detail17trampoline_kernelINS0_14default_configENS1_35adjacent_difference_config_selectorILb1EfEEZNS1_24adjacent_difference_implIS3_Lb1ELb0EPfS7_N6thrust23THRUST_200600_302600_NS4plusIfEEEE10hipError_tPvRmT2_T3_mT4_P12ihipStream_tbEUlT_E_NS1_11comp_targetILNS1_3genE9ELNS1_11target_archE1100ELNS1_3gpuE3ELNS1_3repE0EEENS1_30default_config_static_selectorELNS0_4arch9wavefront6targetE0EEEvT1_,comdat
	.protected	_ZN7rocprim17ROCPRIM_400000_NS6detail17trampoline_kernelINS0_14default_configENS1_35adjacent_difference_config_selectorILb1EfEEZNS1_24adjacent_difference_implIS3_Lb1ELb0EPfS7_N6thrust23THRUST_200600_302600_NS4plusIfEEEE10hipError_tPvRmT2_T3_mT4_P12ihipStream_tbEUlT_E_NS1_11comp_targetILNS1_3genE9ELNS1_11target_archE1100ELNS1_3gpuE3ELNS1_3repE0EEENS1_30default_config_static_selectorELNS0_4arch9wavefront6targetE0EEEvT1_ ; -- Begin function _ZN7rocprim17ROCPRIM_400000_NS6detail17trampoline_kernelINS0_14default_configENS1_35adjacent_difference_config_selectorILb1EfEEZNS1_24adjacent_difference_implIS3_Lb1ELb0EPfS7_N6thrust23THRUST_200600_302600_NS4plusIfEEEE10hipError_tPvRmT2_T3_mT4_P12ihipStream_tbEUlT_E_NS1_11comp_targetILNS1_3genE9ELNS1_11target_archE1100ELNS1_3gpuE3ELNS1_3repE0EEENS1_30default_config_static_selectorELNS0_4arch9wavefront6targetE0EEEvT1_
	.globl	_ZN7rocprim17ROCPRIM_400000_NS6detail17trampoline_kernelINS0_14default_configENS1_35adjacent_difference_config_selectorILb1EfEEZNS1_24adjacent_difference_implIS3_Lb1ELb0EPfS7_N6thrust23THRUST_200600_302600_NS4plusIfEEEE10hipError_tPvRmT2_T3_mT4_P12ihipStream_tbEUlT_E_NS1_11comp_targetILNS1_3genE9ELNS1_11target_archE1100ELNS1_3gpuE3ELNS1_3repE0EEENS1_30default_config_static_selectorELNS0_4arch9wavefront6targetE0EEEvT1_
	.p2align	8
	.type	_ZN7rocprim17ROCPRIM_400000_NS6detail17trampoline_kernelINS0_14default_configENS1_35adjacent_difference_config_selectorILb1EfEEZNS1_24adjacent_difference_implIS3_Lb1ELb0EPfS7_N6thrust23THRUST_200600_302600_NS4plusIfEEEE10hipError_tPvRmT2_T3_mT4_P12ihipStream_tbEUlT_E_NS1_11comp_targetILNS1_3genE9ELNS1_11target_archE1100ELNS1_3gpuE3ELNS1_3repE0EEENS1_30default_config_static_selectorELNS0_4arch9wavefront6targetE0EEEvT1_,@function
_ZN7rocprim17ROCPRIM_400000_NS6detail17trampoline_kernelINS0_14default_configENS1_35adjacent_difference_config_selectorILb1EfEEZNS1_24adjacent_difference_implIS3_Lb1ELb0EPfS7_N6thrust23THRUST_200600_302600_NS4plusIfEEEE10hipError_tPvRmT2_T3_mT4_P12ihipStream_tbEUlT_E_NS1_11comp_targetILNS1_3genE9ELNS1_11target_archE1100ELNS1_3gpuE3ELNS1_3repE0EEENS1_30default_config_static_selectorELNS0_4arch9wavefront6targetE0EEEvT1_: ; @_ZN7rocprim17ROCPRIM_400000_NS6detail17trampoline_kernelINS0_14default_configENS1_35adjacent_difference_config_selectorILb1EfEEZNS1_24adjacent_difference_implIS3_Lb1ELb0EPfS7_N6thrust23THRUST_200600_302600_NS4plusIfEEEE10hipError_tPvRmT2_T3_mT4_P12ihipStream_tbEUlT_E_NS1_11comp_targetILNS1_3genE9ELNS1_11target_archE1100ELNS1_3gpuE3ELNS1_3repE0EEENS1_30default_config_static_selectorELNS0_4arch9wavefront6targetE0EEEvT1_
; %bb.0:
	s_load_b256 s[36:43], s[0:1], 0x0
	s_mov_b32 s2, 0x411a7a30
	s_mov_b32 s8, s15
	s_delay_alu instid0(SALU_CYCLE_1) | instskip(SKIP_2) | instid1(SALU_CYCLE_1)
	s_mul_i32 s30, s8, 0xe80
	s_waitcnt lgkmcnt(0)
	s_lshl_b64 s[34:35], s[38:39], 2
	s_add_u32 s14, s36, s34
	s_addc_u32 s15, s37, s35
	s_add_u32 s2, 0x76, s2
	s_addc_u32 s3, 0, 0
	v_add_co_u32 v1, s2, 0x20000000, s2
	s_delay_alu instid0(VALU_DEP_1) | instskip(SKIP_1) | instid1(VALU_DEP_1)
	s_cmp_lg_u32 s2, 0
	s_addc_u32 s3, s3, 0x11a7b9
	v_readfirstlane_b32 s2, v1
	s_mul_i32 s4, s3, 0xfffff180
	s_delay_alu instid0(VALU_DEP_1)
	s_mul_hi_u32 s5, s2, 0xfffff180
	s_mul_i32 s6, s2, 0xfffff180
	s_sub_i32 s5, s5, s2
	s_mul_hi_u32 s7, s2, s6
	s_add_i32 s5, s5, s4
	s_mul_hi_u32 s9, s3, s6
	s_mul_i32 s4, s3, s6
	s_mul_hi_u32 s6, s2, s5
	s_mul_i32 s2, s2, s5
	s_mul_hi_u32 s10, s3, s5
	s_add_u32 s2, s7, s2
	s_addc_u32 s6, 0, s6
	s_add_u32 s2, s2, s4
	s_mul_i32 s5, s3, s5
	s_addc_u32 s2, s6, s9
	s_addc_u32 s4, s10, 0
	s_add_u32 s2, s2, s5
	s_addc_u32 s4, 0, s4
	v_add_co_u32 v1, s2, v1, s2
	s_delay_alu instid0(VALU_DEP_1) | instskip(SKIP_1) | instid1(VALU_DEP_1)
	s_cmp_lg_u32 s2, 0
	s_addc_u32 s2, s3, s4
	v_readfirstlane_b32 s3, v1
	s_mul_i32 s5, s42, s2
	s_mul_hi_u32 s4, s42, s2
	s_mul_hi_u32 s6, s43, s2
	s_mul_i32 s2, s43, s2
	s_mul_hi_u32 s7, s42, s3
	s_mul_hi_u32 s9, s43, s3
	s_mul_i32 s3, s43, s3
	s_add_u32 s5, s7, s5
	s_addc_u32 s4, 0, s4
	s_add_u32 s3, s5, s3
	s_addc_u32 s3, s4, s9
	s_addc_u32 s4, s6, 0
	s_add_u32 s5, s3, s2
	s_addc_u32 s4, 0, s4
	s_mul_i32 s3, s5, 0xe80
	s_add_u32 s2, s5, 1
	v_sub_co_u32 v1, s3, s42, s3
	s_mul_hi_u32 s6, s5, 0xe80
	s_addc_u32 s7, s4, 0
	s_mul_i32 s9, s4, 0xe80
	s_delay_alu instid0(VALU_DEP_1)
	v_subrev_co_u32 v2, s10, 0xe80, v1
	s_add_u32 s11, s5, 2
	s_addc_u32 s12, s4, 0
	s_add_i32 s6, s6, s9
	s_cmp_lg_u32 s3, 0
	v_readfirstlane_b32 s3, v2
	s_subb_u32 s6, s43, s6
	s_cmp_lg_u32 s10, 0
	s_subb_u32 s9, s6, 0
	s_delay_alu instid0(VALU_DEP_1) | instskip(SKIP_4) | instid1(SALU_CYCLE_1)
	s_cmpk_gt_u32 s3, 0xe7f
	s_cselect_b32 s3, -1, 0
	s_cmp_eq_u32 s9, 0
	v_readfirstlane_b32 s9, v1
	s_cselect_b32 s3, s3, -1
	s_cmp_lg_u32 s3, 0
	s_cselect_b32 s10, s11, s2
	s_cselect_b32 s7, s12, s7
	s_cmpk_gt_u32 s9, 0xe7f
	s_mov_b32 s12, -1
	s_cselect_b32 s2, -1, 0
	s_cmp_eq_u32 s6, 0
	s_cselect_b32 s2, s2, -1
	s_delay_alu instid0(SALU_CYCLE_1)
	s_cmp_lg_u32 s2, 0
	s_load_b128 s[0:3], s[0:1], 0x28
	s_cselect_b32 s6, s7, s4
	s_cselect_b32 s7, s10, s5
	s_mul_i32 s4, s6, 0xe80
	s_mul_hi_u32 s5, s7, 0xe80
	s_mul_i32 s9, s7, 0xe80
	s_add_i32 s5, s5, s4
	s_sub_u32 s4, s42, s9
	s_subb_u32 s5, s43, s5
	s_mov_b32 s9, 0
	s_cmp_lg_u64 s[4:5], 0
	s_cselect_b32 s4, -1, 0
	s_delay_alu instid0(SALU_CYCLE_1) | instskip(NEXT) | instid1(VALU_DEP_1)
	v_cndmask_b32_e64 v1, 0, 1, s4
	v_readfirstlane_b32 s4, v1
	s_delay_alu instid0(VALU_DEP_1)
	s_add_u32 s4, s7, s4
	s_addc_u32 s5, s6, 0
	s_waitcnt lgkmcnt(0)
	s_add_u32 s6, s2, s8
	s_addc_u32 s7, s3, 0
	s_add_u32 s10, s4, -1
	s_addc_u32 s11, s5, -1
	s_mul_i32 s29, s10, 0xfffff180
	v_cmp_ge_u64_e64 s33, s[6:7], s[10:11]
	s_delay_alu instid0(VALU_DEP_1)
	s_and_b32 vcc_lo, exec_lo, s33
	s_cbranch_vccz .LBB101_60
; %bb.1:
	s_mov_b32 s31, s9
	s_add_i32 s16, s29, s42
	s_lshl_b64 s[12:13], s[30:31], 2
	s_mov_b32 s17, exec_lo
	s_add_u32 s12, s14, s12
	s_addc_u32 s13, s15, s13
                                        ; implicit-def: $vgpr1
	v_cmpx_gt_u32_e64 s16, v0
	s_cbranch_execz .LBB101_3
; %bb.2:
	v_lshlrev_b32_e32 v1, 2, v0
	global_load_b32 v1, v1, s[12:13]
.LBB101_3:
	s_or_b32 exec_lo, exec_lo, s17
	v_or_b32_e32 v2, 0x80, v0
	s_delay_alu instid0(VALU_DEP_1)
	v_cmp_gt_u32_e32 vcc_lo, s16, v2
                                        ; implicit-def: $vgpr2
	s_and_saveexec_b32 s17, vcc_lo
	s_cbranch_execz .LBB101_5
; %bb.4:
	v_lshlrev_b32_e32 v2, 2, v0
	global_load_b32 v2, v2, s[12:13] offset:512
.LBB101_5:
	s_or_b32 exec_lo, exec_lo, s17
	v_or_b32_e32 v3, 0x100, v0
	s_delay_alu instid0(VALU_DEP_1)
	v_cmp_gt_u32_e32 vcc_lo, s16, v3
                                        ; implicit-def: $vgpr3
	s_and_saveexec_b32 s17, vcc_lo
	s_cbranch_execz .LBB101_7
; %bb.6:
	v_lshlrev_b32_e32 v3, 2, v0
	global_load_b32 v3, v3, s[12:13] offset:1024
.LBB101_7:
	s_or_b32 exec_lo, exec_lo, s17
	v_or_b32_e32 v4, 0x180, v0
	s_delay_alu instid0(VALU_DEP_1)
	v_cmp_gt_u32_e32 vcc_lo, s16, v4
                                        ; implicit-def: $vgpr4
	s_and_saveexec_b32 s17, vcc_lo
	s_cbranch_execz .LBB101_9
; %bb.8:
	v_lshlrev_b32_e32 v4, 2, v0
	global_load_b32 v4, v4, s[12:13] offset:1536
.LBB101_9:
	s_or_b32 exec_lo, exec_lo, s17
	v_or_b32_e32 v5, 0x200, v0
	s_delay_alu instid0(VALU_DEP_1)
	v_cmp_gt_u32_e32 vcc_lo, s16, v5
                                        ; implicit-def: $vgpr5
	s_and_saveexec_b32 s17, vcc_lo
	s_cbranch_execz .LBB101_11
; %bb.10:
	v_lshlrev_b32_e32 v5, 2, v0
	global_load_b32 v5, v5, s[12:13] offset:2048
.LBB101_11:
	s_or_b32 exec_lo, exec_lo, s17
	v_or_b32_e32 v6, 0x280, v0
	s_delay_alu instid0(VALU_DEP_1)
	v_cmp_gt_u32_e32 vcc_lo, s16, v6
                                        ; implicit-def: $vgpr6
	s_and_saveexec_b32 s17, vcc_lo
	s_cbranch_execz .LBB101_13
; %bb.12:
	v_lshlrev_b32_e32 v6, 2, v0
	global_load_b32 v6, v6, s[12:13] offset:2560
.LBB101_13:
	s_or_b32 exec_lo, exec_lo, s17
	v_or_b32_e32 v7, 0x300, v0
	s_delay_alu instid0(VALU_DEP_1)
	v_cmp_gt_u32_e32 vcc_lo, s16, v7
                                        ; implicit-def: $vgpr7
	s_and_saveexec_b32 s17, vcc_lo
	s_cbranch_execz .LBB101_15
; %bb.14:
	v_lshlrev_b32_e32 v7, 2, v0
	global_load_b32 v7, v7, s[12:13] offset:3072
.LBB101_15:
	s_or_b32 exec_lo, exec_lo, s17
	v_or_b32_e32 v8, 0x380, v0
	s_delay_alu instid0(VALU_DEP_1)
	v_cmp_gt_u32_e32 vcc_lo, s16, v8
                                        ; implicit-def: $vgpr8
	s_and_saveexec_b32 s17, vcc_lo
	s_cbranch_execz .LBB101_17
; %bb.16:
	v_lshlrev_b32_e32 v8, 2, v0
	global_load_b32 v8, v8, s[12:13] offset:3584
.LBB101_17:
	s_or_b32 exec_lo, exec_lo, s17
	v_or_b32_e32 v10, 0x400, v0
	s_mov_b32 s17, exec_lo
                                        ; implicit-def: $vgpr9
	s_delay_alu instid0(VALU_DEP_1)
	v_cmpx_gt_u32_e64 s16, v10
	s_cbranch_execz .LBB101_19
; %bb.18:
	v_lshlrev_b32_e32 v9, 2, v10
	global_load_b32 v9, v9, s[12:13]
.LBB101_19:
	s_or_b32 exec_lo, exec_lo, s17
	v_or_b32_e32 v11, 0x480, v0
	s_mov_b32 s17, exec_lo
                                        ; implicit-def: $vgpr10
	s_delay_alu instid0(VALU_DEP_1)
	v_cmpx_gt_u32_e64 s16, v11
	s_cbranch_execz .LBB101_21
; %bb.20:
	v_lshlrev_b32_e32 v10, 2, v11
	global_load_b32 v10, v10, s[12:13]
.LBB101_21:
	s_or_b32 exec_lo, exec_lo, s17
	v_or_b32_e32 v12, 0x500, v0
	s_mov_b32 s17, exec_lo
                                        ; implicit-def: $vgpr11
	s_delay_alu instid0(VALU_DEP_1)
	v_cmpx_gt_u32_e64 s16, v12
	s_cbranch_execz .LBB101_23
; %bb.22:
	v_lshlrev_b32_e32 v11, 2, v12
	global_load_b32 v11, v11, s[12:13]
.LBB101_23:
	s_or_b32 exec_lo, exec_lo, s17
	v_or_b32_e32 v13, 0x580, v0
	s_mov_b32 s17, exec_lo
                                        ; implicit-def: $vgpr12
	s_delay_alu instid0(VALU_DEP_1)
	v_cmpx_gt_u32_e64 s16, v13
	s_cbranch_execz .LBB101_25
; %bb.24:
	v_lshlrev_b32_e32 v12, 2, v13
	global_load_b32 v12, v12, s[12:13]
.LBB101_25:
	s_or_b32 exec_lo, exec_lo, s17
	v_or_b32_e32 v14, 0x600, v0
	s_mov_b32 s17, exec_lo
                                        ; implicit-def: $vgpr13
	s_delay_alu instid0(VALU_DEP_1)
	v_cmpx_gt_u32_e64 s16, v14
	s_cbranch_execz .LBB101_27
; %bb.26:
	v_lshlrev_b32_e32 v13, 2, v14
	global_load_b32 v13, v13, s[12:13]
.LBB101_27:
	s_or_b32 exec_lo, exec_lo, s17
	v_or_b32_e32 v15, 0x680, v0
	s_mov_b32 s17, exec_lo
                                        ; implicit-def: $vgpr14
	s_delay_alu instid0(VALU_DEP_1)
	v_cmpx_gt_u32_e64 s16, v15
	s_cbranch_execz .LBB101_29
; %bb.28:
	v_lshlrev_b32_e32 v14, 2, v15
	global_load_b32 v14, v14, s[12:13]
.LBB101_29:
	s_or_b32 exec_lo, exec_lo, s17
	v_or_b32_e32 v16, 0x700, v0
	s_mov_b32 s17, exec_lo
                                        ; implicit-def: $vgpr15
	s_delay_alu instid0(VALU_DEP_1)
	v_cmpx_gt_u32_e64 s16, v16
	s_cbranch_execz .LBB101_31
; %bb.30:
	v_lshlrev_b32_e32 v15, 2, v16
	global_load_b32 v15, v15, s[12:13]
.LBB101_31:
	s_or_b32 exec_lo, exec_lo, s17
	v_or_b32_e32 v17, 0x780, v0
	s_mov_b32 s17, exec_lo
                                        ; implicit-def: $vgpr16
	s_delay_alu instid0(VALU_DEP_1)
	v_cmpx_gt_u32_e64 s16, v17
	s_cbranch_execz .LBB101_33
; %bb.32:
	v_lshlrev_b32_e32 v16, 2, v17
	global_load_b32 v16, v16, s[12:13]
.LBB101_33:
	s_or_b32 exec_lo, exec_lo, s17
	v_or_b32_e32 v18, 0x800, v0
	s_mov_b32 s17, exec_lo
                                        ; implicit-def: $vgpr17
	s_delay_alu instid0(VALU_DEP_1)
	v_cmpx_gt_u32_e64 s16, v18
	s_cbranch_execz .LBB101_35
; %bb.34:
	v_lshlrev_b32_e32 v17, 2, v18
	global_load_b32 v17, v17, s[12:13]
.LBB101_35:
	s_or_b32 exec_lo, exec_lo, s17
	v_or_b32_e32 v19, 0x880, v0
	s_mov_b32 s17, exec_lo
                                        ; implicit-def: $vgpr18
	s_delay_alu instid0(VALU_DEP_1)
	v_cmpx_gt_u32_e64 s16, v19
	s_cbranch_execz .LBB101_37
; %bb.36:
	v_lshlrev_b32_e32 v18, 2, v19
	global_load_b32 v18, v18, s[12:13]
.LBB101_37:
	s_or_b32 exec_lo, exec_lo, s17
	v_or_b32_e32 v20, 0x900, v0
	s_mov_b32 s17, exec_lo
                                        ; implicit-def: $vgpr19
	s_delay_alu instid0(VALU_DEP_1)
	v_cmpx_gt_u32_e64 s16, v20
	s_cbranch_execz .LBB101_39
; %bb.38:
	v_lshlrev_b32_e32 v19, 2, v20
	global_load_b32 v19, v19, s[12:13]
.LBB101_39:
	s_or_b32 exec_lo, exec_lo, s17
	v_or_b32_e32 v21, 0x980, v0
	s_mov_b32 s17, exec_lo
                                        ; implicit-def: $vgpr20
	s_delay_alu instid0(VALU_DEP_1)
	v_cmpx_gt_u32_e64 s16, v21
	s_cbranch_execz .LBB101_41
; %bb.40:
	v_lshlrev_b32_e32 v20, 2, v21
	global_load_b32 v20, v20, s[12:13]
.LBB101_41:
	s_or_b32 exec_lo, exec_lo, s17
	v_or_b32_e32 v22, 0xa00, v0
	s_mov_b32 s17, exec_lo
                                        ; implicit-def: $vgpr21
	s_delay_alu instid0(VALU_DEP_1)
	v_cmpx_gt_u32_e64 s16, v22
	s_cbranch_execz .LBB101_43
; %bb.42:
	v_lshlrev_b32_e32 v21, 2, v22
	global_load_b32 v21, v21, s[12:13]
.LBB101_43:
	s_or_b32 exec_lo, exec_lo, s17
	v_or_b32_e32 v23, 0xa80, v0
	s_mov_b32 s17, exec_lo
                                        ; implicit-def: $vgpr22
	s_delay_alu instid0(VALU_DEP_1)
	v_cmpx_gt_u32_e64 s16, v23
	s_cbranch_execz .LBB101_45
; %bb.44:
	v_lshlrev_b32_e32 v22, 2, v23
	global_load_b32 v22, v22, s[12:13]
.LBB101_45:
	s_or_b32 exec_lo, exec_lo, s17
	v_or_b32_e32 v24, 0xb00, v0
	s_mov_b32 s17, exec_lo
                                        ; implicit-def: $vgpr23
	s_delay_alu instid0(VALU_DEP_1)
	v_cmpx_gt_u32_e64 s16, v24
	s_cbranch_execz .LBB101_47
; %bb.46:
	v_lshlrev_b32_e32 v23, 2, v24
	global_load_b32 v23, v23, s[12:13]
.LBB101_47:
	s_or_b32 exec_lo, exec_lo, s17
	v_or_b32_e32 v25, 0xb80, v0
	s_mov_b32 s17, exec_lo
                                        ; implicit-def: $vgpr24
	s_delay_alu instid0(VALU_DEP_1)
	v_cmpx_gt_u32_e64 s16, v25
	s_cbranch_execz .LBB101_49
; %bb.48:
	v_lshlrev_b32_e32 v24, 2, v25
	global_load_b32 v24, v24, s[12:13]
.LBB101_49:
	s_or_b32 exec_lo, exec_lo, s17
	v_or_b32_e32 v26, 0xc00, v0
	s_mov_b32 s17, exec_lo
                                        ; implicit-def: $vgpr25
	s_delay_alu instid0(VALU_DEP_1)
	v_cmpx_gt_u32_e64 s16, v26
	s_cbranch_execz .LBB101_51
; %bb.50:
	v_lshlrev_b32_e32 v25, 2, v26
	global_load_b32 v25, v25, s[12:13]
.LBB101_51:
	s_or_b32 exec_lo, exec_lo, s17
	v_or_b32_e32 v27, 0xc80, v0
	s_mov_b32 s17, exec_lo
                                        ; implicit-def: $vgpr26
	s_delay_alu instid0(VALU_DEP_1)
	v_cmpx_gt_u32_e64 s16, v27
	s_cbranch_execz .LBB101_53
; %bb.52:
	v_lshlrev_b32_e32 v26, 2, v27
	global_load_b32 v26, v26, s[12:13]
.LBB101_53:
	s_or_b32 exec_lo, exec_lo, s17
	v_or_b32_e32 v28, 0xd00, v0
	s_mov_b32 s17, exec_lo
                                        ; implicit-def: $vgpr27
	s_delay_alu instid0(VALU_DEP_1)
	v_cmpx_gt_u32_e64 s16, v28
	s_cbranch_execz .LBB101_55
; %bb.54:
	v_lshlrev_b32_e32 v27, 2, v28
	global_load_b32 v27, v27, s[12:13]
.LBB101_55:
	s_or_b32 exec_lo, exec_lo, s17
	v_or_b32_e32 v29, 0xd80, v0
	s_mov_b32 s17, exec_lo
                                        ; implicit-def: $vgpr28
	s_delay_alu instid0(VALU_DEP_1)
	v_cmpx_gt_u32_e64 s16, v29
	s_cbranch_execz .LBB101_57
; %bb.56:
	v_lshlrev_b32_e32 v28, 2, v29
	global_load_b32 v28, v28, s[12:13]
.LBB101_57:
	s_or_b32 exec_lo, exec_lo, s17
	v_or_b32_e32 v30, 0xe00, v0
                                        ; implicit-def: $vgpr29
	s_delay_alu instid0(VALU_DEP_1)
	v_cmp_gt_u32_e32 vcc_lo, s16, v30
	s_and_saveexec_b32 s16, vcc_lo
	s_cbranch_execz .LBB101_59
; %bb.58:
	v_lshlrev_b32_e32 v29, 2, v30
	global_load_b32 v29, v29, s[12:13]
.LBB101_59:
	s_or_b32 exec_lo, exec_lo, s16
	v_lshlrev_b32_e32 v30, 2, v0
	s_mov_b32 s12, 0
	s_waitcnt vmcnt(0)
	ds_store_2addr_stride64_b32 v30, v1, v2 offset1:2
	ds_store_2addr_stride64_b32 v30, v3, v4 offset0:4 offset1:6
	ds_store_2addr_stride64_b32 v30, v5, v6 offset0:8 offset1:10
	;; [unrolled: 1-line block ×13, first 2 shown]
	ds_store_b32 v30, v29 offset:14336
	s_waitcnt lgkmcnt(0)
	s_barrier
.LBB101_60:
	v_lshlrev_b32_e32 v31, 2, v0
	s_and_b32 vcc_lo, exec_lo, s12
	s_cbranch_vccz .LBB101_62
; %bb.61:
	s_mov_b32 s31, 0
	s_delay_alu instid0(SALU_CYCLE_1) | instskip(NEXT) | instid1(SALU_CYCLE_1)
	s_lshl_b64 s[12:13], s[30:31], 2
	s_add_u32 s12, s14, s12
	s_addc_u32 s13, s15, s13
	v_add_co_u32 v7, s14, s12, v31
	s_delay_alu instid0(VALU_DEP_1)
	v_add_co_ci_u32_e64 v8, null, s13, 0, s14
	s_clause 0x6
	global_load_b32 v9, v31, s[12:13] offset:512
	global_load_b32 v10, v31, s[12:13] offset:1024
	global_load_b32 v11, v31, s[12:13] offset:1536
	global_load_b32 v12, v31, s[12:13] offset:2048
	global_load_b32 v13, v31, s[12:13] offset:2560
	global_load_b32 v14, v31, s[12:13] offset:3072
	global_load_b32 v15, v31, s[12:13] offset:3584
	v_add_co_u32 v1, vcc_lo, v7, 0x2000
	v_add_co_ci_u32_e32 v2, vcc_lo, 0, v8, vcc_lo
	v_add_co_u32 v3, vcc_lo, 0x1000, v7
	v_add_co_ci_u32_e32 v4, vcc_lo, 0, v8, vcc_lo
	;; [unrolled: 2-line block ×3, first 2 shown]
	s_clause 0xa
	global_load_b32 v16, v[1:2], off offset:-4096
	global_load_b32 v17, v31, s[12:13]
	global_load_b32 v18, v[1:2], off
	global_load_b32 v19, v[3:4], off offset:512
	global_load_b32 v20, v[3:4], off offset:1024
	global_load_b32 v21, v[3:4], off offset:1536
	global_load_b32 v22, v[3:4], off offset:2048
	global_load_b32 v23, v[3:4], off offset:2560
	global_load_b32 v24, v[3:4], off offset:3072
	global_load_b32 v3, v[3:4], off offset:3584
	global_load_b32 v4, v[5:6], off offset:512
	v_add_co_u32 v1, vcc_lo, 0x3000, v7
	v_add_co_ci_u32_e32 v2, vcc_lo, 0, v8, vcc_lo
	s_clause 0xa
	global_load_b32 v7, v[5:6], off offset:1024
	global_load_b32 v8, v[5:6], off offset:1536
	;; [unrolled: 1-line block ×6, first 2 shown]
	global_load_b32 v6, v[1:2], off
	global_load_b32 v28, v[1:2], off offset:512
	global_load_b32 v29, v[1:2], off offset:1024
	;; [unrolled: 1-line block ×4, first 2 shown]
	s_waitcnt vmcnt(20)
	ds_store_2addr_stride64_b32 v31, v17, v9 offset1:2
	ds_store_2addr_stride64_b32 v31, v10, v11 offset0:4 offset1:6
	ds_store_2addr_stride64_b32 v31, v12, v13 offset0:8 offset1:10
	;; [unrolled: 1-line block ×3, first 2 shown]
	s_waitcnt vmcnt(18)
	ds_store_2addr_stride64_b32 v31, v16, v19 offset0:16 offset1:18
	s_waitcnt vmcnt(16)
	ds_store_2addr_stride64_b32 v31, v20, v21 offset0:20 offset1:22
	;; [unrolled: 2-line block ×10, first 2 shown]
	s_waitcnt vmcnt(0)
	ds_store_b32 v31, v1 offset:14336
	s_waitcnt lgkmcnt(0)
	s_barrier
.LBB101_62:
	v_mul_u32_u24_e32 v1, 29, v0
	buffer_gl0_inv
	s_cmp_eq_u64 s[6:7], 0
	v_lshlrev_b32_e32 v27, 2, v1
	ds_load_b32 v29, v27 offset:112
	ds_load_2addr_b32 v[19:20], v27 offset0:26 offset1:27
	ds_load_2addr_b32 v[17:18], v27 offset0:24 offset1:25
	ds_load_2addr_b32 v[1:2], v27 offset1:1
	ds_load_2addr_b32 v[3:4], v27 offset0:2 offset1:3
	ds_load_2addr_b32 v[5:6], v27 offset0:4 offset1:5
	;; [unrolled: 1-line block ×11, first 2 shown]
	s_waitcnt lgkmcnt(0)
	s_barrier
	buffer_gl0_inv
	s_cbranch_scc1 .LBB101_67
; %bb.63:
	s_lshl_b64 s[2:3], s[2:3], 2
	s_delay_alu instid0(SALU_CYCLE_1) | instskip(SKIP_2) | instid1(SALU_CYCLE_1)
	s_add_u32 s2, s0, s2
	s_addc_u32 s3, s1, s3
	s_lshl_b64 s[0:1], s[8:9], 2
	s_add_u32 s0, s2, s0
	s_addc_u32 s1, s3, s1
	s_add_u32 s0, s0, -4
	s_addc_u32 s1, s1, -1
	s_cmp_eq_u64 s[6:7], s[10:11]
	s_load_b32 s0, s[0:1], 0x0
	s_cbranch_scc1 .LBB101_68
; %bb.64:
	s_waitcnt lgkmcnt(0)
	v_mov_b32_e32 v30, s0
	s_mov_b32 s1, 0
	s_mov_b32 s2, exec_lo
	ds_store_b32 v31, v29
	s_waitcnt lgkmcnt(0)
	s_barrier
	buffer_gl0_inv
	v_cmpx_ne_u32_e32 0, v0
	s_cbranch_execz .LBB101_66
; %bb.65:
	v_add_nc_u32_e32 v30, -4, v31
	ds_load_b32 v30, v30
.LBB101_66:
	s_or_b32 exec_lo, exec_lo, s2
	v_dual_add_f32 v32, v29, v20 :: v_dual_add_f32 v33, v20, v19
	v_dual_add_f32 v34, v19, v18 :: v_dual_add_f32 v35, v18, v17
	v_add_f32_e32 v36, v17, v28
	v_dual_add_f32 v37, v27, v28 :: v_dual_add_f32 v38, v26, v27
	v_dual_add_f32 v39, v25, v26 :: v_dual_add_f32 v40, v24, v25
	;; [unrolled: 1-line block ×11, first 2 shown]
	v_add_f32_e32 v59, v1, v2
	s_waitcnt lgkmcnt(0)
	v_add_f32_e32 v60, v1, v30
	s_and_b32 vcc_lo, exec_lo, s1
	s_cbranch_vccnz .LBB101_69
	s_branch .LBB101_72
.LBB101_67:
                                        ; implicit-def: $vgpr60
                                        ; implicit-def: $vgpr59
                                        ; implicit-def: $vgpr58
                                        ; implicit-def: $vgpr57
                                        ; implicit-def: $vgpr56
                                        ; implicit-def: $vgpr55
                                        ; implicit-def: $vgpr54
                                        ; implicit-def: $vgpr53
                                        ; implicit-def: $vgpr52
                                        ; implicit-def: $vgpr51
                                        ; implicit-def: $vgpr50
                                        ; implicit-def: $vgpr49
                                        ; implicit-def: $vgpr48
                                        ; implicit-def: $vgpr47
                                        ; implicit-def: $vgpr46
                                        ; implicit-def: $vgpr45
                                        ; implicit-def: $vgpr44
                                        ; implicit-def: $vgpr43
                                        ; implicit-def: $vgpr42
                                        ; implicit-def: $vgpr41
                                        ; implicit-def: $vgpr40
                                        ; implicit-def: $vgpr39
                                        ; implicit-def: $vgpr38
                                        ; implicit-def: $vgpr37
                                        ; implicit-def: $vgpr36
                                        ; implicit-def: $vgpr35
                                        ; implicit-def: $vgpr34
                                        ; implicit-def: $vgpr33
                                        ; implicit-def: $vgpr32
	s_branch .LBB101_73
.LBB101_68:
                                        ; implicit-def: $vgpr60
                                        ; implicit-def: $vgpr59
                                        ; implicit-def: $vgpr58
                                        ; implicit-def: $vgpr57
                                        ; implicit-def: $vgpr56
                                        ; implicit-def: $vgpr55
                                        ; implicit-def: $vgpr54
                                        ; implicit-def: $vgpr53
                                        ; implicit-def: $vgpr52
                                        ; implicit-def: $vgpr51
                                        ; implicit-def: $vgpr50
                                        ; implicit-def: $vgpr49
                                        ; implicit-def: $vgpr48
                                        ; implicit-def: $vgpr47
                                        ; implicit-def: $vgpr46
                                        ; implicit-def: $vgpr45
                                        ; implicit-def: $vgpr44
                                        ; implicit-def: $vgpr43
                                        ; implicit-def: $vgpr42
                                        ; implicit-def: $vgpr41
                                        ; implicit-def: $vgpr40
                                        ; implicit-def: $vgpr39
                                        ; implicit-def: $vgpr38
                                        ; implicit-def: $vgpr37
                                        ; implicit-def: $vgpr36
                                        ; implicit-def: $vgpr35
                                        ; implicit-def: $vgpr34
                                        ; implicit-def: $vgpr33
                                        ; implicit-def: $vgpr32
	s_cbranch_execz .LBB101_72
.LBB101_69:
	v_mul_u32_u24_e32 v30, 29, v0
	s_waitcnt lgkmcnt(0)
	v_mov_b32_e32 v58, s0
	s_mov_b32 s0, exec_lo
	ds_store_b32 v31, v29
	s_waitcnt lgkmcnt(0)
	s_barrier
	buffer_gl0_inv
	v_cmpx_ne_u32_e32 0, v0
	s_cbranch_execz .LBB101_71
; %bb.70:
	v_add_nc_u32_e32 v32, -4, v31
	ds_load_b32 v58, v32
.LBB101_71:
	s_or_b32 exec_lo, exec_lo, s0
	v_dual_add_f32 v33, v29, v20 :: v_dual_add_nc_u32 v32, 28, v30
	s_mul_i32 s0, s6, 0xfffff180
	v_dual_add_f32 v35, v20, v19 :: v_dual_add_nc_u32 v34, 27, v30
	s_add_i32 s0, s0, s42
	v_dual_add_f32 v39, v17, v28 :: v_dual_add_nc_u32 v36, 25, v30
	v_cmp_gt_u32_e32 vcc_lo, s0, v32
	v_dual_add_f32 v40, v26, v27 :: v_dual_add_nc_u32 v41, 21, v30
	v_dual_add_f32 v37, v18, v17 :: v_dual_add_f32 v42, v25, v26
	v_cndmask_b32_e32 v32, v29, v33, vcc_lo
	v_cmp_gt_u32_e32 vcc_lo, s0, v34
	v_add_nc_u32_e32 v34, 26, v30
	v_dual_add_f32 v48, v15, v16 :: v_dual_add_nc_u32 v47, 15, v30
	v_dual_add_f32 v52, v10, v11 :: v_dual_add_nc_u32 v53, 9, v30
	v_cndmask_b32_e32 v33, v20, v35, vcc_lo
	v_add_f32_e32 v35, v19, v18
	v_cmp_gt_u32_e32 vcc_lo, s0, v34
	v_add_f32_e32 v54, v9, v10
	v_dual_add_f32 v61, v3, v4 :: v_dual_add_nc_u32 v60, 3, v30
	s_waitcnt lgkmcnt(0)
	v_dual_add_f32 v63, v1, v58 :: v_dual_cndmask_b32 v34, v19, v35
	v_cmp_gt_u32_e32 vcc_lo, s0, v36
	v_dual_add_f32 v43, v23, v24 :: v_dual_add_nc_u32 v38, 24, v30
	v_dual_add_f32 v45, v22, v23 :: v_dual_add_f32 v46, v16, v21
	v_cndmask_b32_e32 v35, v18, v37, vcc_lo
	s_delay_alu instid0(VALU_DEP_3) | instskip(SKIP_4) | instid1(VALU_DEP_4)
	v_cmp_gt_u32_e32 vcc_lo, s0, v38
	v_dual_add_f32 v38, v27, v28 :: v_dual_add_nc_u32 v37, 23, v30
	v_add_f32_e32 v51, v12, v13
	v_dual_add_f32 v55, v7, v8 :: v_dual_cndmask_b32 v36, v17, v39
	v_add_nc_u32_e32 v39, 22, v30
	v_cmp_gt_u32_e32 vcc_lo, s0, v37
	v_add_f32_e32 v57, v6, v7
	v_dual_add_f32 v59, v4, v5 :: v_dual_add_f32 v62, v1, v2
	v_cndmask_b32_e32 v37, v28, v38, vcc_lo
	v_cmp_gt_u32_e32 vcc_lo, s0, v39
	v_cndmask_b32_e32 v38, v27, v40, vcc_lo
	v_cmp_gt_u32_e32 vcc_lo, s0, v41
	v_dual_add_f32 v41, v24, v25 :: v_dual_add_nc_u32 v40, 20, v30
	v_cndmask_b32_e32 v39, v26, v42, vcc_lo
	v_add_nc_u32_e32 v42, 19, v30
	s_delay_alu instid0(VALU_DEP_3) | instskip(NEXT) | instid1(VALU_DEP_4)
	v_cmp_gt_u32_e32 vcc_lo, s0, v40
	v_cndmask_b32_e32 v40, v25, v41, vcc_lo
	s_delay_alu instid0(VALU_DEP_3) | instskip(SKIP_1) | instid1(VALU_DEP_1)
	v_cmp_gt_u32_e32 vcc_lo, s0, v42
	v_dual_cndmask_b32 v41, v24, v43 :: v_dual_add_nc_u32 v44, 18, v30
	v_cmp_gt_u32_e32 vcc_lo, s0, v44
	v_add_nc_u32_e32 v43, 17, v30
	v_add_f32_e32 v44, v21, v22
	v_dual_cndmask_b32 v42, v23, v45 :: v_dual_add_nc_u32 v45, 16, v30
	s_delay_alu instid0(VALU_DEP_3) | instskip(NEXT) | instid1(VALU_DEP_3)
	v_cmp_gt_u32_e32 vcc_lo, s0, v43
	v_cndmask_b32_e32 v43, v22, v44, vcc_lo
	s_delay_alu instid0(VALU_DEP_3) | instskip(SKIP_4) | instid1(VALU_DEP_2)
	v_cmp_gt_u32_e32 vcc_lo, s0, v45
	v_cndmask_b32_e32 v44, v21, v46, vcc_lo
	v_cmp_gt_u32_e32 vcc_lo, s0, v47
	v_dual_add_f32 v47, v14, v15 :: v_dual_add_nc_u32 v46, 14, v30
	v_dual_cndmask_b32 v45, v16, v48 :: v_dual_add_nc_u32 v48, 13, v30
	v_cmp_gt_u32_e32 vcc_lo, s0, v46
	s_delay_alu instid0(VALU_DEP_3) | instskip(NEXT) | instid1(VALU_DEP_3)
	v_dual_add_f32 v49, v13, v14 :: v_dual_cndmask_b32 v46, v15, v47
	v_cmp_gt_u32_e32 vcc_lo, s0, v48
	s_delay_alu instid0(VALU_DEP_2) | instskip(NEXT) | instid1(VALU_DEP_1)
	v_dual_cndmask_b32 v47, v14, v49 :: v_dual_add_nc_u32 v50, 12, v30
	v_cmp_gt_u32_e32 vcc_lo, s0, v50
	v_dual_add_f32 v50, v11, v12 :: v_dual_add_nc_u32 v49, 11, v30
	v_dual_cndmask_b32 v48, v13, v51 :: v_dual_add_nc_u32 v51, 10, v30
	s_delay_alu instid0(VALU_DEP_2) | instskip(NEXT) | instid1(VALU_DEP_3)
	v_cmp_gt_u32_e32 vcc_lo, s0, v49
	v_cndmask_b32_e32 v49, v12, v50, vcc_lo
	s_delay_alu instid0(VALU_DEP_3)
	v_cmp_gt_u32_e32 vcc_lo, s0, v51
	v_cndmask_b32_e32 v50, v11, v52, vcc_lo
	v_cmp_gt_u32_e32 vcc_lo, s0, v53
	v_dual_add_f32 v53, v8, v9 :: v_dual_add_nc_u32 v52, 8, v30
	v_cndmask_b32_e32 v51, v10, v54, vcc_lo
	v_add_nc_u32_e32 v54, 7, v30
	s_delay_alu instid0(VALU_DEP_3) | instskip(NEXT) | instid1(VALU_DEP_4)
	v_cmp_gt_u32_e32 vcc_lo, s0, v52
	v_cndmask_b32_e32 v52, v9, v53, vcc_lo
	s_delay_alu instid0(VALU_DEP_3) | instskip(SKIP_1) | instid1(VALU_DEP_1)
	v_cmp_gt_u32_e32 vcc_lo, s0, v54
	v_dual_cndmask_b32 v53, v8, v55 :: v_dual_add_nc_u32 v56, 6, v30
	v_cmp_gt_u32_e32 vcc_lo, s0, v56
	v_add_nc_u32_e32 v55, 5, v30
	v_add_f32_e32 v56, v5, v6
	v_dual_cndmask_b32 v54, v7, v57 :: v_dual_add_nc_u32 v57, 4, v30
	s_delay_alu instid0(VALU_DEP_3) | instskip(NEXT) | instid1(VALU_DEP_3)
	v_cmp_gt_u32_e32 vcc_lo, s0, v55
	v_cndmask_b32_e32 v55, v6, v56, vcc_lo
	s_delay_alu instid0(VALU_DEP_3)
	v_cmp_gt_u32_e32 vcc_lo, s0, v57
	v_cndmask_b32_e32 v56, v5, v59, vcc_lo
	v_cmp_gt_u32_e32 vcc_lo, s0, v60
	v_dual_add_f32 v60, v2, v3 :: v_dual_add_nc_u32 v59, 2, v30
	v_cndmask_b32_e32 v57, v4, v61, vcc_lo
	v_add_nc_u32_e32 v61, 1, v30
	s_delay_alu instid0(VALU_DEP_3) | instskip(NEXT) | instid1(VALU_DEP_4)
	v_cmp_gt_u32_e32 vcc_lo, s0, v59
	v_cndmask_b32_e32 v58, v3, v60, vcc_lo
	s_delay_alu instid0(VALU_DEP_3)
	v_cmp_gt_u32_e32 vcc_lo, s0, v61
	v_cndmask_b32_e32 v59, v2, v62, vcc_lo
	v_cmp_gt_u32_e32 vcc_lo, s0, v30
	v_cndmask_b32_e32 v60, v1, v63, vcc_lo
.LBB101_72:
	s_waitcnt lgkmcnt(0)
	s_cbranch_execnz .LBB101_81
.LBB101_73:
	v_dual_add_f32 v32, v29, v20 :: v_dual_add_f32 v33, v20, v19
	v_dual_add_f32 v34, v19, v18 :: v_dual_add_f32 v35, v18, v17
	v_add_f32_e32 v36, v17, v28
	v_dual_add_f32 v37, v27, v28 :: v_dual_add_f32 v38, v26, v27
	v_dual_add_f32 v39, v25, v26 :: v_dual_add_f32 v40, v24, v25
	v_dual_add_f32 v41, v23, v24 :: v_dual_add_f32 v42, v22, v23
	v_dual_add_f32 v43, v21, v22 :: v_dual_add_f32 v44, v16, v21
	v_dual_add_f32 v45, v15, v16 :: v_dual_add_f32 v46, v14, v15
	v_dual_add_f32 v47, v13, v14 :: v_dual_add_f32 v48, v12, v13
	v_dual_add_f32 v49, v11, v12 :: v_dual_add_f32 v50, v10, v11
	v_dual_add_f32 v51, v9, v10 :: v_dual_add_f32 v52, v8, v9
	v_dual_add_f32 v53, v7, v8 :: v_dual_add_f32 v54, v6, v7
	v_dual_add_f32 v55, v5, v6 :: v_dual_add_f32 v56, v4, v5
	v_dual_add_f32 v57, v3, v4 :: v_dual_add_f32 v58, v2, v3
	v_add_f32_e32 v59, v1, v2
	v_cmp_ne_u32_e32 vcc_lo, 0, v0
	s_cmp_eq_u64 s[4:5], 1
	s_cbranch_scc1 .LBB101_77
; %bb.74:
	v_mov_b32_e32 v60, v1
	s_mov_b32 s0, 0
	ds_store_b32 v31, v29
	s_waitcnt lgkmcnt(0)
	s_barrier
	buffer_gl0_inv
	s_and_saveexec_b32 s1, vcc_lo
	s_cbranch_execz .LBB101_76
; %bb.75:
	v_add_nc_u32_e32 v30, -4, v31
	ds_load_b32 v30, v30
	s_waitcnt lgkmcnt(0)
	v_add_f32_e32 v60, v1, v30
.LBB101_76:
	s_or_b32 exec_lo, exec_lo, s1
	s_delay_alu instid0(SALU_CYCLE_1)
	s_and_not1_b32 vcc_lo, exec_lo, s0
	s_cbranch_vccz .LBB101_78
	s_branch .LBB101_81
.LBB101_77:
                                        ; implicit-def: $vgpr60
.LBB101_78:
	v_mad_u32_u24 v30, v0, 29, 28
	v_mad_u32_u24 v61, v0, 29, 27
	;; [unrolled: 1-line block ×4, first 2 shown]
	v_mul_u32_u24_e32 v60, 29, v0
	v_cmp_gt_u32_e32 vcc_lo, s42, v30
	v_mad_u32_u24 v30, v0, 29, 25
	v_cmp_gt_u32_e64 s0, s42, v61
	v_mad_u32_u24 v61, v0, 29, 23
	v_cmp_gt_u32_e64 s1, s42, v62
	v_mad_u32_u24 v62, v0, 29, 21
	v_cmp_gt_u32_e64 s2, s42, v30
	v_mad_u32_u24 v30, v0, 29, 22
	v_cmp_gt_u32_e64 s4, s42, v61
	v_mad_u32_u24 v61, v0, 29, 20
	v_cmp_gt_u32_e64 s3, s42, v63
	v_mad_u32_u24 v63, v0, 29, 19
	v_cmp_gt_u32_e64 s5, s42, v30
	v_mad_u32_u24 v30, v0, 29, 18
	v_cmp_gt_u32_e64 s7, s42, v61
	v_mad_u32_u24 v61, v0, 29, 17
	v_cmp_gt_u32_e64 s6, s42, v62
	v_mad_u32_u24 v62, v0, 29, 16
	v_cmp_gt_u32_e64 s9, s42, v30
	v_mad_u32_u24 v30, v0, 29, 15
	v_cmp_gt_u32_e64 s10, s42, v61
	v_mad_u32_u24 v61, v0, 29, 13
	v_cmp_gt_u32_e64 s8, s42, v63
	v_mad_u32_u24 v63, v0, 29, 14
	v_cmp_gt_u32_e64 s12, s42, v30
	v_mad_u32_u24 v30, v0, 29, 12
	v_cmp_gt_u32_e64 s11, s42, v62
	v_mad_u32_u24 v62, v0, 29, 11
	v_cmp_gt_u32_e64 s14, s42, v61
	v_mad_u32_u24 v61, v0, 29, 10
	v_cmp_gt_u32_e64 s15, s42, v30
	v_mad_u32_u24 v30, v0, 29, 8
	v_cmp_gt_u32_e64 s13, s42, v63
	v_mad_u32_u24 v63, v0, 29, 9
	v_cmp_gt_u32_e64 s16, s42, v62
	v_cmp_gt_u32_e64 s17, s42, v61
	v_mad_u32_u24 v61, v0, 29, 7
	v_mad_u32_u24 v62, v0, 29, 6
	v_cmp_gt_u32_e64 s19, s42, v30
	v_mad_u32_u24 v30, v0, 29, 5
	v_cmp_gt_u32_e64 s18, s42, v63
	;; [unrolled: 2-line block ×3, first 2 shown]
	v_cmp_gt_u32_e64 s21, s42, v62
	v_mad_u32_u24 v61, v0, 29, 3
	v_cmp_gt_u32_e64 s22, s42, v30
	v_mad_u32_u24 v30, v0, 29, 2
	v_mad_u32_u24 v62, v0, 29, 1
	v_cmp_ne_u32_e64 s27, 0, v0
	v_cmp_gt_u32_e64 s28, s42, v60
	v_cmp_gt_u32_e64 s23, s42, v63
	v_cmp_gt_u32_e64 s24, s42, v61
	v_cmp_gt_u32_e64 s25, s42, v30
	v_cmp_gt_u32_e64 s26, s42, v62
	s_and_b32 s28, s27, s28
	ds_store_b32 v31, v29
	s_waitcnt lgkmcnt(0)
	s_barrier
	buffer_gl0_inv
	s_and_saveexec_b32 s27, s28
	s_cbranch_execz .LBB101_80
; %bb.79:
	v_add_nc_u32_e32 v30, -4, v31
	ds_load_b32 v30, v30
	s_waitcnt lgkmcnt(0)
	v_add_f32_e32 v1, v1, v30
.LBB101_80:
	s_or_b32 exec_lo, exec_lo, s27
	v_cndmask_b32_e32 v32, v29, v32, vcc_lo
	v_cndmask_b32_e64 v33, v20, v33, s0
	v_cndmask_b32_e64 v34, v19, v34, s1
	;; [unrolled: 1-line block ×27, first 2 shown]
	v_mov_b32_e32 v60, v1
.LBB101_81:
	v_mul_u32_u24_e32 v61, 0x74, v0
	v_mul_i32_i24_e32 v62, 0xffffff90, v0
	s_add_u32 s1, s40, s34
	s_addc_u32 s0, s41, s35
	s_and_b32 vcc_lo, exec_lo, s33
	s_barrier
	buffer_gl0_inv
	s_cbranch_vccz .LBB101_139
; %bb.82:
	v_mad_u32_u24 v1, 0x74, v0, v62
	ds_store_2addr_b32 v61, v60, v59 offset1:1
	ds_store_2addr_b32 v61, v58, v57 offset0:2 offset1:3
	ds_store_2addr_b32 v61, v56, v55 offset0:4 offset1:5
	;; [unrolled: 1-line block ×13, first 2 shown]
	ds_store_b32 v61, v32 offset:112
	s_waitcnt lgkmcnt(0)
	s_barrier
	buffer_gl0_inv
	ds_load_2addr_stride64_b32 v[29:30], v1 offset0:2 offset1:4
	ds_load_2addr_stride64_b32 v[27:28], v1 offset0:6 offset1:8
	;; [unrolled: 1-line block ×14, first 2 shown]
	s_mov_b32 s31, 0
	s_add_i32 s29, s29, s42
	s_lshl_b64 s[2:3], s[30:31], 2
	s_delay_alu instid0(SALU_CYCLE_1) | instskip(SKIP_2) | instid1(VALU_DEP_1)
	s_add_u32 s2, s1, s2
	s_addc_u32 s3, s0, s3
	v_add_co_u32 v3, s2, s2, v31
	v_add_co_ci_u32_e64 v4, null, s3, 0, s2
	s_mov_b32 s2, exec_lo
	v_cmpx_gt_u32_e64 s29, v0
	s_cbranch_execz .LBB101_84
; %bb.83:
	v_add_nc_u32_e32 v63, v61, v62
	ds_load_b32 v63, v63
	s_waitcnt lgkmcnt(0)
	global_store_b32 v[3:4], v63, off
.LBB101_84:
	s_or_b32 exec_lo, exec_lo, s2
	v_or_b32_e32 v63, 0x80, v0
	s_mov_b32 s2, exec_lo
	s_delay_alu instid0(VALU_DEP_1)
	v_cmpx_gt_u32_e64 s29, v63
	s_cbranch_execz .LBB101_86
; %bb.85:
	s_waitcnt lgkmcnt(13)
	global_store_b32 v[3:4], v29, off offset:512
.LBB101_86:
	s_or_b32 exec_lo, exec_lo, s2
	s_waitcnt lgkmcnt(13)
	v_or_b32_e32 v29, 0x100, v0
	s_mov_b32 s2, exec_lo
	s_delay_alu instid0(VALU_DEP_1)
	v_cmpx_gt_u32_e64 s29, v29
	s_cbranch_execz .LBB101_88
; %bb.87:
	global_store_b32 v[3:4], v30, off offset:1024
.LBB101_88:
	s_or_b32 exec_lo, exec_lo, s2
	v_or_b32_e32 v29, 0x180, v0
	s_mov_b32 s2, exec_lo
	s_delay_alu instid0(VALU_DEP_1)
	v_cmpx_gt_u32_e64 s29, v29
	s_cbranch_execz .LBB101_90
; %bb.89:
	s_waitcnt lgkmcnt(12)
	global_store_b32 v[3:4], v27, off offset:1536
.LBB101_90:
	s_or_b32 exec_lo, exec_lo, s2
	s_waitcnt lgkmcnt(12)
	v_or_b32_e32 v27, 0x200, v0
	s_mov_b32 s2, exec_lo
	s_delay_alu instid0(VALU_DEP_1)
	v_cmpx_gt_u32_e64 s29, v27
	s_cbranch_execz .LBB101_92
; %bb.91:
	global_store_b32 v[3:4], v28, off offset:2048
.LBB101_92:
	;; [unrolled: 20-line block ×3, first 2 shown]
	s_or_b32 exec_lo, exec_lo, s2
	v_or_b32_e32 v25, 0x380, v0
	s_mov_b32 s2, exec_lo
	s_delay_alu instid0(VALU_DEP_1)
	v_cmpx_gt_u32_e64 s29, v25
	s_cbranch_execz .LBB101_98
; %bb.97:
	s_waitcnt lgkmcnt(10)
	global_store_b32 v[3:4], v23, off offset:3584
.LBB101_98:
	s_or_b32 exec_lo, exec_lo, s2
	s_waitcnt lgkmcnt(10)
	v_or_b32_e32 v23, 0x400, v0
	s_mov_b32 s2, exec_lo
	s_delay_alu instid0(VALU_DEP_1)
	v_cmpx_gt_u32_e64 s29, v23
	s_cbranch_execz .LBB101_100
; %bb.99:
	v_add_co_u32 v25, vcc_lo, 0x1000, v3
	v_add_co_ci_u32_e32 v26, vcc_lo, 0, v4, vcc_lo
	global_store_b32 v[25:26], v24, off
.LBB101_100:
	s_or_b32 exec_lo, exec_lo, s2
	v_or_b32_e32 v23, 0x480, v0
	s_mov_b32 s2, exec_lo
	s_delay_alu instid0(VALU_DEP_1)
	v_cmpx_gt_u32_e64 s29, v23
	s_cbranch_execz .LBB101_102
; %bb.101:
	v_add_co_u32 v23, vcc_lo, 0x1000, v3
	v_add_co_ci_u32_e32 v24, vcc_lo, 0, v4, vcc_lo
	s_waitcnt lgkmcnt(9)
	global_store_b32 v[23:24], v21, off offset:512
.LBB101_102:
	s_or_b32 exec_lo, exec_lo, s2
	s_waitcnt lgkmcnt(9)
	v_or_b32_e32 v21, 0x500, v0
	s_mov_b32 s2, exec_lo
	s_delay_alu instid0(VALU_DEP_1)
	v_cmpx_gt_u32_e64 s29, v21
	s_cbranch_execz .LBB101_104
; %bb.103:
	v_add_co_u32 v23, vcc_lo, 0x1000, v3
	v_add_co_ci_u32_e32 v24, vcc_lo, 0, v4, vcc_lo
	global_store_b32 v[23:24], v22, off offset:1024
.LBB101_104:
	s_or_b32 exec_lo, exec_lo, s2
	v_or_b32_e32 v21, 0x580, v0
	s_mov_b32 s2, exec_lo
	s_delay_alu instid0(VALU_DEP_1)
	v_cmpx_gt_u32_e64 s29, v21
	s_cbranch_execz .LBB101_106
; %bb.105:
	v_add_co_u32 v21, vcc_lo, 0x1000, v3
	v_add_co_ci_u32_e32 v22, vcc_lo, 0, v4, vcc_lo
	s_waitcnt lgkmcnt(8)
	global_store_b32 v[21:22], v19, off offset:1536
.LBB101_106:
	s_or_b32 exec_lo, exec_lo, s2
	s_waitcnt lgkmcnt(8)
	v_or_b32_e32 v19, 0x600, v0
	s_mov_b32 s2, exec_lo
	s_delay_alu instid0(VALU_DEP_1)
	v_cmpx_gt_u32_e64 s29, v19
	s_cbranch_execz .LBB101_108
; %bb.107:
	v_add_co_u32 v21, vcc_lo, 0x1000, v3
	v_add_co_ci_u32_e32 v22, vcc_lo, 0, v4, vcc_lo
	global_store_b32 v[21:22], v20, off offset:2048
.LBB101_108:
	;; [unrolled: 24-line block ×3, first 2 shown]
	s_or_b32 exec_lo, exec_lo, s2
	v_or_b32_e32 v17, 0x780, v0
	s_mov_b32 s2, exec_lo
	s_delay_alu instid0(VALU_DEP_1)
	v_cmpx_gt_u32_e64 s29, v17
	s_cbranch_execz .LBB101_114
; %bb.113:
	v_add_co_u32 v17, vcc_lo, 0x1000, v3
	v_add_co_ci_u32_e32 v18, vcc_lo, 0, v4, vcc_lo
	s_waitcnt lgkmcnt(6)
	global_store_b32 v[17:18], v15, off offset:3584
.LBB101_114:
	s_or_b32 exec_lo, exec_lo, s2
	s_waitcnt lgkmcnt(6)
	v_or_b32_e32 v15, 0x800, v0
	s_mov_b32 s2, exec_lo
	s_delay_alu instid0(VALU_DEP_1)
	v_cmpx_gt_u32_e64 s29, v15
	s_cbranch_execz .LBB101_116
; %bb.115:
	v_add_co_u32 v17, vcc_lo, 0x2000, v3
	v_add_co_ci_u32_e32 v18, vcc_lo, 0, v4, vcc_lo
	global_store_b32 v[17:18], v16, off
.LBB101_116:
	s_or_b32 exec_lo, exec_lo, s2
	v_or_b32_e32 v15, 0x880, v0
	s_mov_b32 s2, exec_lo
	s_delay_alu instid0(VALU_DEP_1)
	v_cmpx_gt_u32_e64 s29, v15
	s_cbranch_execz .LBB101_118
; %bb.117:
	v_add_co_u32 v15, vcc_lo, 0x2000, v3
	v_add_co_ci_u32_e32 v16, vcc_lo, 0, v4, vcc_lo
	s_waitcnt lgkmcnt(5)
	global_store_b32 v[15:16], v13, off offset:512
.LBB101_118:
	s_or_b32 exec_lo, exec_lo, s2
	s_waitcnt lgkmcnt(5)
	v_or_b32_e32 v13, 0x900, v0
	s_mov_b32 s2, exec_lo
	s_delay_alu instid0(VALU_DEP_1)
	v_cmpx_gt_u32_e64 s29, v13
	s_cbranch_execz .LBB101_120
; %bb.119:
	v_add_co_u32 v15, vcc_lo, 0x2000, v3
	v_add_co_ci_u32_e32 v16, vcc_lo, 0, v4, vcc_lo
	global_store_b32 v[15:16], v14, off offset:1024
.LBB101_120:
	s_or_b32 exec_lo, exec_lo, s2
	v_or_b32_e32 v13, 0x980, v0
	s_mov_b32 s2, exec_lo
	s_delay_alu instid0(VALU_DEP_1)
	v_cmpx_gt_u32_e64 s29, v13
	s_cbranch_execz .LBB101_122
; %bb.121:
	v_add_co_u32 v13, vcc_lo, 0x2000, v3
	v_add_co_ci_u32_e32 v14, vcc_lo, 0, v4, vcc_lo
	s_waitcnt lgkmcnt(4)
	global_store_b32 v[13:14], v11, off offset:1536
.LBB101_122:
	s_or_b32 exec_lo, exec_lo, s2
	s_waitcnt lgkmcnt(4)
	v_or_b32_e32 v11, 0xa00, v0
	s_mov_b32 s2, exec_lo
	s_delay_alu instid0(VALU_DEP_1)
	v_cmpx_gt_u32_e64 s29, v11
	s_cbranch_execz .LBB101_124
; %bb.123:
	v_add_co_u32 v13, vcc_lo, 0x2000, v3
	v_add_co_ci_u32_e32 v14, vcc_lo, 0, v4, vcc_lo
	global_store_b32 v[13:14], v12, off offset:2048
.LBB101_124:
	;; [unrolled: 24-line block ×3, first 2 shown]
	s_or_b32 exec_lo, exec_lo, s2
	v_or_b32_e32 v9, 0xb80, v0
	s_mov_b32 s2, exec_lo
	s_delay_alu instid0(VALU_DEP_1)
	v_cmpx_gt_u32_e64 s29, v9
	s_cbranch_execz .LBB101_130
; %bb.129:
	v_add_co_u32 v9, vcc_lo, 0x2000, v3
	v_add_co_ci_u32_e32 v10, vcc_lo, 0, v4, vcc_lo
	s_waitcnt lgkmcnt(2)
	global_store_b32 v[9:10], v7, off offset:3584
.LBB101_130:
	s_or_b32 exec_lo, exec_lo, s2
	s_waitcnt lgkmcnt(2)
	v_or_b32_e32 v7, 0xc00, v0
	s_mov_b32 s2, exec_lo
	s_delay_alu instid0(VALU_DEP_1)
	v_cmpx_gt_u32_e64 s29, v7
	s_cbranch_execz .LBB101_132
; %bb.131:
	v_add_co_u32 v9, vcc_lo, 0x3000, v3
	v_add_co_ci_u32_e32 v10, vcc_lo, 0, v4, vcc_lo
	global_store_b32 v[9:10], v8, off
.LBB101_132:
	s_or_b32 exec_lo, exec_lo, s2
	v_or_b32_e32 v7, 0xc80, v0
	s_mov_b32 s2, exec_lo
	s_delay_alu instid0(VALU_DEP_1)
	v_cmpx_gt_u32_e64 s29, v7
	s_cbranch_execz .LBB101_134
; %bb.133:
	v_add_co_u32 v7, vcc_lo, 0x3000, v3
	v_add_co_ci_u32_e32 v8, vcc_lo, 0, v4, vcc_lo
	s_waitcnt lgkmcnt(1)
	global_store_b32 v[7:8], v5, off offset:512
.LBB101_134:
	s_or_b32 exec_lo, exec_lo, s2
	s_waitcnt lgkmcnt(1)
	v_or_b32_e32 v5, 0xd00, v0
	s_mov_b32 s2, exec_lo
	s_delay_alu instid0(VALU_DEP_1)
	v_cmpx_gt_u32_e64 s29, v5
	s_cbranch_execz .LBB101_136
; %bb.135:
	v_add_co_u32 v7, vcc_lo, 0x3000, v3
	v_add_co_ci_u32_e32 v8, vcc_lo, 0, v4, vcc_lo
	global_store_b32 v[7:8], v6, off offset:1024
.LBB101_136:
	s_or_b32 exec_lo, exec_lo, s2
	v_or_b32_e32 v5, 0xd80, v0
	s_mov_b32 s2, exec_lo
	s_delay_alu instid0(VALU_DEP_1)
	v_cmpx_gt_u32_e64 s29, v5
	s_cbranch_execz .LBB101_138
; %bb.137:
	v_add_co_u32 v5, vcc_lo, 0x3000, v3
	v_add_co_ci_u32_e32 v6, vcc_lo, 0, v4, vcc_lo
	s_waitcnt lgkmcnt(0)
	global_store_b32 v[5:6], v1, off offset:1536
.LBB101_138:
	s_or_b32 exec_lo, exec_lo, s2
	s_waitcnt lgkmcnt(0)
	v_or_b32_e32 v1, 0xe00, v0
	s_delay_alu instid0(VALU_DEP_1)
	v_cmp_gt_u32_e64 s2, s29, v1
	s_branch .LBB101_141
.LBB101_139:
	s_mov_b32 s2, 0
                                        ; implicit-def: $vgpr2
                                        ; implicit-def: $vgpr3_vgpr4
	s_cbranch_execz .LBB101_141
; %bb.140:
	v_mad_u32_u24 v2, 0x74, v0, v62
	ds_store_2addr_b32 v61, v60, v59 offset1:1
	ds_store_2addr_b32 v61, v58, v57 offset0:2 offset1:3
	ds_store_2addr_b32 v61, v56, v55 offset0:4 offset1:5
	;; [unrolled: 1-line block ×13, first 2 shown]
	ds_store_b32 v61, v32 offset:112
	s_waitcnt lgkmcnt(0)
	s_waitcnt_vscnt null, 0x0
	s_barrier
	buffer_gl0_inv
	ds_load_2addr_stride64_b32 v[0:1], v2 offset1:2
	ds_load_2addr_stride64_b32 v[5:6], v2 offset0:4 offset1:6
	s_mov_b32 s31, 0
	ds_load_2addr_stride64_b32 v[7:8], v2 offset0:8 offset1:10
	ds_load_2addr_stride64_b32 v[9:10], v2 offset0:12 offset1:14
	ds_load_2addr_stride64_b32 v[11:12], v2 offset0:16 offset1:18
	ds_load_2addr_stride64_b32 v[13:14], v2 offset0:20 offset1:22
	ds_load_2addr_stride64_b32 v[15:16], v2 offset0:24 offset1:26
	ds_load_2addr_stride64_b32 v[17:18], v2 offset0:28 offset1:30
	ds_load_2addr_stride64_b32 v[19:20], v2 offset0:32 offset1:34
	ds_load_2addr_stride64_b32 v[21:22], v2 offset0:36 offset1:38
	ds_load_2addr_stride64_b32 v[23:24], v2 offset0:40 offset1:42
	ds_load_2addr_stride64_b32 v[25:26], v2 offset0:44 offset1:46
	ds_load_2addr_stride64_b32 v[27:28], v2 offset0:48 offset1:50
	ds_load_2addr_stride64_b32 v[29:30], v2 offset0:52 offset1:54
	ds_load_b32 v2, v2 offset:14336
	s_lshl_b64 s[4:5], s[30:31], 2
	s_delay_alu instid0(SALU_CYCLE_1) | instskip(SKIP_2) | instid1(VALU_DEP_1)
	s_add_u32 s4, s1, s4
	s_addc_u32 s5, s0, s5
	v_add_co_u32 v3, s0, s4, v31
	v_add_co_ci_u32_e64 v4, null, s5, 0, s0
	s_or_b32 s2, s2, exec_lo
	s_waitcnt lgkmcnt(14)
	global_store_b32 v31, v1, s[4:5] offset:512
	s_waitcnt lgkmcnt(13)
	s_clause 0x1
	global_store_b32 v31, v5, s[4:5] offset:1024
	global_store_b32 v31, v6, s[4:5] offset:1536
	s_waitcnt lgkmcnt(12)
	s_clause 0x1
	global_store_b32 v31, v7, s[4:5] offset:2048
	;; [unrolled: 4-line block ×3, first 2 shown]
	global_store_b32 v31, v10, s[4:5] offset:3584
	v_add_co_u32 v5, vcc_lo, v3, 0x2000
	v_add_co_ci_u32_e32 v6, vcc_lo, 0, v4, vcc_lo
	v_add_co_u32 v7, vcc_lo, 0x3000, v3
	v_add_co_ci_u32_e32 v8, vcc_lo, 0, v4, vcc_lo
	;; [unrolled: 2-line block ×3, first 2 shown]
	v_add_co_u32 v32, vcc_lo, 0x2000, v3
	s_waitcnt lgkmcnt(1)
	s_clause 0x1
	global_store_b32 v[7:8], v29, off offset:1024
	global_store_b32 v[5:6], v11, off offset:-4096
	v_add_co_ci_u32_e32 v33, vcc_lo, 0, v4, vcc_lo
	s_clause 0x12
	global_store_b32 v31, v0, s[4:5]
	global_store_b32 v[5:6], v19, off
	global_store_b32 v[9:10], v12, off offset:512
	global_store_b32 v[9:10], v13, off offset:1024
	;; [unrolled: 1-line block ×14, first 2 shown]
	global_store_b32 v[7:8], v27, off
	global_store_b32 v[7:8], v28, off offset:512
	global_store_b32 v[7:8], v30, off offset:1536
.LBB101_141:
	s_delay_alu instid0(VALU_DEP_1)
	s_and_saveexec_b32 s0, s2
	s_cbranch_execnz .LBB101_143
; %bb.142:
	s_nop 0
	s_sendmsg sendmsg(MSG_DEALLOC_VGPRS)
	s_endpgm
.LBB101_143:
	v_add_co_u32 v0, vcc_lo, 0x3000, v3
	v_add_co_ci_u32_e32 v1, vcc_lo, 0, v4, vcc_lo
	s_waitcnt lgkmcnt(0)
	global_store_b32 v[0:1], v2, off offset:2048
	s_nop 0
	s_sendmsg sendmsg(MSG_DEALLOC_VGPRS)
	s_endpgm
	.section	.rodata,"a",@progbits
	.p2align	6, 0x0
	.amdhsa_kernel _ZN7rocprim17ROCPRIM_400000_NS6detail17trampoline_kernelINS0_14default_configENS1_35adjacent_difference_config_selectorILb1EfEEZNS1_24adjacent_difference_implIS3_Lb1ELb0EPfS7_N6thrust23THRUST_200600_302600_NS4plusIfEEEE10hipError_tPvRmT2_T3_mT4_P12ihipStream_tbEUlT_E_NS1_11comp_targetILNS1_3genE9ELNS1_11target_archE1100ELNS1_3gpuE3ELNS1_3repE0EEENS1_30default_config_static_selectorELNS0_4arch9wavefront6targetE0EEEvT1_
		.amdhsa_group_segment_fixed_size 14848
		.amdhsa_private_segment_fixed_size 0
		.amdhsa_kernarg_size 56
		.amdhsa_user_sgpr_count 15
		.amdhsa_user_sgpr_dispatch_ptr 0
		.amdhsa_user_sgpr_queue_ptr 0
		.amdhsa_user_sgpr_kernarg_segment_ptr 1
		.amdhsa_user_sgpr_dispatch_id 0
		.amdhsa_user_sgpr_private_segment_size 0
		.amdhsa_wavefront_size32 1
		.amdhsa_uses_dynamic_stack 0
		.amdhsa_enable_private_segment 0
		.amdhsa_system_sgpr_workgroup_id_x 1
		.amdhsa_system_sgpr_workgroup_id_y 0
		.amdhsa_system_sgpr_workgroup_id_z 0
		.amdhsa_system_sgpr_workgroup_info 0
		.amdhsa_system_vgpr_workitem_id 0
		.amdhsa_next_free_vgpr 64
		.amdhsa_next_free_sgpr 44
		.amdhsa_reserve_vcc 1
		.amdhsa_float_round_mode_32 0
		.amdhsa_float_round_mode_16_64 0
		.amdhsa_float_denorm_mode_32 3
		.amdhsa_float_denorm_mode_16_64 3
		.amdhsa_dx10_clamp 1
		.amdhsa_ieee_mode 1
		.amdhsa_fp16_overflow 0
		.amdhsa_workgroup_processor_mode 1
		.amdhsa_memory_ordered 1
		.amdhsa_forward_progress 0
		.amdhsa_shared_vgpr_count 0
		.amdhsa_exception_fp_ieee_invalid_op 0
		.amdhsa_exception_fp_denorm_src 0
		.amdhsa_exception_fp_ieee_div_zero 0
		.amdhsa_exception_fp_ieee_overflow 0
		.amdhsa_exception_fp_ieee_underflow 0
		.amdhsa_exception_fp_ieee_inexact 0
		.amdhsa_exception_int_div_zero 0
	.end_amdhsa_kernel
	.section	.text._ZN7rocprim17ROCPRIM_400000_NS6detail17trampoline_kernelINS0_14default_configENS1_35adjacent_difference_config_selectorILb1EfEEZNS1_24adjacent_difference_implIS3_Lb1ELb0EPfS7_N6thrust23THRUST_200600_302600_NS4plusIfEEEE10hipError_tPvRmT2_T3_mT4_P12ihipStream_tbEUlT_E_NS1_11comp_targetILNS1_3genE9ELNS1_11target_archE1100ELNS1_3gpuE3ELNS1_3repE0EEENS1_30default_config_static_selectorELNS0_4arch9wavefront6targetE0EEEvT1_,"axG",@progbits,_ZN7rocprim17ROCPRIM_400000_NS6detail17trampoline_kernelINS0_14default_configENS1_35adjacent_difference_config_selectorILb1EfEEZNS1_24adjacent_difference_implIS3_Lb1ELb0EPfS7_N6thrust23THRUST_200600_302600_NS4plusIfEEEE10hipError_tPvRmT2_T3_mT4_P12ihipStream_tbEUlT_E_NS1_11comp_targetILNS1_3genE9ELNS1_11target_archE1100ELNS1_3gpuE3ELNS1_3repE0EEENS1_30default_config_static_selectorELNS0_4arch9wavefront6targetE0EEEvT1_,comdat
.Lfunc_end101:
	.size	_ZN7rocprim17ROCPRIM_400000_NS6detail17trampoline_kernelINS0_14default_configENS1_35adjacent_difference_config_selectorILb1EfEEZNS1_24adjacent_difference_implIS3_Lb1ELb0EPfS7_N6thrust23THRUST_200600_302600_NS4plusIfEEEE10hipError_tPvRmT2_T3_mT4_P12ihipStream_tbEUlT_E_NS1_11comp_targetILNS1_3genE9ELNS1_11target_archE1100ELNS1_3gpuE3ELNS1_3repE0EEENS1_30default_config_static_selectorELNS0_4arch9wavefront6targetE0EEEvT1_, .Lfunc_end101-_ZN7rocprim17ROCPRIM_400000_NS6detail17trampoline_kernelINS0_14default_configENS1_35adjacent_difference_config_selectorILb1EfEEZNS1_24adjacent_difference_implIS3_Lb1ELb0EPfS7_N6thrust23THRUST_200600_302600_NS4plusIfEEEE10hipError_tPvRmT2_T3_mT4_P12ihipStream_tbEUlT_E_NS1_11comp_targetILNS1_3genE9ELNS1_11target_archE1100ELNS1_3gpuE3ELNS1_3repE0EEENS1_30default_config_static_selectorELNS0_4arch9wavefront6targetE0EEEvT1_
                                        ; -- End function
	.section	.AMDGPU.csdata,"",@progbits
; Kernel info:
; codeLenInByte = 7096
; NumSgprs: 46
; NumVgprs: 64
; ScratchSize: 0
; MemoryBound: 0
; FloatMode: 240
; IeeeMode: 1
; LDSByteSize: 14848 bytes/workgroup (compile time only)
; SGPRBlocks: 5
; VGPRBlocks: 7
; NumSGPRsForWavesPerEU: 46
; NumVGPRsForWavesPerEU: 64
; Occupancy: 8
; WaveLimiterHint : 1
; COMPUTE_PGM_RSRC2:SCRATCH_EN: 0
; COMPUTE_PGM_RSRC2:USER_SGPR: 15
; COMPUTE_PGM_RSRC2:TRAP_HANDLER: 0
; COMPUTE_PGM_RSRC2:TGID_X_EN: 1
; COMPUTE_PGM_RSRC2:TGID_Y_EN: 0
; COMPUTE_PGM_RSRC2:TGID_Z_EN: 0
; COMPUTE_PGM_RSRC2:TIDIG_COMP_CNT: 0
	.section	.text._ZN7rocprim17ROCPRIM_400000_NS6detail17trampoline_kernelINS0_14default_configENS1_35adjacent_difference_config_selectorILb1EfEEZNS1_24adjacent_difference_implIS3_Lb1ELb0EPfS7_N6thrust23THRUST_200600_302600_NS4plusIfEEEE10hipError_tPvRmT2_T3_mT4_P12ihipStream_tbEUlT_E_NS1_11comp_targetILNS1_3genE8ELNS1_11target_archE1030ELNS1_3gpuE2ELNS1_3repE0EEENS1_30default_config_static_selectorELNS0_4arch9wavefront6targetE0EEEvT1_,"axG",@progbits,_ZN7rocprim17ROCPRIM_400000_NS6detail17trampoline_kernelINS0_14default_configENS1_35adjacent_difference_config_selectorILb1EfEEZNS1_24adjacent_difference_implIS3_Lb1ELb0EPfS7_N6thrust23THRUST_200600_302600_NS4plusIfEEEE10hipError_tPvRmT2_T3_mT4_P12ihipStream_tbEUlT_E_NS1_11comp_targetILNS1_3genE8ELNS1_11target_archE1030ELNS1_3gpuE2ELNS1_3repE0EEENS1_30default_config_static_selectorELNS0_4arch9wavefront6targetE0EEEvT1_,comdat
	.protected	_ZN7rocprim17ROCPRIM_400000_NS6detail17trampoline_kernelINS0_14default_configENS1_35adjacent_difference_config_selectorILb1EfEEZNS1_24adjacent_difference_implIS3_Lb1ELb0EPfS7_N6thrust23THRUST_200600_302600_NS4plusIfEEEE10hipError_tPvRmT2_T3_mT4_P12ihipStream_tbEUlT_E_NS1_11comp_targetILNS1_3genE8ELNS1_11target_archE1030ELNS1_3gpuE2ELNS1_3repE0EEENS1_30default_config_static_selectorELNS0_4arch9wavefront6targetE0EEEvT1_ ; -- Begin function _ZN7rocprim17ROCPRIM_400000_NS6detail17trampoline_kernelINS0_14default_configENS1_35adjacent_difference_config_selectorILb1EfEEZNS1_24adjacent_difference_implIS3_Lb1ELb0EPfS7_N6thrust23THRUST_200600_302600_NS4plusIfEEEE10hipError_tPvRmT2_T3_mT4_P12ihipStream_tbEUlT_E_NS1_11comp_targetILNS1_3genE8ELNS1_11target_archE1030ELNS1_3gpuE2ELNS1_3repE0EEENS1_30default_config_static_selectorELNS0_4arch9wavefront6targetE0EEEvT1_
	.globl	_ZN7rocprim17ROCPRIM_400000_NS6detail17trampoline_kernelINS0_14default_configENS1_35adjacent_difference_config_selectorILb1EfEEZNS1_24adjacent_difference_implIS3_Lb1ELb0EPfS7_N6thrust23THRUST_200600_302600_NS4plusIfEEEE10hipError_tPvRmT2_T3_mT4_P12ihipStream_tbEUlT_E_NS1_11comp_targetILNS1_3genE8ELNS1_11target_archE1030ELNS1_3gpuE2ELNS1_3repE0EEENS1_30default_config_static_selectorELNS0_4arch9wavefront6targetE0EEEvT1_
	.p2align	8
	.type	_ZN7rocprim17ROCPRIM_400000_NS6detail17trampoline_kernelINS0_14default_configENS1_35adjacent_difference_config_selectorILb1EfEEZNS1_24adjacent_difference_implIS3_Lb1ELb0EPfS7_N6thrust23THRUST_200600_302600_NS4plusIfEEEE10hipError_tPvRmT2_T3_mT4_P12ihipStream_tbEUlT_E_NS1_11comp_targetILNS1_3genE8ELNS1_11target_archE1030ELNS1_3gpuE2ELNS1_3repE0EEENS1_30default_config_static_selectorELNS0_4arch9wavefront6targetE0EEEvT1_,@function
_ZN7rocprim17ROCPRIM_400000_NS6detail17trampoline_kernelINS0_14default_configENS1_35adjacent_difference_config_selectorILb1EfEEZNS1_24adjacent_difference_implIS3_Lb1ELb0EPfS7_N6thrust23THRUST_200600_302600_NS4plusIfEEEE10hipError_tPvRmT2_T3_mT4_P12ihipStream_tbEUlT_E_NS1_11comp_targetILNS1_3genE8ELNS1_11target_archE1030ELNS1_3gpuE2ELNS1_3repE0EEENS1_30default_config_static_selectorELNS0_4arch9wavefront6targetE0EEEvT1_: ; @_ZN7rocprim17ROCPRIM_400000_NS6detail17trampoline_kernelINS0_14default_configENS1_35adjacent_difference_config_selectorILb1EfEEZNS1_24adjacent_difference_implIS3_Lb1ELb0EPfS7_N6thrust23THRUST_200600_302600_NS4plusIfEEEE10hipError_tPvRmT2_T3_mT4_P12ihipStream_tbEUlT_E_NS1_11comp_targetILNS1_3genE8ELNS1_11target_archE1030ELNS1_3gpuE2ELNS1_3repE0EEENS1_30default_config_static_selectorELNS0_4arch9wavefront6targetE0EEEvT1_
; %bb.0:
	.section	.rodata,"a",@progbits
	.p2align	6, 0x0
	.amdhsa_kernel _ZN7rocprim17ROCPRIM_400000_NS6detail17trampoline_kernelINS0_14default_configENS1_35adjacent_difference_config_selectorILb1EfEEZNS1_24adjacent_difference_implIS3_Lb1ELb0EPfS7_N6thrust23THRUST_200600_302600_NS4plusIfEEEE10hipError_tPvRmT2_T3_mT4_P12ihipStream_tbEUlT_E_NS1_11comp_targetILNS1_3genE8ELNS1_11target_archE1030ELNS1_3gpuE2ELNS1_3repE0EEENS1_30default_config_static_selectorELNS0_4arch9wavefront6targetE0EEEvT1_
		.amdhsa_group_segment_fixed_size 0
		.amdhsa_private_segment_fixed_size 0
		.amdhsa_kernarg_size 56
		.amdhsa_user_sgpr_count 15
		.amdhsa_user_sgpr_dispatch_ptr 0
		.amdhsa_user_sgpr_queue_ptr 0
		.amdhsa_user_sgpr_kernarg_segment_ptr 1
		.amdhsa_user_sgpr_dispatch_id 0
		.amdhsa_user_sgpr_private_segment_size 0
		.amdhsa_wavefront_size32 1
		.amdhsa_uses_dynamic_stack 0
		.amdhsa_enable_private_segment 0
		.amdhsa_system_sgpr_workgroup_id_x 1
		.amdhsa_system_sgpr_workgroup_id_y 0
		.amdhsa_system_sgpr_workgroup_id_z 0
		.amdhsa_system_sgpr_workgroup_info 0
		.amdhsa_system_vgpr_workitem_id 0
		.amdhsa_next_free_vgpr 1
		.amdhsa_next_free_sgpr 1
		.amdhsa_reserve_vcc 0
		.amdhsa_float_round_mode_32 0
		.amdhsa_float_round_mode_16_64 0
		.amdhsa_float_denorm_mode_32 3
		.amdhsa_float_denorm_mode_16_64 3
		.amdhsa_dx10_clamp 1
		.amdhsa_ieee_mode 1
		.amdhsa_fp16_overflow 0
		.amdhsa_workgroup_processor_mode 1
		.amdhsa_memory_ordered 1
		.amdhsa_forward_progress 0
		.amdhsa_shared_vgpr_count 0
		.amdhsa_exception_fp_ieee_invalid_op 0
		.amdhsa_exception_fp_denorm_src 0
		.amdhsa_exception_fp_ieee_div_zero 0
		.amdhsa_exception_fp_ieee_overflow 0
		.amdhsa_exception_fp_ieee_underflow 0
		.amdhsa_exception_fp_ieee_inexact 0
		.amdhsa_exception_int_div_zero 0
	.end_amdhsa_kernel
	.section	.text._ZN7rocprim17ROCPRIM_400000_NS6detail17trampoline_kernelINS0_14default_configENS1_35adjacent_difference_config_selectorILb1EfEEZNS1_24adjacent_difference_implIS3_Lb1ELb0EPfS7_N6thrust23THRUST_200600_302600_NS4plusIfEEEE10hipError_tPvRmT2_T3_mT4_P12ihipStream_tbEUlT_E_NS1_11comp_targetILNS1_3genE8ELNS1_11target_archE1030ELNS1_3gpuE2ELNS1_3repE0EEENS1_30default_config_static_selectorELNS0_4arch9wavefront6targetE0EEEvT1_,"axG",@progbits,_ZN7rocprim17ROCPRIM_400000_NS6detail17trampoline_kernelINS0_14default_configENS1_35adjacent_difference_config_selectorILb1EfEEZNS1_24adjacent_difference_implIS3_Lb1ELb0EPfS7_N6thrust23THRUST_200600_302600_NS4plusIfEEEE10hipError_tPvRmT2_T3_mT4_P12ihipStream_tbEUlT_E_NS1_11comp_targetILNS1_3genE8ELNS1_11target_archE1030ELNS1_3gpuE2ELNS1_3repE0EEENS1_30default_config_static_selectorELNS0_4arch9wavefront6targetE0EEEvT1_,comdat
.Lfunc_end102:
	.size	_ZN7rocprim17ROCPRIM_400000_NS6detail17trampoline_kernelINS0_14default_configENS1_35adjacent_difference_config_selectorILb1EfEEZNS1_24adjacent_difference_implIS3_Lb1ELb0EPfS7_N6thrust23THRUST_200600_302600_NS4plusIfEEEE10hipError_tPvRmT2_T3_mT4_P12ihipStream_tbEUlT_E_NS1_11comp_targetILNS1_3genE8ELNS1_11target_archE1030ELNS1_3gpuE2ELNS1_3repE0EEENS1_30default_config_static_selectorELNS0_4arch9wavefront6targetE0EEEvT1_, .Lfunc_end102-_ZN7rocprim17ROCPRIM_400000_NS6detail17trampoline_kernelINS0_14default_configENS1_35adjacent_difference_config_selectorILb1EfEEZNS1_24adjacent_difference_implIS3_Lb1ELb0EPfS7_N6thrust23THRUST_200600_302600_NS4plusIfEEEE10hipError_tPvRmT2_T3_mT4_P12ihipStream_tbEUlT_E_NS1_11comp_targetILNS1_3genE8ELNS1_11target_archE1030ELNS1_3gpuE2ELNS1_3repE0EEENS1_30default_config_static_selectorELNS0_4arch9wavefront6targetE0EEEvT1_
                                        ; -- End function
	.section	.AMDGPU.csdata,"",@progbits
; Kernel info:
; codeLenInByte = 0
; NumSgprs: 0
; NumVgprs: 0
; ScratchSize: 0
; MemoryBound: 0
; FloatMode: 240
; IeeeMode: 1
; LDSByteSize: 0 bytes/workgroup (compile time only)
; SGPRBlocks: 0
; VGPRBlocks: 0
; NumSGPRsForWavesPerEU: 1
; NumVGPRsForWavesPerEU: 1
; Occupancy: 16
; WaveLimiterHint : 0
; COMPUTE_PGM_RSRC2:SCRATCH_EN: 0
; COMPUTE_PGM_RSRC2:USER_SGPR: 15
; COMPUTE_PGM_RSRC2:TRAP_HANDLER: 0
; COMPUTE_PGM_RSRC2:TGID_X_EN: 1
; COMPUTE_PGM_RSRC2:TGID_Y_EN: 0
; COMPUTE_PGM_RSRC2:TGID_Z_EN: 0
; COMPUTE_PGM_RSRC2:TIDIG_COMP_CNT: 0
	.section	.text._ZN6thrust23THRUST_200600_302600_NS11hip_rocprim14__parallel_for6kernelILj256ENS1_20__uninitialized_fill7functorINS0_10device_ptrIyEEyEEmLj1EEEvT0_T1_SA_,"axG",@progbits,_ZN6thrust23THRUST_200600_302600_NS11hip_rocprim14__parallel_for6kernelILj256ENS1_20__uninitialized_fill7functorINS0_10device_ptrIyEEyEEmLj1EEEvT0_T1_SA_,comdat
	.protected	_ZN6thrust23THRUST_200600_302600_NS11hip_rocprim14__parallel_for6kernelILj256ENS1_20__uninitialized_fill7functorINS0_10device_ptrIyEEyEEmLj1EEEvT0_T1_SA_ ; -- Begin function _ZN6thrust23THRUST_200600_302600_NS11hip_rocprim14__parallel_for6kernelILj256ENS1_20__uninitialized_fill7functorINS0_10device_ptrIyEEyEEmLj1EEEvT0_T1_SA_
	.globl	_ZN6thrust23THRUST_200600_302600_NS11hip_rocprim14__parallel_for6kernelILj256ENS1_20__uninitialized_fill7functorINS0_10device_ptrIyEEyEEmLj1EEEvT0_T1_SA_
	.p2align	8
	.type	_ZN6thrust23THRUST_200600_302600_NS11hip_rocprim14__parallel_for6kernelILj256ENS1_20__uninitialized_fill7functorINS0_10device_ptrIyEEyEEmLj1EEEvT0_T1_SA_,@function
_ZN6thrust23THRUST_200600_302600_NS11hip_rocprim14__parallel_for6kernelILj256ENS1_20__uninitialized_fill7functorINS0_10device_ptrIyEEyEEmLj1EEEvT0_T1_SA_: ; @_ZN6thrust23THRUST_200600_302600_NS11hip_rocprim14__parallel_for6kernelILj256ENS1_20__uninitialized_fill7functorINS0_10device_ptrIyEEyEEmLj1EEEvT0_T1_SA_
; %bb.0:
	s_load_b256 s[0:7], s[0:1], 0x0
	s_lshl_b32 s8, s15, 8
	s_waitcnt lgkmcnt(0)
	s_add_u32 s6, s8, s6
	s_addc_u32 s7, 0, s7
	s_sub_u32 s4, s4, s6
	s_subb_u32 s5, s5, s7
	s_delay_alu instid0(SALU_CYCLE_1) | instskip(NEXT) | instid1(VALU_DEP_1)
	v_cmp_gt_u64_e64 s5, 0x100, s[4:5]
	s_and_b32 vcc_lo, exec_lo, s5
	s_mov_b32 s5, 0
	s_cbranch_vccz .LBB103_2
; %bb.1:
	v_cmp_gt_u32_e32 vcc_lo, s4, v0
	s_and_b32 s5, vcc_lo, exec_lo
	s_cbranch_execz .LBB103_3
	s_branch .LBB103_4
.LBB103_2:
.LBB103_3:
	s_or_b32 s5, s5, exec_lo
.LBB103_4:
	s_delay_alu instid0(SALU_CYCLE_1)
	s_and_saveexec_b32 s4, s5
	s_cbranch_execnz .LBB103_6
; %bb.5:
	s_endpgm
.LBB103_6:
	v_dual_mov_b32 v1, 0 :: v_dual_mov_b32 v2, s2
	s_lshl_b64 s[4:5], s[6:7], 3
	v_mov_b32_e32 v3, s3
	s_add_u32 s0, s0, s4
	s_delay_alu instid0(VALU_DEP_2) | instskip(SKIP_1) | instid1(VALU_DEP_1)
	v_lshlrev_b64 v[0:1], 3, v[0:1]
	s_addc_u32 s1, s1, s5
	v_add_co_u32 v0, vcc_lo, s0, v0
	s_delay_alu instid0(VALU_DEP_2)
	v_add_co_ci_u32_e32 v1, vcc_lo, s1, v1, vcc_lo
	flat_store_b64 v[0:1], v[2:3]
	s_endpgm
	.section	.rodata,"a",@progbits
	.p2align	6, 0x0
	.amdhsa_kernel _ZN6thrust23THRUST_200600_302600_NS11hip_rocprim14__parallel_for6kernelILj256ENS1_20__uninitialized_fill7functorINS0_10device_ptrIyEEyEEmLj1EEEvT0_T1_SA_
		.amdhsa_group_segment_fixed_size 0
		.amdhsa_private_segment_fixed_size 0
		.amdhsa_kernarg_size 32
		.amdhsa_user_sgpr_count 15
		.amdhsa_user_sgpr_dispatch_ptr 0
		.amdhsa_user_sgpr_queue_ptr 0
		.amdhsa_user_sgpr_kernarg_segment_ptr 1
		.amdhsa_user_sgpr_dispatch_id 0
		.amdhsa_user_sgpr_private_segment_size 0
		.amdhsa_wavefront_size32 1
		.amdhsa_uses_dynamic_stack 0
		.amdhsa_enable_private_segment 0
		.amdhsa_system_sgpr_workgroup_id_x 1
		.amdhsa_system_sgpr_workgroup_id_y 0
		.amdhsa_system_sgpr_workgroup_id_z 0
		.amdhsa_system_sgpr_workgroup_info 0
		.amdhsa_system_vgpr_workitem_id 0
		.amdhsa_next_free_vgpr 4
		.amdhsa_next_free_sgpr 16
		.amdhsa_reserve_vcc 1
		.amdhsa_float_round_mode_32 0
		.amdhsa_float_round_mode_16_64 0
		.amdhsa_float_denorm_mode_32 3
		.amdhsa_float_denorm_mode_16_64 3
		.amdhsa_dx10_clamp 1
		.amdhsa_ieee_mode 1
		.amdhsa_fp16_overflow 0
		.amdhsa_workgroup_processor_mode 1
		.amdhsa_memory_ordered 1
		.amdhsa_forward_progress 0
		.amdhsa_shared_vgpr_count 0
		.amdhsa_exception_fp_ieee_invalid_op 0
		.amdhsa_exception_fp_denorm_src 0
		.amdhsa_exception_fp_ieee_div_zero 0
		.amdhsa_exception_fp_ieee_overflow 0
		.amdhsa_exception_fp_ieee_underflow 0
		.amdhsa_exception_fp_ieee_inexact 0
		.amdhsa_exception_int_div_zero 0
	.end_amdhsa_kernel
	.section	.text._ZN6thrust23THRUST_200600_302600_NS11hip_rocprim14__parallel_for6kernelILj256ENS1_20__uninitialized_fill7functorINS0_10device_ptrIyEEyEEmLj1EEEvT0_T1_SA_,"axG",@progbits,_ZN6thrust23THRUST_200600_302600_NS11hip_rocprim14__parallel_for6kernelILj256ENS1_20__uninitialized_fill7functorINS0_10device_ptrIyEEyEEmLj1EEEvT0_T1_SA_,comdat
.Lfunc_end103:
	.size	_ZN6thrust23THRUST_200600_302600_NS11hip_rocprim14__parallel_for6kernelILj256ENS1_20__uninitialized_fill7functorINS0_10device_ptrIyEEyEEmLj1EEEvT0_T1_SA_, .Lfunc_end103-_ZN6thrust23THRUST_200600_302600_NS11hip_rocprim14__parallel_for6kernelILj256ENS1_20__uninitialized_fill7functorINS0_10device_ptrIyEEyEEmLj1EEEvT0_T1_SA_
                                        ; -- End function
	.section	.AMDGPU.csdata,"",@progbits
; Kernel info:
; codeLenInByte = 160
; NumSgprs: 18
; NumVgprs: 4
; ScratchSize: 0
; MemoryBound: 0
; FloatMode: 240
; IeeeMode: 1
; LDSByteSize: 0 bytes/workgroup (compile time only)
; SGPRBlocks: 2
; VGPRBlocks: 0
; NumSGPRsForWavesPerEU: 18
; NumVGPRsForWavesPerEU: 4
; Occupancy: 16
; WaveLimiterHint : 0
; COMPUTE_PGM_RSRC2:SCRATCH_EN: 0
; COMPUTE_PGM_RSRC2:USER_SGPR: 15
; COMPUTE_PGM_RSRC2:TRAP_HANDLER: 0
; COMPUTE_PGM_RSRC2:TGID_X_EN: 1
; COMPUTE_PGM_RSRC2:TGID_Y_EN: 0
; COMPUTE_PGM_RSRC2:TGID_Z_EN: 0
; COMPUTE_PGM_RSRC2:TIDIG_COMP_CNT: 0
	.section	.text._ZN7rocprim17ROCPRIM_400000_NS6detail17trampoline_kernelINS0_14default_configENS1_35adjacent_difference_config_selectorILb0EyEEZNS1_24adjacent_difference_implIS3_Lb0ELb0EPyS7_N6thrust23THRUST_200600_302600_NS5minusIyEEEE10hipError_tPvRmT2_T3_mT4_P12ihipStream_tbEUlT_E_NS1_11comp_targetILNS1_3genE0ELNS1_11target_archE4294967295ELNS1_3gpuE0ELNS1_3repE0EEENS1_30default_config_static_selectorELNS0_4arch9wavefront6targetE0EEEvT1_,"axG",@progbits,_ZN7rocprim17ROCPRIM_400000_NS6detail17trampoline_kernelINS0_14default_configENS1_35adjacent_difference_config_selectorILb0EyEEZNS1_24adjacent_difference_implIS3_Lb0ELb0EPyS7_N6thrust23THRUST_200600_302600_NS5minusIyEEEE10hipError_tPvRmT2_T3_mT4_P12ihipStream_tbEUlT_E_NS1_11comp_targetILNS1_3genE0ELNS1_11target_archE4294967295ELNS1_3gpuE0ELNS1_3repE0EEENS1_30default_config_static_selectorELNS0_4arch9wavefront6targetE0EEEvT1_,comdat
	.protected	_ZN7rocprim17ROCPRIM_400000_NS6detail17trampoline_kernelINS0_14default_configENS1_35adjacent_difference_config_selectorILb0EyEEZNS1_24adjacent_difference_implIS3_Lb0ELb0EPyS7_N6thrust23THRUST_200600_302600_NS5minusIyEEEE10hipError_tPvRmT2_T3_mT4_P12ihipStream_tbEUlT_E_NS1_11comp_targetILNS1_3genE0ELNS1_11target_archE4294967295ELNS1_3gpuE0ELNS1_3repE0EEENS1_30default_config_static_selectorELNS0_4arch9wavefront6targetE0EEEvT1_ ; -- Begin function _ZN7rocprim17ROCPRIM_400000_NS6detail17trampoline_kernelINS0_14default_configENS1_35adjacent_difference_config_selectorILb0EyEEZNS1_24adjacent_difference_implIS3_Lb0ELb0EPyS7_N6thrust23THRUST_200600_302600_NS5minusIyEEEE10hipError_tPvRmT2_T3_mT4_P12ihipStream_tbEUlT_E_NS1_11comp_targetILNS1_3genE0ELNS1_11target_archE4294967295ELNS1_3gpuE0ELNS1_3repE0EEENS1_30default_config_static_selectorELNS0_4arch9wavefront6targetE0EEEvT1_
	.globl	_ZN7rocprim17ROCPRIM_400000_NS6detail17trampoline_kernelINS0_14default_configENS1_35adjacent_difference_config_selectorILb0EyEEZNS1_24adjacent_difference_implIS3_Lb0ELb0EPyS7_N6thrust23THRUST_200600_302600_NS5minusIyEEEE10hipError_tPvRmT2_T3_mT4_P12ihipStream_tbEUlT_E_NS1_11comp_targetILNS1_3genE0ELNS1_11target_archE4294967295ELNS1_3gpuE0ELNS1_3repE0EEENS1_30default_config_static_selectorELNS0_4arch9wavefront6targetE0EEEvT1_
	.p2align	8
	.type	_ZN7rocprim17ROCPRIM_400000_NS6detail17trampoline_kernelINS0_14default_configENS1_35adjacent_difference_config_selectorILb0EyEEZNS1_24adjacent_difference_implIS3_Lb0ELb0EPyS7_N6thrust23THRUST_200600_302600_NS5minusIyEEEE10hipError_tPvRmT2_T3_mT4_P12ihipStream_tbEUlT_E_NS1_11comp_targetILNS1_3genE0ELNS1_11target_archE4294967295ELNS1_3gpuE0ELNS1_3repE0EEENS1_30default_config_static_selectorELNS0_4arch9wavefront6targetE0EEEvT1_,@function
_ZN7rocprim17ROCPRIM_400000_NS6detail17trampoline_kernelINS0_14default_configENS1_35adjacent_difference_config_selectorILb0EyEEZNS1_24adjacent_difference_implIS3_Lb0ELb0EPyS7_N6thrust23THRUST_200600_302600_NS5minusIyEEEE10hipError_tPvRmT2_T3_mT4_P12ihipStream_tbEUlT_E_NS1_11comp_targetILNS1_3genE0ELNS1_11target_archE4294967295ELNS1_3gpuE0ELNS1_3repE0EEENS1_30default_config_static_selectorELNS0_4arch9wavefront6targetE0EEEvT1_: ; @_ZN7rocprim17ROCPRIM_400000_NS6detail17trampoline_kernelINS0_14default_configENS1_35adjacent_difference_config_selectorILb0EyEEZNS1_24adjacent_difference_implIS3_Lb0ELb0EPyS7_N6thrust23THRUST_200600_302600_NS5minusIyEEEE10hipError_tPvRmT2_T3_mT4_P12ihipStream_tbEUlT_E_NS1_11comp_targetILNS1_3genE0ELNS1_11target_archE4294967295ELNS1_3gpuE0ELNS1_3repE0EEENS1_30default_config_static_selectorELNS0_4arch9wavefront6targetE0EEEvT1_
; %bb.0:
	.section	.rodata,"a",@progbits
	.p2align	6, 0x0
	.amdhsa_kernel _ZN7rocprim17ROCPRIM_400000_NS6detail17trampoline_kernelINS0_14default_configENS1_35adjacent_difference_config_selectorILb0EyEEZNS1_24adjacent_difference_implIS3_Lb0ELb0EPyS7_N6thrust23THRUST_200600_302600_NS5minusIyEEEE10hipError_tPvRmT2_T3_mT4_P12ihipStream_tbEUlT_E_NS1_11comp_targetILNS1_3genE0ELNS1_11target_archE4294967295ELNS1_3gpuE0ELNS1_3repE0EEENS1_30default_config_static_selectorELNS0_4arch9wavefront6targetE0EEEvT1_
		.amdhsa_group_segment_fixed_size 0
		.amdhsa_private_segment_fixed_size 0
		.amdhsa_kernarg_size 56
		.amdhsa_user_sgpr_count 15
		.amdhsa_user_sgpr_dispatch_ptr 0
		.amdhsa_user_sgpr_queue_ptr 0
		.amdhsa_user_sgpr_kernarg_segment_ptr 1
		.amdhsa_user_sgpr_dispatch_id 0
		.amdhsa_user_sgpr_private_segment_size 0
		.amdhsa_wavefront_size32 1
		.amdhsa_uses_dynamic_stack 0
		.amdhsa_enable_private_segment 0
		.amdhsa_system_sgpr_workgroup_id_x 1
		.amdhsa_system_sgpr_workgroup_id_y 0
		.amdhsa_system_sgpr_workgroup_id_z 0
		.amdhsa_system_sgpr_workgroup_info 0
		.amdhsa_system_vgpr_workitem_id 0
		.amdhsa_next_free_vgpr 1
		.amdhsa_next_free_sgpr 1
		.amdhsa_reserve_vcc 0
		.amdhsa_float_round_mode_32 0
		.amdhsa_float_round_mode_16_64 0
		.amdhsa_float_denorm_mode_32 3
		.amdhsa_float_denorm_mode_16_64 3
		.amdhsa_dx10_clamp 1
		.amdhsa_ieee_mode 1
		.amdhsa_fp16_overflow 0
		.amdhsa_workgroup_processor_mode 1
		.amdhsa_memory_ordered 1
		.amdhsa_forward_progress 0
		.amdhsa_shared_vgpr_count 0
		.amdhsa_exception_fp_ieee_invalid_op 0
		.amdhsa_exception_fp_denorm_src 0
		.amdhsa_exception_fp_ieee_div_zero 0
		.amdhsa_exception_fp_ieee_overflow 0
		.amdhsa_exception_fp_ieee_underflow 0
		.amdhsa_exception_fp_ieee_inexact 0
		.amdhsa_exception_int_div_zero 0
	.end_amdhsa_kernel
	.section	.text._ZN7rocprim17ROCPRIM_400000_NS6detail17trampoline_kernelINS0_14default_configENS1_35adjacent_difference_config_selectorILb0EyEEZNS1_24adjacent_difference_implIS3_Lb0ELb0EPyS7_N6thrust23THRUST_200600_302600_NS5minusIyEEEE10hipError_tPvRmT2_T3_mT4_P12ihipStream_tbEUlT_E_NS1_11comp_targetILNS1_3genE0ELNS1_11target_archE4294967295ELNS1_3gpuE0ELNS1_3repE0EEENS1_30default_config_static_selectorELNS0_4arch9wavefront6targetE0EEEvT1_,"axG",@progbits,_ZN7rocprim17ROCPRIM_400000_NS6detail17trampoline_kernelINS0_14default_configENS1_35adjacent_difference_config_selectorILb0EyEEZNS1_24adjacent_difference_implIS3_Lb0ELb0EPyS7_N6thrust23THRUST_200600_302600_NS5minusIyEEEE10hipError_tPvRmT2_T3_mT4_P12ihipStream_tbEUlT_E_NS1_11comp_targetILNS1_3genE0ELNS1_11target_archE4294967295ELNS1_3gpuE0ELNS1_3repE0EEENS1_30default_config_static_selectorELNS0_4arch9wavefront6targetE0EEEvT1_,comdat
.Lfunc_end104:
	.size	_ZN7rocprim17ROCPRIM_400000_NS6detail17trampoline_kernelINS0_14default_configENS1_35adjacent_difference_config_selectorILb0EyEEZNS1_24adjacent_difference_implIS3_Lb0ELb0EPyS7_N6thrust23THRUST_200600_302600_NS5minusIyEEEE10hipError_tPvRmT2_T3_mT4_P12ihipStream_tbEUlT_E_NS1_11comp_targetILNS1_3genE0ELNS1_11target_archE4294967295ELNS1_3gpuE0ELNS1_3repE0EEENS1_30default_config_static_selectorELNS0_4arch9wavefront6targetE0EEEvT1_, .Lfunc_end104-_ZN7rocprim17ROCPRIM_400000_NS6detail17trampoline_kernelINS0_14default_configENS1_35adjacent_difference_config_selectorILb0EyEEZNS1_24adjacent_difference_implIS3_Lb0ELb0EPyS7_N6thrust23THRUST_200600_302600_NS5minusIyEEEE10hipError_tPvRmT2_T3_mT4_P12ihipStream_tbEUlT_E_NS1_11comp_targetILNS1_3genE0ELNS1_11target_archE4294967295ELNS1_3gpuE0ELNS1_3repE0EEENS1_30default_config_static_selectorELNS0_4arch9wavefront6targetE0EEEvT1_
                                        ; -- End function
	.section	.AMDGPU.csdata,"",@progbits
; Kernel info:
; codeLenInByte = 0
; NumSgprs: 0
; NumVgprs: 0
; ScratchSize: 0
; MemoryBound: 0
; FloatMode: 240
; IeeeMode: 1
; LDSByteSize: 0 bytes/workgroup (compile time only)
; SGPRBlocks: 0
; VGPRBlocks: 0
; NumSGPRsForWavesPerEU: 1
; NumVGPRsForWavesPerEU: 1
; Occupancy: 16
; WaveLimiterHint : 0
; COMPUTE_PGM_RSRC2:SCRATCH_EN: 0
; COMPUTE_PGM_RSRC2:USER_SGPR: 15
; COMPUTE_PGM_RSRC2:TRAP_HANDLER: 0
; COMPUTE_PGM_RSRC2:TGID_X_EN: 1
; COMPUTE_PGM_RSRC2:TGID_Y_EN: 0
; COMPUTE_PGM_RSRC2:TGID_Z_EN: 0
; COMPUTE_PGM_RSRC2:TIDIG_COMP_CNT: 0
	.section	.text._ZN7rocprim17ROCPRIM_400000_NS6detail17trampoline_kernelINS0_14default_configENS1_35adjacent_difference_config_selectorILb0EyEEZNS1_24adjacent_difference_implIS3_Lb0ELb0EPyS7_N6thrust23THRUST_200600_302600_NS5minusIyEEEE10hipError_tPvRmT2_T3_mT4_P12ihipStream_tbEUlT_E_NS1_11comp_targetILNS1_3genE10ELNS1_11target_archE1201ELNS1_3gpuE5ELNS1_3repE0EEENS1_30default_config_static_selectorELNS0_4arch9wavefront6targetE0EEEvT1_,"axG",@progbits,_ZN7rocprim17ROCPRIM_400000_NS6detail17trampoline_kernelINS0_14default_configENS1_35adjacent_difference_config_selectorILb0EyEEZNS1_24adjacent_difference_implIS3_Lb0ELb0EPyS7_N6thrust23THRUST_200600_302600_NS5minusIyEEEE10hipError_tPvRmT2_T3_mT4_P12ihipStream_tbEUlT_E_NS1_11comp_targetILNS1_3genE10ELNS1_11target_archE1201ELNS1_3gpuE5ELNS1_3repE0EEENS1_30default_config_static_selectorELNS0_4arch9wavefront6targetE0EEEvT1_,comdat
	.protected	_ZN7rocprim17ROCPRIM_400000_NS6detail17trampoline_kernelINS0_14default_configENS1_35adjacent_difference_config_selectorILb0EyEEZNS1_24adjacent_difference_implIS3_Lb0ELb0EPyS7_N6thrust23THRUST_200600_302600_NS5minusIyEEEE10hipError_tPvRmT2_T3_mT4_P12ihipStream_tbEUlT_E_NS1_11comp_targetILNS1_3genE10ELNS1_11target_archE1201ELNS1_3gpuE5ELNS1_3repE0EEENS1_30default_config_static_selectorELNS0_4arch9wavefront6targetE0EEEvT1_ ; -- Begin function _ZN7rocprim17ROCPRIM_400000_NS6detail17trampoline_kernelINS0_14default_configENS1_35adjacent_difference_config_selectorILb0EyEEZNS1_24adjacent_difference_implIS3_Lb0ELb0EPyS7_N6thrust23THRUST_200600_302600_NS5minusIyEEEE10hipError_tPvRmT2_T3_mT4_P12ihipStream_tbEUlT_E_NS1_11comp_targetILNS1_3genE10ELNS1_11target_archE1201ELNS1_3gpuE5ELNS1_3repE0EEENS1_30default_config_static_selectorELNS0_4arch9wavefront6targetE0EEEvT1_
	.globl	_ZN7rocprim17ROCPRIM_400000_NS6detail17trampoline_kernelINS0_14default_configENS1_35adjacent_difference_config_selectorILb0EyEEZNS1_24adjacent_difference_implIS3_Lb0ELb0EPyS7_N6thrust23THRUST_200600_302600_NS5minusIyEEEE10hipError_tPvRmT2_T3_mT4_P12ihipStream_tbEUlT_E_NS1_11comp_targetILNS1_3genE10ELNS1_11target_archE1201ELNS1_3gpuE5ELNS1_3repE0EEENS1_30default_config_static_selectorELNS0_4arch9wavefront6targetE0EEEvT1_
	.p2align	8
	.type	_ZN7rocprim17ROCPRIM_400000_NS6detail17trampoline_kernelINS0_14default_configENS1_35adjacent_difference_config_selectorILb0EyEEZNS1_24adjacent_difference_implIS3_Lb0ELb0EPyS7_N6thrust23THRUST_200600_302600_NS5minusIyEEEE10hipError_tPvRmT2_T3_mT4_P12ihipStream_tbEUlT_E_NS1_11comp_targetILNS1_3genE10ELNS1_11target_archE1201ELNS1_3gpuE5ELNS1_3repE0EEENS1_30default_config_static_selectorELNS0_4arch9wavefront6targetE0EEEvT1_,@function
_ZN7rocprim17ROCPRIM_400000_NS6detail17trampoline_kernelINS0_14default_configENS1_35adjacent_difference_config_selectorILb0EyEEZNS1_24adjacent_difference_implIS3_Lb0ELb0EPyS7_N6thrust23THRUST_200600_302600_NS5minusIyEEEE10hipError_tPvRmT2_T3_mT4_P12ihipStream_tbEUlT_E_NS1_11comp_targetILNS1_3genE10ELNS1_11target_archE1201ELNS1_3gpuE5ELNS1_3repE0EEENS1_30default_config_static_selectorELNS0_4arch9wavefront6targetE0EEEvT1_: ; @_ZN7rocprim17ROCPRIM_400000_NS6detail17trampoline_kernelINS0_14default_configENS1_35adjacent_difference_config_selectorILb0EyEEZNS1_24adjacent_difference_implIS3_Lb0ELb0EPyS7_N6thrust23THRUST_200600_302600_NS5minusIyEEEE10hipError_tPvRmT2_T3_mT4_P12ihipStream_tbEUlT_E_NS1_11comp_targetILNS1_3genE10ELNS1_11target_archE1201ELNS1_3gpuE5ELNS1_3repE0EEENS1_30default_config_static_selectorELNS0_4arch9wavefront6targetE0EEEvT1_
; %bb.0:
	.section	.rodata,"a",@progbits
	.p2align	6, 0x0
	.amdhsa_kernel _ZN7rocprim17ROCPRIM_400000_NS6detail17trampoline_kernelINS0_14default_configENS1_35adjacent_difference_config_selectorILb0EyEEZNS1_24adjacent_difference_implIS3_Lb0ELb0EPyS7_N6thrust23THRUST_200600_302600_NS5minusIyEEEE10hipError_tPvRmT2_T3_mT4_P12ihipStream_tbEUlT_E_NS1_11comp_targetILNS1_3genE10ELNS1_11target_archE1201ELNS1_3gpuE5ELNS1_3repE0EEENS1_30default_config_static_selectorELNS0_4arch9wavefront6targetE0EEEvT1_
		.amdhsa_group_segment_fixed_size 0
		.amdhsa_private_segment_fixed_size 0
		.amdhsa_kernarg_size 56
		.amdhsa_user_sgpr_count 15
		.amdhsa_user_sgpr_dispatch_ptr 0
		.amdhsa_user_sgpr_queue_ptr 0
		.amdhsa_user_sgpr_kernarg_segment_ptr 1
		.amdhsa_user_sgpr_dispatch_id 0
		.amdhsa_user_sgpr_private_segment_size 0
		.amdhsa_wavefront_size32 1
		.amdhsa_uses_dynamic_stack 0
		.amdhsa_enable_private_segment 0
		.amdhsa_system_sgpr_workgroup_id_x 1
		.amdhsa_system_sgpr_workgroup_id_y 0
		.amdhsa_system_sgpr_workgroup_id_z 0
		.amdhsa_system_sgpr_workgroup_info 0
		.amdhsa_system_vgpr_workitem_id 0
		.amdhsa_next_free_vgpr 1
		.amdhsa_next_free_sgpr 1
		.amdhsa_reserve_vcc 0
		.amdhsa_float_round_mode_32 0
		.amdhsa_float_round_mode_16_64 0
		.amdhsa_float_denorm_mode_32 3
		.amdhsa_float_denorm_mode_16_64 3
		.amdhsa_dx10_clamp 1
		.amdhsa_ieee_mode 1
		.amdhsa_fp16_overflow 0
		.amdhsa_workgroup_processor_mode 1
		.amdhsa_memory_ordered 1
		.amdhsa_forward_progress 0
		.amdhsa_shared_vgpr_count 0
		.amdhsa_exception_fp_ieee_invalid_op 0
		.amdhsa_exception_fp_denorm_src 0
		.amdhsa_exception_fp_ieee_div_zero 0
		.amdhsa_exception_fp_ieee_overflow 0
		.amdhsa_exception_fp_ieee_underflow 0
		.amdhsa_exception_fp_ieee_inexact 0
		.amdhsa_exception_int_div_zero 0
	.end_amdhsa_kernel
	.section	.text._ZN7rocprim17ROCPRIM_400000_NS6detail17trampoline_kernelINS0_14default_configENS1_35adjacent_difference_config_selectorILb0EyEEZNS1_24adjacent_difference_implIS3_Lb0ELb0EPyS7_N6thrust23THRUST_200600_302600_NS5minusIyEEEE10hipError_tPvRmT2_T3_mT4_P12ihipStream_tbEUlT_E_NS1_11comp_targetILNS1_3genE10ELNS1_11target_archE1201ELNS1_3gpuE5ELNS1_3repE0EEENS1_30default_config_static_selectorELNS0_4arch9wavefront6targetE0EEEvT1_,"axG",@progbits,_ZN7rocprim17ROCPRIM_400000_NS6detail17trampoline_kernelINS0_14default_configENS1_35adjacent_difference_config_selectorILb0EyEEZNS1_24adjacent_difference_implIS3_Lb0ELb0EPyS7_N6thrust23THRUST_200600_302600_NS5minusIyEEEE10hipError_tPvRmT2_T3_mT4_P12ihipStream_tbEUlT_E_NS1_11comp_targetILNS1_3genE10ELNS1_11target_archE1201ELNS1_3gpuE5ELNS1_3repE0EEENS1_30default_config_static_selectorELNS0_4arch9wavefront6targetE0EEEvT1_,comdat
.Lfunc_end105:
	.size	_ZN7rocprim17ROCPRIM_400000_NS6detail17trampoline_kernelINS0_14default_configENS1_35adjacent_difference_config_selectorILb0EyEEZNS1_24adjacent_difference_implIS3_Lb0ELb0EPyS7_N6thrust23THRUST_200600_302600_NS5minusIyEEEE10hipError_tPvRmT2_T3_mT4_P12ihipStream_tbEUlT_E_NS1_11comp_targetILNS1_3genE10ELNS1_11target_archE1201ELNS1_3gpuE5ELNS1_3repE0EEENS1_30default_config_static_selectorELNS0_4arch9wavefront6targetE0EEEvT1_, .Lfunc_end105-_ZN7rocprim17ROCPRIM_400000_NS6detail17trampoline_kernelINS0_14default_configENS1_35adjacent_difference_config_selectorILb0EyEEZNS1_24adjacent_difference_implIS3_Lb0ELb0EPyS7_N6thrust23THRUST_200600_302600_NS5minusIyEEEE10hipError_tPvRmT2_T3_mT4_P12ihipStream_tbEUlT_E_NS1_11comp_targetILNS1_3genE10ELNS1_11target_archE1201ELNS1_3gpuE5ELNS1_3repE0EEENS1_30default_config_static_selectorELNS0_4arch9wavefront6targetE0EEEvT1_
                                        ; -- End function
	.section	.AMDGPU.csdata,"",@progbits
; Kernel info:
; codeLenInByte = 0
; NumSgprs: 0
; NumVgprs: 0
; ScratchSize: 0
; MemoryBound: 0
; FloatMode: 240
; IeeeMode: 1
; LDSByteSize: 0 bytes/workgroup (compile time only)
; SGPRBlocks: 0
; VGPRBlocks: 0
; NumSGPRsForWavesPerEU: 1
; NumVGPRsForWavesPerEU: 1
; Occupancy: 16
; WaveLimiterHint : 0
; COMPUTE_PGM_RSRC2:SCRATCH_EN: 0
; COMPUTE_PGM_RSRC2:USER_SGPR: 15
; COMPUTE_PGM_RSRC2:TRAP_HANDLER: 0
; COMPUTE_PGM_RSRC2:TGID_X_EN: 1
; COMPUTE_PGM_RSRC2:TGID_Y_EN: 0
; COMPUTE_PGM_RSRC2:TGID_Z_EN: 0
; COMPUTE_PGM_RSRC2:TIDIG_COMP_CNT: 0
	.section	.text._ZN7rocprim17ROCPRIM_400000_NS6detail17trampoline_kernelINS0_14default_configENS1_35adjacent_difference_config_selectorILb0EyEEZNS1_24adjacent_difference_implIS3_Lb0ELb0EPyS7_N6thrust23THRUST_200600_302600_NS5minusIyEEEE10hipError_tPvRmT2_T3_mT4_P12ihipStream_tbEUlT_E_NS1_11comp_targetILNS1_3genE5ELNS1_11target_archE942ELNS1_3gpuE9ELNS1_3repE0EEENS1_30default_config_static_selectorELNS0_4arch9wavefront6targetE0EEEvT1_,"axG",@progbits,_ZN7rocprim17ROCPRIM_400000_NS6detail17trampoline_kernelINS0_14default_configENS1_35adjacent_difference_config_selectorILb0EyEEZNS1_24adjacent_difference_implIS3_Lb0ELb0EPyS7_N6thrust23THRUST_200600_302600_NS5minusIyEEEE10hipError_tPvRmT2_T3_mT4_P12ihipStream_tbEUlT_E_NS1_11comp_targetILNS1_3genE5ELNS1_11target_archE942ELNS1_3gpuE9ELNS1_3repE0EEENS1_30default_config_static_selectorELNS0_4arch9wavefront6targetE0EEEvT1_,comdat
	.protected	_ZN7rocprim17ROCPRIM_400000_NS6detail17trampoline_kernelINS0_14default_configENS1_35adjacent_difference_config_selectorILb0EyEEZNS1_24adjacent_difference_implIS3_Lb0ELb0EPyS7_N6thrust23THRUST_200600_302600_NS5minusIyEEEE10hipError_tPvRmT2_T3_mT4_P12ihipStream_tbEUlT_E_NS1_11comp_targetILNS1_3genE5ELNS1_11target_archE942ELNS1_3gpuE9ELNS1_3repE0EEENS1_30default_config_static_selectorELNS0_4arch9wavefront6targetE0EEEvT1_ ; -- Begin function _ZN7rocprim17ROCPRIM_400000_NS6detail17trampoline_kernelINS0_14default_configENS1_35adjacent_difference_config_selectorILb0EyEEZNS1_24adjacent_difference_implIS3_Lb0ELb0EPyS7_N6thrust23THRUST_200600_302600_NS5minusIyEEEE10hipError_tPvRmT2_T3_mT4_P12ihipStream_tbEUlT_E_NS1_11comp_targetILNS1_3genE5ELNS1_11target_archE942ELNS1_3gpuE9ELNS1_3repE0EEENS1_30default_config_static_selectorELNS0_4arch9wavefront6targetE0EEEvT1_
	.globl	_ZN7rocprim17ROCPRIM_400000_NS6detail17trampoline_kernelINS0_14default_configENS1_35adjacent_difference_config_selectorILb0EyEEZNS1_24adjacent_difference_implIS3_Lb0ELb0EPyS7_N6thrust23THRUST_200600_302600_NS5minusIyEEEE10hipError_tPvRmT2_T3_mT4_P12ihipStream_tbEUlT_E_NS1_11comp_targetILNS1_3genE5ELNS1_11target_archE942ELNS1_3gpuE9ELNS1_3repE0EEENS1_30default_config_static_selectorELNS0_4arch9wavefront6targetE0EEEvT1_
	.p2align	8
	.type	_ZN7rocprim17ROCPRIM_400000_NS6detail17trampoline_kernelINS0_14default_configENS1_35adjacent_difference_config_selectorILb0EyEEZNS1_24adjacent_difference_implIS3_Lb0ELb0EPyS7_N6thrust23THRUST_200600_302600_NS5minusIyEEEE10hipError_tPvRmT2_T3_mT4_P12ihipStream_tbEUlT_E_NS1_11comp_targetILNS1_3genE5ELNS1_11target_archE942ELNS1_3gpuE9ELNS1_3repE0EEENS1_30default_config_static_selectorELNS0_4arch9wavefront6targetE0EEEvT1_,@function
_ZN7rocprim17ROCPRIM_400000_NS6detail17trampoline_kernelINS0_14default_configENS1_35adjacent_difference_config_selectorILb0EyEEZNS1_24adjacent_difference_implIS3_Lb0ELb0EPyS7_N6thrust23THRUST_200600_302600_NS5minusIyEEEE10hipError_tPvRmT2_T3_mT4_P12ihipStream_tbEUlT_E_NS1_11comp_targetILNS1_3genE5ELNS1_11target_archE942ELNS1_3gpuE9ELNS1_3repE0EEENS1_30default_config_static_selectorELNS0_4arch9wavefront6targetE0EEEvT1_: ; @_ZN7rocprim17ROCPRIM_400000_NS6detail17trampoline_kernelINS0_14default_configENS1_35adjacent_difference_config_selectorILb0EyEEZNS1_24adjacent_difference_implIS3_Lb0ELb0EPyS7_N6thrust23THRUST_200600_302600_NS5minusIyEEEE10hipError_tPvRmT2_T3_mT4_P12ihipStream_tbEUlT_E_NS1_11comp_targetILNS1_3genE5ELNS1_11target_archE942ELNS1_3gpuE9ELNS1_3repE0EEENS1_30default_config_static_selectorELNS0_4arch9wavefront6targetE0EEEvT1_
; %bb.0:
	.section	.rodata,"a",@progbits
	.p2align	6, 0x0
	.amdhsa_kernel _ZN7rocprim17ROCPRIM_400000_NS6detail17trampoline_kernelINS0_14default_configENS1_35adjacent_difference_config_selectorILb0EyEEZNS1_24adjacent_difference_implIS3_Lb0ELb0EPyS7_N6thrust23THRUST_200600_302600_NS5minusIyEEEE10hipError_tPvRmT2_T3_mT4_P12ihipStream_tbEUlT_E_NS1_11comp_targetILNS1_3genE5ELNS1_11target_archE942ELNS1_3gpuE9ELNS1_3repE0EEENS1_30default_config_static_selectorELNS0_4arch9wavefront6targetE0EEEvT1_
		.amdhsa_group_segment_fixed_size 0
		.amdhsa_private_segment_fixed_size 0
		.amdhsa_kernarg_size 56
		.amdhsa_user_sgpr_count 15
		.amdhsa_user_sgpr_dispatch_ptr 0
		.amdhsa_user_sgpr_queue_ptr 0
		.amdhsa_user_sgpr_kernarg_segment_ptr 1
		.amdhsa_user_sgpr_dispatch_id 0
		.amdhsa_user_sgpr_private_segment_size 0
		.amdhsa_wavefront_size32 1
		.amdhsa_uses_dynamic_stack 0
		.amdhsa_enable_private_segment 0
		.amdhsa_system_sgpr_workgroup_id_x 1
		.amdhsa_system_sgpr_workgroup_id_y 0
		.amdhsa_system_sgpr_workgroup_id_z 0
		.amdhsa_system_sgpr_workgroup_info 0
		.amdhsa_system_vgpr_workitem_id 0
		.amdhsa_next_free_vgpr 1
		.amdhsa_next_free_sgpr 1
		.amdhsa_reserve_vcc 0
		.amdhsa_float_round_mode_32 0
		.amdhsa_float_round_mode_16_64 0
		.amdhsa_float_denorm_mode_32 3
		.amdhsa_float_denorm_mode_16_64 3
		.amdhsa_dx10_clamp 1
		.amdhsa_ieee_mode 1
		.amdhsa_fp16_overflow 0
		.amdhsa_workgroup_processor_mode 1
		.amdhsa_memory_ordered 1
		.amdhsa_forward_progress 0
		.amdhsa_shared_vgpr_count 0
		.amdhsa_exception_fp_ieee_invalid_op 0
		.amdhsa_exception_fp_denorm_src 0
		.amdhsa_exception_fp_ieee_div_zero 0
		.amdhsa_exception_fp_ieee_overflow 0
		.amdhsa_exception_fp_ieee_underflow 0
		.amdhsa_exception_fp_ieee_inexact 0
		.amdhsa_exception_int_div_zero 0
	.end_amdhsa_kernel
	.section	.text._ZN7rocprim17ROCPRIM_400000_NS6detail17trampoline_kernelINS0_14default_configENS1_35adjacent_difference_config_selectorILb0EyEEZNS1_24adjacent_difference_implIS3_Lb0ELb0EPyS7_N6thrust23THRUST_200600_302600_NS5minusIyEEEE10hipError_tPvRmT2_T3_mT4_P12ihipStream_tbEUlT_E_NS1_11comp_targetILNS1_3genE5ELNS1_11target_archE942ELNS1_3gpuE9ELNS1_3repE0EEENS1_30default_config_static_selectorELNS0_4arch9wavefront6targetE0EEEvT1_,"axG",@progbits,_ZN7rocprim17ROCPRIM_400000_NS6detail17trampoline_kernelINS0_14default_configENS1_35adjacent_difference_config_selectorILb0EyEEZNS1_24adjacent_difference_implIS3_Lb0ELb0EPyS7_N6thrust23THRUST_200600_302600_NS5minusIyEEEE10hipError_tPvRmT2_T3_mT4_P12ihipStream_tbEUlT_E_NS1_11comp_targetILNS1_3genE5ELNS1_11target_archE942ELNS1_3gpuE9ELNS1_3repE0EEENS1_30default_config_static_selectorELNS0_4arch9wavefront6targetE0EEEvT1_,comdat
.Lfunc_end106:
	.size	_ZN7rocprim17ROCPRIM_400000_NS6detail17trampoline_kernelINS0_14default_configENS1_35adjacent_difference_config_selectorILb0EyEEZNS1_24adjacent_difference_implIS3_Lb0ELb0EPyS7_N6thrust23THRUST_200600_302600_NS5minusIyEEEE10hipError_tPvRmT2_T3_mT4_P12ihipStream_tbEUlT_E_NS1_11comp_targetILNS1_3genE5ELNS1_11target_archE942ELNS1_3gpuE9ELNS1_3repE0EEENS1_30default_config_static_selectorELNS0_4arch9wavefront6targetE0EEEvT1_, .Lfunc_end106-_ZN7rocprim17ROCPRIM_400000_NS6detail17trampoline_kernelINS0_14default_configENS1_35adjacent_difference_config_selectorILb0EyEEZNS1_24adjacent_difference_implIS3_Lb0ELb0EPyS7_N6thrust23THRUST_200600_302600_NS5minusIyEEEE10hipError_tPvRmT2_T3_mT4_P12ihipStream_tbEUlT_E_NS1_11comp_targetILNS1_3genE5ELNS1_11target_archE942ELNS1_3gpuE9ELNS1_3repE0EEENS1_30default_config_static_selectorELNS0_4arch9wavefront6targetE0EEEvT1_
                                        ; -- End function
	.section	.AMDGPU.csdata,"",@progbits
; Kernel info:
; codeLenInByte = 0
; NumSgprs: 0
; NumVgprs: 0
; ScratchSize: 0
; MemoryBound: 0
; FloatMode: 240
; IeeeMode: 1
; LDSByteSize: 0 bytes/workgroup (compile time only)
; SGPRBlocks: 0
; VGPRBlocks: 0
; NumSGPRsForWavesPerEU: 1
; NumVGPRsForWavesPerEU: 1
; Occupancy: 16
; WaveLimiterHint : 0
; COMPUTE_PGM_RSRC2:SCRATCH_EN: 0
; COMPUTE_PGM_RSRC2:USER_SGPR: 15
; COMPUTE_PGM_RSRC2:TRAP_HANDLER: 0
; COMPUTE_PGM_RSRC2:TGID_X_EN: 1
; COMPUTE_PGM_RSRC2:TGID_Y_EN: 0
; COMPUTE_PGM_RSRC2:TGID_Z_EN: 0
; COMPUTE_PGM_RSRC2:TIDIG_COMP_CNT: 0
	.section	.text._ZN7rocprim17ROCPRIM_400000_NS6detail17trampoline_kernelINS0_14default_configENS1_35adjacent_difference_config_selectorILb0EyEEZNS1_24adjacent_difference_implIS3_Lb0ELb0EPyS7_N6thrust23THRUST_200600_302600_NS5minusIyEEEE10hipError_tPvRmT2_T3_mT4_P12ihipStream_tbEUlT_E_NS1_11comp_targetILNS1_3genE4ELNS1_11target_archE910ELNS1_3gpuE8ELNS1_3repE0EEENS1_30default_config_static_selectorELNS0_4arch9wavefront6targetE0EEEvT1_,"axG",@progbits,_ZN7rocprim17ROCPRIM_400000_NS6detail17trampoline_kernelINS0_14default_configENS1_35adjacent_difference_config_selectorILb0EyEEZNS1_24adjacent_difference_implIS3_Lb0ELb0EPyS7_N6thrust23THRUST_200600_302600_NS5minusIyEEEE10hipError_tPvRmT2_T3_mT4_P12ihipStream_tbEUlT_E_NS1_11comp_targetILNS1_3genE4ELNS1_11target_archE910ELNS1_3gpuE8ELNS1_3repE0EEENS1_30default_config_static_selectorELNS0_4arch9wavefront6targetE0EEEvT1_,comdat
	.protected	_ZN7rocprim17ROCPRIM_400000_NS6detail17trampoline_kernelINS0_14default_configENS1_35adjacent_difference_config_selectorILb0EyEEZNS1_24adjacent_difference_implIS3_Lb0ELb0EPyS7_N6thrust23THRUST_200600_302600_NS5minusIyEEEE10hipError_tPvRmT2_T3_mT4_P12ihipStream_tbEUlT_E_NS1_11comp_targetILNS1_3genE4ELNS1_11target_archE910ELNS1_3gpuE8ELNS1_3repE0EEENS1_30default_config_static_selectorELNS0_4arch9wavefront6targetE0EEEvT1_ ; -- Begin function _ZN7rocprim17ROCPRIM_400000_NS6detail17trampoline_kernelINS0_14default_configENS1_35adjacent_difference_config_selectorILb0EyEEZNS1_24adjacent_difference_implIS3_Lb0ELb0EPyS7_N6thrust23THRUST_200600_302600_NS5minusIyEEEE10hipError_tPvRmT2_T3_mT4_P12ihipStream_tbEUlT_E_NS1_11comp_targetILNS1_3genE4ELNS1_11target_archE910ELNS1_3gpuE8ELNS1_3repE0EEENS1_30default_config_static_selectorELNS0_4arch9wavefront6targetE0EEEvT1_
	.globl	_ZN7rocprim17ROCPRIM_400000_NS6detail17trampoline_kernelINS0_14default_configENS1_35adjacent_difference_config_selectorILb0EyEEZNS1_24adjacent_difference_implIS3_Lb0ELb0EPyS7_N6thrust23THRUST_200600_302600_NS5minusIyEEEE10hipError_tPvRmT2_T3_mT4_P12ihipStream_tbEUlT_E_NS1_11comp_targetILNS1_3genE4ELNS1_11target_archE910ELNS1_3gpuE8ELNS1_3repE0EEENS1_30default_config_static_selectorELNS0_4arch9wavefront6targetE0EEEvT1_
	.p2align	8
	.type	_ZN7rocprim17ROCPRIM_400000_NS6detail17trampoline_kernelINS0_14default_configENS1_35adjacent_difference_config_selectorILb0EyEEZNS1_24adjacent_difference_implIS3_Lb0ELb0EPyS7_N6thrust23THRUST_200600_302600_NS5minusIyEEEE10hipError_tPvRmT2_T3_mT4_P12ihipStream_tbEUlT_E_NS1_11comp_targetILNS1_3genE4ELNS1_11target_archE910ELNS1_3gpuE8ELNS1_3repE0EEENS1_30default_config_static_selectorELNS0_4arch9wavefront6targetE0EEEvT1_,@function
_ZN7rocprim17ROCPRIM_400000_NS6detail17trampoline_kernelINS0_14default_configENS1_35adjacent_difference_config_selectorILb0EyEEZNS1_24adjacent_difference_implIS3_Lb0ELb0EPyS7_N6thrust23THRUST_200600_302600_NS5minusIyEEEE10hipError_tPvRmT2_T3_mT4_P12ihipStream_tbEUlT_E_NS1_11comp_targetILNS1_3genE4ELNS1_11target_archE910ELNS1_3gpuE8ELNS1_3repE0EEENS1_30default_config_static_selectorELNS0_4arch9wavefront6targetE0EEEvT1_: ; @_ZN7rocprim17ROCPRIM_400000_NS6detail17trampoline_kernelINS0_14default_configENS1_35adjacent_difference_config_selectorILb0EyEEZNS1_24adjacent_difference_implIS3_Lb0ELb0EPyS7_N6thrust23THRUST_200600_302600_NS5minusIyEEEE10hipError_tPvRmT2_T3_mT4_P12ihipStream_tbEUlT_E_NS1_11comp_targetILNS1_3genE4ELNS1_11target_archE910ELNS1_3gpuE8ELNS1_3repE0EEENS1_30default_config_static_selectorELNS0_4arch9wavefront6targetE0EEEvT1_
; %bb.0:
	.section	.rodata,"a",@progbits
	.p2align	6, 0x0
	.amdhsa_kernel _ZN7rocprim17ROCPRIM_400000_NS6detail17trampoline_kernelINS0_14default_configENS1_35adjacent_difference_config_selectorILb0EyEEZNS1_24adjacent_difference_implIS3_Lb0ELb0EPyS7_N6thrust23THRUST_200600_302600_NS5minusIyEEEE10hipError_tPvRmT2_T3_mT4_P12ihipStream_tbEUlT_E_NS1_11comp_targetILNS1_3genE4ELNS1_11target_archE910ELNS1_3gpuE8ELNS1_3repE0EEENS1_30default_config_static_selectorELNS0_4arch9wavefront6targetE0EEEvT1_
		.amdhsa_group_segment_fixed_size 0
		.amdhsa_private_segment_fixed_size 0
		.amdhsa_kernarg_size 56
		.amdhsa_user_sgpr_count 15
		.amdhsa_user_sgpr_dispatch_ptr 0
		.amdhsa_user_sgpr_queue_ptr 0
		.amdhsa_user_sgpr_kernarg_segment_ptr 1
		.amdhsa_user_sgpr_dispatch_id 0
		.amdhsa_user_sgpr_private_segment_size 0
		.amdhsa_wavefront_size32 1
		.amdhsa_uses_dynamic_stack 0
		.amdhsa_enable_private_segment 0
		.amdhsa_system_sgpr_workgroup_id_x 1
		.amdhsa_system_sgpr_workgroup_id_y 0
		.amdhsa_system_sgpr_workgroup_id_z 0
		.amdhsa_system_sgpr_workgroup_info 0
		.amdhsa_system_vgpr_workitem_id 0
		.amdhsa_next_free_vgpr 1
		.amdhsa_next_free_sgpr 1
		.amdhsa_reserve_vcc 0
		.amdhsa_float_round_mode_32 0
		.amdhsa_float_round_mode_16_64 0
		.amdhsa_float_denorm_mode_32 3
		.amdhsa_float_denorm_mode_16_64 3
		.amdhsa_dx10_clamp 1
		.amdhsa_ieee_mode 1
		.amdhsa_fp16_overflow 0
		.amdhsa_workgroup_processor_mode 1
		.amdhsa_memory_ordered 1
		.amdhsa_forward_progress 0
		.amdhsa_shared_vgpr_count 0
		.amdhsa_exception_fp_ieee_invalid_op 0
		.amdhsa_exception_fp_denorm_src 0
		.amdhsa_exception_fp_ieee_div_zero 0
		.amdhsa_exception_fp_ieee_overflow 0
		.amdhsa_exception_fp_ieee_underflow 0
		.amdhsa_exception_fp_ieee_inexact 0
		.amdhsa_exception_int_div_zero 0
	.end_amdhsa_kernel
	.section	.text._ZN7rocprim17ROCPRIM_400000_NS6detail17trampoline_kernelINS0_14default_configENS1_35adjacent_difference_config_selectorILb0EyEEZNS1_24adjacent_difference_implIS3_Lb0ELb0EPyS7_N6thrust23THRUST_200600_302600_NS5minusIyEEEE10hipError_tPvRmT2_T3_mT4_P12ihipStream_tbEUlT_E_NS1_11comp_targetILNS1_3genE4ELNS1_11target_archE910ELNS1_3gpuE8ELNS1_3repE0EEENS1_30default_config_static_selectorELNS0_4arch9wavefront6targetE0EEEvT1_,"axG",@progbits,_ZN7rocprim17ROCPRIM_400000_NS6detail17trampoline_kernelINS0_14default_configENS1_35adjacent_difference_config_selectorILb0EyEEZNS1_24adjacent_difference_implIS3_Lb0ELb0EPyS7_N6thrust23THRUST_200600_302600_NS5minusIyEEEE10hipError_tPvRmT2_T3_mT4_P12ihipStream_tbEUlT_E_NS1_11comp_targetILNS1_3genE4ELNS1_11target_archE910ELNS1_3gpuE8ELNS1_3repE0EEENS1_30default_config_static_selectorELNS0_4arch9wavefront6targetE0EEEvT1_,comdat
.Lfunc_end107:
	.size	_ZN7rocprim17ROCPRIM_400000_NS6detail17trampoline_kernelINS0_14default_configENS1_35adjacent_difference_config_selectorILb0EyEEZNS1_24adjacent_difference_implIS3_Lb0ELb0EPyS7_N6thrust23THRUST_200600_302600_NS5minusIyEEEE10hipError_tPvRmT2_T3_mT4_P12ihipStream_tbEUlT_E_NS1_11comp_targetILNS1_3genE4ELNS1_11target_archE910ELNS1_3gpuE8ELNS1_3repE0EEENS1_30default_config_static_selectorELNS0_4arch9wavefront6targetE0EEEvT1_, .Lfunc_end107-_ZN7rocprim17ROCPRIM_400000_NS6detail17trampoline_kernelINS0_14default_configENS1_35adjacent_difference_config_selectorILb0EyEEZNS1_24adjacent_difference_implIS3_Lb0ELb0EPyS7_N6thrust23THRUST_200600_302600_NS5minusIyEEEE10hipError_tPvRmT2_T3_mT4_P12ihipStream_tbEUlT_E_NS1_11comp_targetILNS1_3genE4ELNS1_11target_archE910ELNS1_3gpuE8ELNS1_3repE0EEENS1_30default_config_static_selectorELNS0_4arch9wavefront6targetE0EEEvT1_
                                        ; -- End function
	.section	.AMDGPU.csdata,"",@progbits
; Kernel info:
; codeLenInByte = 0
; NumSgprs: 0
; NumVgprs: 0
; ScratchSize: 0
; MemoryBound: 0
; FloatMode: 240
; IeeeMode: 1
; LDSByteSize: 0 bytes/workgroup (compile time only)
; SGPRBlocks: 0
; VGPRBlocks: 0
; NumSGPRsForWavesPerEU: 1
; NumVGPRsForWavesPerEU: 1
; Occupancy: 16
; WaveLimiterHint : 0
; COMPUTE_PGM_RSRC2:SCRATCH_EN: 0
; COMPUTE_PGM_RSRC2:USER_SGPR: 15
; COMPUTE_PGM_RSRC2:TRAP_HANDLER: 0
; COMPUTE_PGM_RSRC2:TGID_X_EN: 1
; COMPUTE_PGM_RSRC2:TGID_Y_EN: 0
; COMPUTE_PGM_RSRC2:TGID_Z_EN: 0
; COMPUTE_PGM_RSRC2:TIDIG_COMP_CNT: 0
	.section	.text._ZN7rocprim17ROCPRIM_400000_NS6detail17trampoline_kernelINS0_14default_configENS1_35adjacent_difference_config_selectorILb0EyEEZNS1_24adjacent_difference_implIS3_Lb0ELb0EPyS7_N6thrust23THRUST_200600_302600_NS5minusIyEEEE10hipError_tPvRmT2_T3_mT4_P12ihipStream_tbEUlT_E_NS1_11comp_targetILNS1_3genE3ELNS1_11target_archE908ELNS1_3gpuE7ELNS1_3repE0EEENS1_30default_config_static_selectorELNS0_4arch9wavefront6targetE0EEEvT1_,"axG",@progbits,_ZN7rocprim17ROCPRIM_400000_NS6detail17trampoline_kernelINS0_14default_configENS1_35adjacent_difference_config_selectorILb0EyEEZNS1_24adjacent_difference_implIS3_Lb0ELb0EPyS7_N6thrust23THRUST_200600_302600_NS5minusIyEEEE10hipError_tPvRmT2_T3_mT4_P12ihipStream_tbEUlT_E_NS1_11comp_targetILNS1_3genE3ELNS1_11target_archE908ELNS1_3gpuE7ELNS1_3repE0EEENS1_30default_config_static_selectorELNS0_4arch9wavefront6targetE0EEEvT1_,comdat
	.protected	_ZN7rocprim17ROCPRIM_400000_NS6detail17trampoline_kernelINS0_14default_configENS1_35adjacent_difference_config_selectorILb0EyEEZNS1_24adjacent_difference_implIS3_Lb0ELb0EPyS7_N6thrust23THRUST_200600_302600_NS5minusIyEEEE10hipError_tPvRmT2_T3_mT4_P12ihipStream_tbEUlT_E_NS1_11comp_targetILNS1_3genE3ELNS1_11target_archE908ELNS1_3gpuE7ELNS1_3repE0EEENS1_30default_config_static_selectorELNS0_4arch9wavefront6targetE0EEEvT1_ ; -- Begin function _ZN7rocprim17ROCPRIM_400000_NS6detail17trampoline_kernelINS0_14default_configENS1_35adjacent_difference_config_selectorILb0EyEEZNS1_24adjacent_difference_implIS3_Lb0ELb0EPyS7_N6thrust23THRUST_200600_302600_NS5minusIyEEEE10hipError_tPvRmT2_T3_mT4_P12ihipStream_tbEUlT_E_NS1_11comp_targetILNS1_3genE3ELNS1_11target_archE908ELNS1_3gpuE7ELNS1_3repE0EEENS1_30default_config_static_selectorELNS0_4arch9wavefront6targetE0EEEvT1_
	.globl	_ZN7rocprim17ROCPRIM_400000_NS6detail17trampoline_kernelINS0_14default_configENS1_35adjacent_difference_config_selectorILb0EyEEZNS1_24adjacent_difference_implIS3_Lb0ELb0EPyS7_N6thrust23THRUST_200600_302600_NS5minusIyEEEE10hipError_tPvRmT2_T3_mT4_P12ihipStream_tbEUlT_E_NS1_11comp_targetILNS1_3genE3ELNS1_11target_archE908ELNS1_3gpuE7ELNS1_3repE0EEENS1_30default_config_static_selectorELNS0_4arch9wavefront6targetE0EEEvT1_
	.p2align	8
	.type	_ZN7rocprim17ROCPRIM_400000_NS6detail17trampoline_kernelINS0_14default_configENS1_35adjacent_difference_config_selectorILb0EyEEZNS1_24adjacent_difference_implIS3_Lb0ELb0EPyS7_N6thrust23THRUST_200600_302600_NS5minusIyEEEE10hipError_tPvRmT2_T3_mT4_P12ihipStream_tbEUlT_E_NS1_11comp_targetILNS1_3genE3ELNS1_11target_archE908ELNS1_3gpuE7ELNS1_3repE0EEENS1_30default_config_static_selectorELNS0_4arch9wavefront6targetE0EEEvT1_,@function
_ZN7rocprim17ROCPRIM_400000_NS6detail17trampoline_kernelINS0_14default_configENS1_35adjacent_difference_config_selectorILb0EyEEZNS1_24adjacent_difference_implIS3_Lb0ELb0EPyS7_N6thrust23THRUST_200600_302600_NS5minusIyEEEE10hipError_tPvRmT2_T3_mT4_P12ihipStream_tbEUlT_E_NS1_11comp_targetILNS1_3genE3ELNS1_11target_archE908ELNS1_3gpuE7ELNS1_3repE0EEENS1_30default_config_static_selectorELNS0_4arch9wavefront6targetE0EEEvT1_: ; @_ZN7rocprim17ROCPRIM_400000_NS6detail17trampoline_kernelINS0_14default_configENS1_35adjacent_difference_config_selectorILb0EyEEZNS1_24adjacent_difference_implIS3_Lb0ELb0EPyS7_N6thrust23THRUST_200600_302600_NS5minusIyEEEE10hipError_tPvRmT2_T3_mT4_P12ihipStream_tbEUlT_E_NS1_11comp_targetILNS1_3genE3ELNS1_11target_archE908ELNS1_3gpuE7ELNS1_3repE0EEENS1_30default_config_static_selectorELNS0_4arch9wavefront6targetE0EEEvT1_
; %bb.0:
	.section	.rodata,"a",@progbits
	.p2align	6, 0x0
	.amdhsa_kernel _ZN7rocprim17ROCPRIM_400000_NS6detail17trampoline_kernelINS0_14default_configENS1_35adjacent_difference_config_selectorILb0EyEEZNS1_24adjacent_difference_implIS3_Lb0ELb0EPyS7_N6thrust23THRUST_200600_302600_NS5minusIyEEEE10hipError_tPvRmT2_T3_mT4_P12ihipStream_tbEUlT_E_NS1_11comp_targetILNS1_3genE3ELNS1_11target_archE908ELNS1_3gpuE7ELNS1_3repE0EEENS1_30default_config_static_selectorELNS0_4arch9wavefront6targetE0EEEvT1_
		.amdhsa_group_segment_fixed_size 0
		.amdhsa_private_segment_fixed_size 0
		.amdhsa_kernarg_size 56
		.amdhsa_user_sgpr_count 15
		.amdhsa_user_sgpr_dispatch_ptr 0
		.amdhsa_user_sgpr_queue_ptr 0
		.amdhsa_user_sgpr_kernarg_segment_ptr 1
		.amdhsa_user_sgpr_dispatch_id 0
		.amdhsa_user_sgpr_private_segment_size 0
		.amdhsa_wavefront_size32 1
		.amdhsa_uses_dynamic_stack 0
		.amdhsa_enable_private_segment 0
		.amdhsa_system_sgpr_workgroup_id_x 1
		.amdhsa_system_sgpr_workgroup_id_y 0
		.amdhsa_system_sgpr_workgroup_id_z 0
		.amdhsa_system_sgpr_workgroup_info 0
		.amdhsa_system_vgpr_workitem_id 0
		.amdhsa_next_free_vgpr 1
		.amdhsa_next_free_sgpr 1
		.amdhsa_reserve_vcc 0
		.amdhsa_float_round_mode_32 0
		.amdhsa_float_round_mode_16_64 0
		.amdhsa_float_denorm_mode_32 3
		.amdhsa_float_denorm_mode_16_64 3
		.amdhsa_dx10_clamp 1
		.amdhsa_ieee_mode 1
		.amdhsa_fp16_overflow 0
		.amdhsa_workgroup_processor_mode 1
		.amdhsa_memory_ordered 1
		.amdhsa_forward_progress 0
		.amdhsa_shared_vgpr_count 0
		.amdhsa_exception_fp_ieee_invalid_op 0
		.amdhsa_exception_fp_denorm_src 0
		.amdhsa_exception_fp_ieee_div_zero 0
		.amdhsa_exception_fp_ieee_overflow 0
		.amdhsa_exception_fp_ieee_underflow 0
		.amdhsa_exception_fp_ieee_inexact 0
		.amdhsa_exception_int_div_zero 0
	.end_amdhsa_kernel
	.section	.text._ZN7rocprim17ROCPRIM_400000_NS6detail17trampoline_kernelINS0_14default_configENS1_35adjacent_difference_config_selectorILb0EyEEZNS1_24adjacent_difference_implIS3_Lb0ELb0EPyS7_N6thrust23THRUST_200600_302600_NS5minusIyEEEE10hipError_tPvRmT2_T3_mT4_P12ihipStream_tbEUlT_E_NS1_11comp_targetILNS1_3genE3ELNS1_11target_archE908ELNS1_3gpuE7ELNS1_3repE0EEENS1_30default_config_static_selectorELNS0_4arch9wavefront6targetE0EEEvT1_,"axG",@progbits,_ZN7rocprim17ROCPRIM_400000_NS6detail17trampoline_kernelINS0_14default_configENS1_35adjacent_difference_config_selectorILb0EyEEZNS1_24adjacent_difference_implIS3_Lb0ELb0EPyS7_N6thrust23THRUST_200600_302600_NS5minusIyEEEE10hipError_tPvRmT2_T3_mT4_P12ihipStream_tbEUlT_E_NS1_11comp_targetILNS1_3genE3ELNS1_11target_archE908ELNS1_3gpuE7ELNS1_3repE0EEENS1_30default_config_static_selectorELNS0_4arch9wavefront6targetE0EEEvT1_,comdat
.Lfunc_end108:
	.size	_ZN7rocprim17ROCPRIM_400000_NS6detail17trampoline_kernelINS0_14default_configENS1_35adjacent_difference_config_selectorILb0EyEEZNS1_24adjacent_difference_implIS3_Lb0ELb0EPyS7_N6thrust23THRUST_200600_302600_NS5minusIyEEEE10hipError_tPvRmT2_T3_mT4_P12ihipStream_tbEUlT_E_NS1_11comp_targetILNS1_3genE3ELNS1_11target_archE908ELNS1_3gpuE7ELNS1_3repE0EEENS1_30default_config_static_selectorELNS0_4arch9wavefront6targetE0EEEvT1_, .Lfunc_end108-_ZN7rocprim17ROCPRIM_400000_NS6detail17trampoline_kernelINS0_14default_configENS1_35adjacent_difference_config_selectorILb0EyEEZNS1_24adjacent_difference_implIS3_Lb0ELb0EPyS7_N6thrust23THRUST_200600_302600_NS5minusIyEEEE10hipError_tPvRmT2_T3_mT4_P12ihipStream_tbEUlT_E_NS1_11comp_targetILNS1_3genE3ELNS1_11target_archE908ELNS1_3gpuE7ELNS1_3repE0EEENS1_30default_config_static_selectorELNS0_4arch9wavefront6targetE0EEEvT1_
                                        ; -- End function
	.section	.AMDGPU.csdata,"",@progbits
; Kernel info:
; codeLenInByte = 0
; NumSgprs: 0
; NumVgprs: 0
; ScratchSize: 0
; MemoryBound: 0
; FloatMode: 240
; IeeeMode: 1
; LDSByteSize: 0 bytes/workgroup (compile time only)
; SGPRBlocks: 0
; VGPRBlocks: 0
; NumSGPRsForWavesPerEU: 1
; NumVGPRsForWavesPerEU: 1
; Occupancy: 16
; WaveLimiterHint : 0
; COMPUTE_PGM_RSRC2:SCRATCH_EN: 0
; COMPUTE_PGM_RSRC2:USER_SGPR: 15
; COMPUTE_PGM_RSRC2:TRAP_HANDLER: 0
; COMPUTE_PGM_RSRC2:TGID_X_EN: 1
; COMPUTE_PGM_RSRC2:TGID_Y_EN: 0
; COMPUTE_PGM_RSRC2:TGID_Z_EN: 0
; COMPUTE_PGM_RSRC2:TIDIG_COMP_CNT: 0
	.section	.text._ZN7rocprim17ROCPRIM_400000_NS6detail17trampoline_kernelINS0_14default_configENS1_35adjacent_difference_config_selectorILb0EyEEZNS1_24adjacent_difference_implIS3_Lb0ELb0EPyS7_N6thrust23THRUST_200600_302600_NS5minusIyEEEE10hipError_tPvRmT2_T3_mT4_P12ihipStream_tbEUlT_E_NS1_11comp_targetILNS1_3genE2ELNS1_11target_archE906ELNS1_3gpuE6ELNS1_3repE0EEENS1_30default_config_static_selectorELNS0_4arch9wavefront6targetE0EEEvT1_,"axG",@progbits,_ZN7rocprim17ROCPRIM_400000_NS6detail17trampoline_kernelINS0_14default_configENS1_35adjacent_difference_config_selectorILb0EyEEZNS1_24adjacent_difference_implIS3_Lb0ELb0EPyS7_N6thrust23THRUST_200600_302600_NS5minusIyEEEE10hipError_tPvRmT2_T3_mT4_P12ihipStream_tbEUlT_E_NS1_11comp_targetILNS1_3genE2ELNS1_11target_archE906ELNS1_3gpuE6ELNS1_3repE0EEENS1_30default_config_static_selectorELNS0_4arch9wavefront6targetE0EEEvT1_,comdat
	.protected	_ZN7rocprim17ROCPRIM_400000_NS6detail17trampoline_kernelINS0_14default_configENS1_35adjacent_difference_config_selectorILb0EyEEZNS1_24adjacent_difference_implIS3_Lb0ELb0EPyS7_N6thrust23THRUST_200600_302600_NS5minusIyEEEE10hipError_tPvRmT2_T3_mT4_P12ihipStream_tbEUlT_E_NS1_11comp_targetILNS1_3genE2ELNS1_11target_archE906ELNS1_3gpuE6ELNS1_3repE0EEENS1_30default_config_static_selectorELNS0_4arch9wavefront6targetE0EEEvT1_ ; -- Begin function _ZN7rocprim17ROCPRIM_400000_NS6detail17trampoline_kernelINS0_14default_configENS1_35adjacent_difference_config_selectorILb0EyEEZNS1_24adjacent_difference_implIS3_Lb0ELb0EPyS7_N6thrust23THRUST_200600_302600_NS5minusIyEEEE10hipError_tPvRmT2_T3_mT4_P12ihipStream_tbEUlT_E_NS1_11comp_targetILNS1_3genE2ELNS1_11target_archE906ELNS1_3gpuE6ELNS1_3repE0EEENS1_30default_config_static_selectorELNS0_4arch9wavefront6targetE0EEEvT1_
	.globl	_ZN7rocprim17ROCPRIM_400000_NS6detail17trampoline_kernelINS0_14default_configENS1_35adjacent_difference_config_selectorILb0EyEEZNS1_24adjacent_difference_implIS3_Lb0ELb0EPyS7_N6thrust23THRUST_200600_302600_NS5minusIyEEEE10hipError_tPvRmT2_T3_mT4_P12ihipStream_tbEUlT_E_NS1_11comp_targetILNS1_3genE2ELNS1_11target_archE906ELNS1_3gpuE6ELNS1_3repE0EEENS1_30default_config_static_selectorELNS0_4arch9wavefront6targetE0EEEvT1_
	.p2align	8
	.type	_ZN7rocprim17ROCPRIM_400000_NS6detail17trampoline_kernelINS0_14default_configENS1_35adjacent_difference_config_selectorILb0EyEEZNS1_24adjacent_difference_implIS3_Lb0ELb0EPyS7_N6thrust23THRUST_200600_302600_NS5minusIyEEEE10hipError_tPvRmT2_T3_mT4_P12ihipStream_tbEUlT_E_NS1_11comp_targetILNS1_3genE2ELNS1_11target_archE906ELNS1_3gpuE6ELNS1_3repE0EEENS1_30default_config_static_selectorELNS0_4arch9wavefront6targetE0EEEvT1_,@function
_ZN7rocprim17ROCPRIM_400000_NS6detail17trampoline_kernelINS0_14default_configENS1_35adjacent_difference_config_selectorILb0EyEEZNS1_24adjacent_difference_implIS3_Lb0ELb0EPyS7_N6thrust23THRUST_200600_302600_NS5minusIyEEEE10hipError_tPvRmT2_T3_mT4_P12ihipStream_tbEUlT_E_NS1_11comp_targetILNS1_3genE2ELNS1_11target_archE906ELNS1_3gpuE6ELNS1_3repE0EEENS1_30default_config_static_selectorELNS0_4arch9wavefront6targetE0EEEvT1_: ; @_ZN7rocprim17ROCPRIM_400000_NS6detail17trampoline_kernelINS0_14default_configENS1_35adjacent_difference_config_selectorILb0EyEEZNS1_24adjacent_difference_implIS3_Lb0ELb0EPyS7_N6thrust23THRUST_200600_302600_NS5minusIyEEEE10hipError_tPvRmT2_T3_mT4_P12ihipStream_tbEUlT_E_NS1_11comp_targetILNS1_3genE2ELNS1_11target_archE906ELNS1_3gpuE6ELNS1_3repE0EEENS1_30default_config_static_selectorELNS0_4arch9wavefront6targetE0EEEvT1_
; %bb.0:
	.section	.rodata,"a",@progbits
	.p2align	6, 0x0
	.amdhsa_kernel _ZN7rocprim17ROCPRIM_400000_NS6detail17trampoline_kernelINS0_14default_configENS1_35adjacent_difference_config_selectorILb0EyEEZNS1_24adjacent_difference_implIS3_Lb0ELb0EPyS7_N6thrust23THRUST_200600_302600_NS5minusIyEEEE10hipError_tPvRmT2_T3_mT4_P12ihipStream_tbEUlT_E_NS1_11comp_targetILNS1_3genE2ELNS1_11target_archE906ELNS1_3gpuE6ELNS1_3repE0EEENS1_30default_config_static_selectorELNS0_4arch9wavefront6targetE0EEEvT1_
		.amdhsa_group_segment_fixed_size 0
		.amdhsa_private_segment_fixed_size 0
		.amdhsa_kernarg_size 56
		.amdhsa_user_sgpr_count 15
		.amdhsa_user_sgpr_dispatch_ptr 0
		.amdhsa_user_sgpr_queue_ptr 0
		.amdhsa_user_sgpr_kernarg_segment_ptr 1
		.amdhsa_user_sgpr_dispatch_id 0
		.amdhsa_user_sgpr_private_segment_size 0
		.amdhsa_wavefront_size32 1
		.amdhsa_uses_dynamic_stack 0
		.amdhsa_enable_private_segment 0
		.amdhsa_system_sgpr_workgroup_id_x 1
		.amdhsa_system_sgpr_workgroup_id_y 0
		.amdhsa_system_sgpr_workgroup_id_z 0
		.amdhsa_system_sgpr_workgroup_info 0
		.amdhsa_system_vgpr_workitem_id 0
		.amdhsa_next_free_vgpr 1
		.amdhsa_next_free_sgpr 1
		.amdhsa_reserve_vcc 0
		.amdhsa_float_round_mode_32 0
		.amdhsa_float_round_mode_16_64 0
		.amdhsa_float_denorm_mode_32 3
		.amdhsa_float_denorm_mode_16_64 3
		.amdhsa_dx10_clamp 1
		.amdhsa_ieee_mode 1
		.amdhsa_fp16_overflow 0
		.amdhsa_workgroup_processor_mode 1
		.amdhsa_memory_ordered 1
		.amdhsa_forward_progress 0
		.amdhsa_shared_vgpr_count 0
		.amdhsa_exception_fp_ieee_invalid_op 0
		.amdhsa_exception_fp_denorm_src 0
		.amdhsa_exception_fp_ieee_div_zero 0
		.amdhsa_exception_fp_ieee_overflow 0
		.amdhsa_exception_fp_ieee_underflow 0
		.amdhsa_exception_fp_ieee_inexact 0
		.amdhsa_exception_int_div_zero 0
	.end_amdhsa_kernel
	.section	.text._ZN7rocprim17ROCPRIM_400000_NS6detail17trampoline_kernelINS0_14default_configENS1_35adjacent_difference_config_selectorILb0EyEEZNS1_24adjacent_difference_implIS3_Lb0ELb0EPyS7_N6thrust23THRUST_200600_302600_NS5minusIyEEEE10hipError_tPvRmT2_T3_mT4_P12ihipStream_tbEUlT_E_NS1_11comp_targetILNS1_3genE2ELNS1_11target_archE906ELNS1_3gpuE6ELNS1_3repE0EEENS1_30default_config_static_selectorELNS0_4arch9wavefront6targetE0EEEvT1_,"axG",@progbits,_ZN7rocprim17ROCPRIM_400000_NS6detail17trampoline_kernelINS0_14default_configENS1_35adjacent_difference_config_selectorILb0EyEEZNS1_24adjacent_difference_implIS3_Lb0ELb0EPyS7_N6thrust23THRUST_200600_302600_NS5minusIyEEEE10hipError_tPvRmT2_T3_mT4_P12ihipStream_tbEUlT_E_NS1_11comp_targetILNS1_3genE2ELNS1_11target_archE906ELNS1_3gpuE6ELNS1_3repE0EEENS1_30default_config_static_selectorELNS0_4arch9wavefront6targetE0EEEvT1_,comdat
.Lfunc_end109:
	.size	_ZN7rocprim17ROCPRIM_400000_NS6detail17trampoline_kernelINS0_14default_configENS1_35adjacent_difference_config_selectorILb0EyEEZNS1_24adjacent_difference_implIS3_Lb0ELb0EPyS7_N6thrust23THRUST_200600_302600_NS5minusIyEEEE10hipError_tPvRmT2_T3_mT4_P12ihipStream_tbEUlT_E_NS1_11comp_targetILNS1_3genE2ELNS1_11target_archE906ELNS1_3gpuE6ELNS1_3repE0EEENS1_30default_config_static_selectorELNS0_4arch9wavefront6targetE0EEEvT1_, .Lfunc_end109-_ZN7rocprim17ROCPRIM_400000_NS6detail17trampoline_kernelINS0_14default_configENS1_35adjacent_difference_config_selectorILb0EyEEZNS1_24adjacent_difference_implIS3_Lb0ELb0EPyS7_N6thrust23THRUST_200600_302600_NS5minusIyEEEE10hipError_tPvRmT2_T3_mT4_P12ihipStream_tbEUlT_E_NS1_11comp_targetILNS1_3genE2ELNS1_11target_archE906ELNS1_3gpuE6ELNS1_3repE0EEENS1_30default_config_static_selectorELNS0_4arch9wavefront6targetE0EEEvT1_
                                        ; -- End function
	.section	.AMDGPU.csdata,"",@progbits
; Kernel info:
; codeLenInByte = 0
; NumSgprs: 0
; NumVgprs: 0
; ScratchSize: 0
; MemoryBound: 0
; FloatMode: 240
; IeeeMode: 1
; LDSByteSize: 0 bytes/workgroup (compile time only)
; SGPRBlocks: 0
; VGPRBlocks: 0
; NumSGPRsForWavesPerEU: 1
; NumVGPRsForWavesPerEU: 1
; Occupancy: 16
; WaveLimiterHint : 0
; COMPUTE_PGM_RSRC2:SCRATCH_EN: 0
; COMPUTE_PGM_RSRC2:USER_SGPR: 15
; COMPUTE_PGM_RSRC2:TRAP_HANDLER: 0
; COMPUTE_PGM_RSRC2:TGID_X_EN: 1
; COMPUTE_PGM_RSRC2:TGID_Y_EN: 0
; COMPUTE_PGM_RSRC2:TGID_Z_EN: 0
; COMPUTE_PGM_RSRC2:TIDIG_COMP_CNT: 0
	.section	.text._ZN7rocprim17ROCPRIM_400000_NS6detail17trampoline_kernelINS0_14default_configENS1_35adjacent_difference_config_selectorILb0EyEEZNS1_24adjacent_difference_implIS3_Lb0ELb0EPyS7_N6thrust23THRUST_200600_302600_NS5minusIyEEEE10hipError_tPvRmT2_T3_mT4_P12ihipStream_tbEUlT_E_NS1_11comp_targetILNS1_3genE9ELNS1_11target_archE1100ELNS1_3gpuE3ELNS1_3repE0EEENS1_30default_config_static_selectorELNS0_4arch9wavefront6targetE0EEEvT1_,"axG",@progbits,_ZN7rocprim17ROCPRIM_400000_NS6detail17trampoline_kernelINS0_14default_configENS1_35adjacent_difference_config_selectorILb0EyEEZNS1_24adjacent_difference_implIS3_Lb0ELb0EPyS7_N6thrust23THRUST_200600_302600_NS5minusIyEEEE10hipError_tPvRmT2_T3_mT4_P12ihipStream_tbEUlT_E_NS1_11comp_targetILNS1_3genE9ELNS1_11target_archE1100ELNS1_3gpuE3ELNS1_3repE0EEENS1_30default_config_static_selectorELNS0_4arch9wavefront6targetE0EEEvT1_,comdat
	.protected	_ZN7rocprim17ROCPRIM_400000_NS6detail17trampoline_kernelINS0_14default_configENS1_35adjacent_difference_config_selectorILb0EyEEZNS1_24adjacent_difference_implIS3_Lb0ELb0EPyS7_N6thrust23THRUST_200600_302600_NS5minusIyEEEE10hipError_tPvRmT2_T3_mT4_P12ihipStream_tbEUlT_E_NS1_11comp_targetILNS1_3genE9ELNS1_11target_archE1100ELNS1_3gpuE3ELNS1_3repE0EEENS1_30default_config_static_selectorELNS0_4arch9wavefront6targetE0EEEvT1_ ; -- Begin function _ZN7rocprim17ROCPRIM_400000_NS6detail17trampoline_kernelINS0_14default_configENS1_35adjacent_difference_config_selectorILb0EyEEZNS1_24adjacent_difference_implIS3_Lb0ELb0EPyS7_N6thrust23THRUST_200600_302600_NS5minusIyEEEE10hipError_tPvRmT2_T3_mT4_P12ihipStream_tbEUlT_E_NS1_11comp_targetILNS1_3genE9ELNS1_11target_archE1100ELNS1_3gpuE3ELNS1_3repE0EEENS1_30default_config_static_selectorELNS0_4arch9wavefront6targetE0EEEvT1_
	.globl	_ZN7rocprim17ROCPRIM_400000_NS6detail17trampoline_kernelINS0_14default_configENS1_35adjacent_difference_config_selectorILb0EyEEZNS1_24adjacent_difference_implIS3_Lb0ELb0EPyS7_N6thrust23THRUST_200600_302600_NS5minusIyEEEE10hipError_tPvRmT2_T3_mT4_P12ihipStream_tbEUlT_E_NS1_11comp_targetILNS1_3genE9ELNS1_11target_archE1100ELNS1_3gpuE3ELNS1_3repE0EEENS1_30default_config_static_selectorELNS0_4arch9wavefront6targetE0EEEvT1_
	.p2align	8
	.type	_ZN7rocprim17ROCPRIM_400000_NS6detail17trampoline_kernelINS0_14default_configENS1_35adjacent_difference_config_selectorILb0EyEEZNS1_24adjacent_difference_implIS3_Lb0ELb0EPyS7_N6thrust23THRUST_200600_302600_NS5minusIyEEEE10hipError_tPvRmT2_T3_mT4_P12ihipStream_tbEUlT_E_NS1_11comp_targetILNS1_3genE9ELNS1_11target_archE1100ELNS1_3gpuE3ELNS1_3repE0EEENS1_30default_config_static_selectorELNS0_4arch9wavefront6targetE0EEEvT1_,@function
_ZN7rocprim17ROCPRIM_400000_NS6detail17trampoline_kernelINS0_14default_configENS1_35adjacent_difference_config_selectorILb0EyEEZNS1_24adjacent_difference_implIS3_Lb0ELb0EPyS7_N6thrust23THRUST_200600_302600_NS5minusIyEEEE10hipError_tPvRmT2_T3_mT4_P12ihipStream_tbEUlT_E_NS1_11comp_targetILNS1_3genE9ELNS1_11target_archE1100ELNS1_3gpuE3ELNS1_3repE0EEENS1_30default_config_static_selectorELNS0_4arch9wavefront6targetE0EEEvT1_: ; @_ZN7rocprim17ROCPRIM_400000_NS6detail17trampoline_kernelINS0_14default_configENS1_35adjacent_difference_config_selectorILb0EyEEZNS1_24adjacent_difference_implIS3_Lb0ELb0EPyS7_N6thrust23THRUST_200600_302600_NS5minusIyEEEE10hipError_tPvRmT2_T3_mT4_P12ihipStream_tbEUlT_E_NS1_11comp_targetILNS1_3genE9ELNS1_11target_archE1100ELNS1_3gpuE3ELNS1_3repE0EEENS1_30default_config_static_selectorELNS0_4arch9wavefront6targetE0EEEvT1_
; %bb.0:
	s_clause 0x1
	s_load_b256 s[4:11], s[0:1], 0x0
	s_load_b64 s[18:19], s[0:1], 0x30
	s_mov_b32 s13, 0
	s_waitcnt lgkmcnt(0)
	s_lshl_b64 s[6:7], s[6:7], 3
	s_delay_alu instid0(SALU_CYCLE_1)
	s_add_u32 s14, s4, s6
	s_addc_u32 s16, s5, s7
	s_and_b32 s12, s10, 0x1ff
	s_lshl_b32 s2, s15, 9
	s_lshr_b64 s[0:1], s[10:11], 9
	s_cmp_lg_u64 s[12:13], 0
	s_cselect_b32 s3, -1, 0
	s_delay_alu instid0(SALU_CYCLE_1) | instskip(NEXT) | instid1(VALU_DEP_1)
	v_cndmask_b32_e64 v1, 0, 1, s3
	v_readfirstlane_b32 s3, v1
	s_delay_alu instid0(VALU_DEP_1)
	s_add_u32 s0, s0, s3
	s_addc_u32 s1, s1, 0
	s_add_u32 s12, s18, s15
	s_addc_u32 s13, s19, 0
	s_add_u32 s4, s0, -1
	s_addc_u32 s5, s1, -1
	s_delay_alu instid0(SALU_CYCLE_1) | instskip(NEXT) | instid1(VALU_DEP_1)
	v_cmp_ge_u64_e64 s11, s[12:13], s[4:5]
	s_and_b32 vcc_lo, exec_lo, s11
	s_cbranch_vccz .LBB110_4
; %bb.1:
	s_lshl_b32 s3, s4, 9
	s_mov_b32 s15, exec_lo
	s_sub_i32 s3, s10, s3
                                        ; implicit-def: $vgpr1_vgpr2
	s_delay_alu instid0(SALU_CYCLE_1)
	v_cmpx_gt_u32_e64 s3, v0
	s_cbranch_execz .LBB110_3
; %bb.2:
	s_mov_b32 s3, 0
	v_lshlrev_b32_e32 v1, 3, v0
	s_lshl_b64 s[18:19], s[2:3], 3
	s_delay_alu instid0(SALU_CYCLE_1)
	s_add_u32 s18, s14, s18
	s_addc_u32 s19, s16, s19
	global_load_b64 v[1:2], v1, s[18:19]
.LBB110_3:
	s_or_b32 exec_lo, exec_lo, s15
	v_lshlrev_b32_e32 v3, 3, v0
	s_waitcnt vmcnt(0)
	ds_store_b64 v3, v[1:2]
	s_waitcnt lgkmcnt(0)
	s_barrier
	v_lshlrev_b32_e32 v5, 3, v0
	s_branch .LBB110_6
.LBB110_4:
                                        ; implicit-def: $vgpr3
	v_lshlrev_b32_e32 v5, 3, v0
	s_cbranch_execz .LBB110_6
; %bb.5:
	s_mov_b32 s3, 0
	s_delay_alu instid0(VALU_DEP_1) | instskip(SKIP_1) | instid1(SALU_CYCLE_1)
	v_mov_b32_e32 v3, v5
	s_lshl_b64 s[18:19], s[2:3], 3
	s_add_u32 s18, s14, s18
	s_addc_u32 s19, s16, s19
	global_load_b64 v[1:2], v5, s[18:19]
	s_waitcnt vmcnt(0)
	ds_store_b64 v5, v[1:2]
	s_waitcnt lgkmcnt(0)
	s_barrier
.LBB110_6:
	buffer_gl0_inv
	ds_load_b64 v[1:2], v3
	s_cmp_eq_u64 s[12:13], 0
	s_waitcnt lgkmcnt(0)
	s_barrier
	buffer_gl0_inv
	s_cbranch_scc1 .LBB110_11
; %bb.7:
	s_mov_b32 s3, 0
	s_delay_alu instid0(SALU_CYCLE_1) | instskip(NEXT) | instid1(SALU_CYCLE_1)
	s_lshl_b64 s[18:19], s[2:3], 3
	s_add_u32 s3, s14, s18
	s_addc_u32 s15, s16, s19
	s_add_u32 s14, s3, -8
	s_addc_u32 s15, s15, -1
	s_cmp_eq_u64 s[12:13], s[4:5]
	s_load_b64 s[14:15], s[14:15], 0x0
	s_cbranch_scc1 .LBB110_12
; %bb.8:
	s_waitcnt lgkmcnt(0)
	v_dual_mov_b32 v3, s14 :: v_dual_mov_b32 v4, s15
	s_mov_b32 s3, exec_lo
	ds_store_b64 v5, v[1:2]
	s_waitcnt lgkmcnt(0)
	s_barrier
	buffer_gl0_inv
	v_cmpx_ne_u32_e32 0, v0
	s_cbranch_execz .LBB110_10
; %bb.9:
	v_add_nc_u32_e32 v3, -8, v5
	ds_load_b64 v[3:4], v3
.LBB110_10:
	s_or_b32 exec_lo, exec_lo, s3
	s_waitcnt lgkmcnt(0)
	v_sub_co_u32 v3, vcc_lo, v1, v3
	v_sub_co_ci_u32_e32 v4, vcc_lo, v2, v4, vcc_lo
	s_branch .LBB110_16
.LBB110_11:
                                        ; implicit-def: $vgpr3_vgpr4
	s_branch .LBB110_17
.LBB110_12:
                                        ; implicit-def: $vgpr3_vgpr4
	s_cbranch_execz .LBB110_16
; %bb.13:
	s_waitcnt lgkmcnt(0)
	v_dual_mov_b32 v3, s14 :: v_dual_mov_b32 v4, s15
	s_mov_b32 s3, exec_lo
	ds_store_b64 v5, v[1:2]
	s_waitcnt lgkmcnt(0)
	s_barrier
	buffer_gl0_inv
	v_cmpx_ne_u32_e32 0, v0
	s_cbranch_execz .LBB110_15
; %bb.14:
	v_add_nc_u32_e32 v3, -8, v5
	ds_load_b64 v[3:4], v3
.LBB110_15:
	s_or_b32 exec_lo, exec_lo, s3
	s_lshl_b32 s3, s12, 9
	s_delay_alu instid0(SALU_CYCLE_1) | instskip(NEXT) | instid1(SALU_CYCLE_1)
	s_sub_i32 s3, s10, s3
	v_cmp_gt_u32_e32 vcc_lo, s3, v0
	s_waitcnt lgkmcnt(0)
	v_dual_cndmask_b32 v4, 0, v4 :: v_dual_cndmask_b32 v3, 0, v3
	s_delay_alu instid0(VALU_DEP_1) | instskip(NEXT) | instid1(VALU_DEP_2)
	v_sub_co_u32 v3, vcc_lo, v1, v3
	v_sub_co_ci_u32_e32 v4, vcc_lo, v2, v4, vcc_lo
.LBB110_16:
	s_cbranch_execnz .LBB110_25
.LBB110_17:
	v_cmp_ne_u32_e32 vcc_lo, 0, v0
	s_cmp_eq_u64 s[0:1], 1
	s_cbranch_scc1 .LBB110_21
; %bb.18:
	v_dual_mov_b32 v4, v2 :: v_dual_mov_b32 v3, v1
	s_mov_b32 s0, 0
	ds_store_b64 v5, v[1:2]
	s_waitcnt lgkmcnt(0)
	s_barrier
	buffer_gl0_inv
	s_and_saveexec_b32 s1, vcc_lo
	s_cbranch_execz .LBB110_20
; %bb.19:
	v_add_nc_u32_e32 v3, -8, v5
	ds_load_b64 v[3:4], v3
	s_waitcnt lgkmcnt(0)
	v_sub_co_u32 v3, vcc_lo, v1, v3
	v_sub_co_ci_u32_e32 v4, vcc_lo, v2, v4, vcc_lo
.LBB110_20:
	s_or_b32 exec_lo, exec_lo, s1
	s_delay_alu instid0(SALU_CYCLE_1)
	s_and_not1_b32 vcc_lo, exec_lo, s0
	s_cbranch_vccz .LBB110_22
	s_branch .LBB110_25
.LBB110_21:
                                        ; implicit-def: $vgpr3_vgpr4
.LBB110_22:
	v_cmp_ne_u32_e32 vcc_lo, 0, v0
	v_cmp_gt_u32_e64 s0, s10, v0
	ds_store_b64 v5, v[1:2]
	s_waitcnt lgkmcnt(0)
	s_barrier
	buffer_gl0_inv
	s_and_b32 s1, vcc_lo, s0
	s_delay_alu instid0(SALU_CYCLE_1)
	s_and_saveexec_b32 s0, s1
	s_cbranch_execz .LBB110_24
; %bb.23:
	v_add_nc_u32_e32 v3, -8, v5
	ds_load_b64 v[3:4], v3
	s_waitcnt lgkmcnt(0)
	v_sub_co_u32 v1, vcc_lo, v1, v3
	v_sub_co_ci_u32_e32 v2, vcc_lo, v2, v4, vcc_lo
.LBB110_24:
	s_or_b32 exec_lo, exec_lo, s0
	s_delay_alu instid0(VALU_DEP_1)
	v_dual_mov_b32 v4, v2 :: v_dual_mov_b32 v3, v1
.LBB110_25:
	s_add_u32 s0, s8, s6
	s_addc_u32 s1, s9, s7
	s_and_b32 vcc_lo, exec_lo, s11
	s_mov_b32 s3, -1
	s_waitcnt lgkmcnt(0)
	s_barrier
	buffer_gl0_inv
	s_cbranch_vccnz .LBB110_28
; %bb.26:
	s_and_not1_b32 vcc_lo, exec_lo, s3
	s_cbranch_vccz .LBB110_31
.LBB110_27:
	s_nop 0
	s_sendmsg sendmsg(MSG_DEALLOC_VGPRS)
	s_endpgm
.LBB110_28:
	s_lshl_b32 s3, s4, 9
	s_mov_b32 s4, exec_lo
	s_sub_i32 s3, s10, s3
	ds_store_b64 v5, v[3:4]
	s_waitcnt lgkmcnt(0)
	s_barrier
	buffer_gl0_inv
	v_cmpx_gt_u32_e64 s3, v0
	s_cbranch_execz .LBB110_30
; %bb.29:
	ds_load_b64 v[0:1], v5
	s_mov_b32 s3, 0
	s_delay_alu instid0(SALU_CYCLE_1) | instskip(NEXT) | instid1(SALU_CYCLE_1)
	s_lshl_b64 s[6:7], s[2:3], 3
	s_add_u32 s6, s0, s6
	s_addc_u32 s7, s1, s7
	s_waitcnt lgkmcnt(0)
	global_store_b64 v5, v[0:1], s[6:7]
.LBB110_30:
	s_or_b32 exec_lo, exec_lo, s4
	s_cbranch_execnz .LBB110_27
.LBB110_31:
	ds_store_b64 v5, v[3:4]
	s_waitcnt lgkmcnt(0)
	s_waitcnt_vscnt null, 0x0
	s_barrier
	buffer_gl0_inv
	ds_load_b64 v[0:1], v5
	s_mov_b32 s3, 0
	s_delay_alu instid0(SALU_CYCLE_1) | instskip(NEXT) | instid1(SALU_CYCLE_1)
	s_lshl_b64 s[2:3], s[2:3], 3
	s_add_u32 s0, s0, s2
	s_addc_u32 s1, s1, s3
	s_waitcnt lgkmcnt(0)
	global_store_b64 v5, v[0:1], s[0:1]
	s_nop 0
	s_sendmsg sendmsg(MSG_DEALLOC_VGPRS)
	s_endpgm
	.section	.rodata,"a",@progbits
	.p2align	6, 0x0
	.amdhsa_kernel _ZN7rocprim17ROCPRIM_400000_NS6detail17trampoline_kernelINS0_14default_configENS1_35adjacent_difference_config_selectorILb0EyEEZNS1_24adjacent_difference_implIS3_Lb0ELb0EPyS7_N6thrust23THRUST_200600_302600_NS5minusIyEEEE10hipError_tPvRmT2_T3_mT4_P12ihipStream_tbEUlT_E_NS1_11comp_targetILNS1_3genE9ELNS1_11target_archE1100ELNS1_3gpuE3ELNS1_3repE0EEENS1_30default_config_static_selectorELNS0_4arch9wavefront6targetE0EEEvT1_
		.amdhsa_group_segment_fixed_size 8192
		.amdhsa_private_segment_fixed_size 0
		.amdhsa_kernarg_size 56
		.amdhsa_user_sgpr_count 15
		.amdhsa_user_sgpr_dispatch_ptr 0
		.amdhsa_user_sgpr_queue_ptr 0
		.amdhsa_user_sgpr_kernarg_segment_ptr 1
		.amdhsa_user_sgpr_dispatch_id 0
		.amdhsa_user_sgpr_private_segment_size 0
		.amdhsa_wavefront_size32 1
		.amdhsa_uses_dynamic_stack 0
		.amdhsa_enable_private_segment 0
		.amdhsa_system_sgpr_workgroup_id_x 1
		.amdhsa_system_sgpr_workgroup_id_y 0
		.amdhsa_system_sgpr_workgroup_id_z 0
		.amdhsa_system_sgpr_workgroup_info 0
		.amdhsa_system_vgpr_workitem_id 0
		.amdhsa_next_free_vgpr 6
		.amdhsa_next_free_sgpr 20
		.amdhsa_reserve_vcc 1
		.amdhsa_float_round_mode_32 0
		.amdhsa_float_round_mode_16_64 0
		.amdhsa_float_denorm_mode_32 3
		.amdhsa_float_denorm_mode_16_64 3
		.amdhsa_dx10_clamp 1
		.amdhsa_ieee_mode 1
		.amdhsa_fp16_overflow 0
		.amdhsa_workgroup_processor_mode 1
		.amdhsa_memory_ordered 1
		.amdhsa_forward_progress 0
		.amdhsa_shared_vgpr_count 0
		.amdhsa_exception_fp_ieee_invalid_op 0
		.amdhsa_exception_fp_denorm_src 0
		.amdhsa_exception_fp_ieee_div_zero 0
		.amdhsa_exception_fp_ieee_overflow 0
		.amdhsa_exception_fp_ieee_underflow 0
		.amdhsa_exception_fp_ieee_inexact 0
		.amdhsa_exception_int_div_zero 0
	.end_amdhsa_kernel
	.section	.text._ZN7rocprim17ROCPRIM_400000_NS6detail17trampoline_kernelINS0_14default_configENS1_35adjacent_difference_config_selectorILb0EyEEZNS1_24adjacent_difference_implIS3_Lb0ELb0EPyS7_N6thrust23THRUST_200600_302600_NS5minusIyEEEE10hipError_tPvRmT2_T3_mT4_P12ihipStream_tbEUlT_E_NS1_11comp_targetILNS1_3genE9ELNS1_11target_archE1100ELNS1_3gpuE3ELNS1_3repE0EEENS1_30default_config_static_selectorELNS0_4arch9wavefront6targetE0EEEvT1_,"axG",@progbits,_ZN7rocprim17ROCPRIM_400000_NS6detail17trampoline_kernelINS0_14default_configENS1_35adjacent_difference_config_selectorILb0EyEEZNS1_24adjacent_difference_implIS3_Lb0ELb0EPyS7_N6thrust23THRUST_200600_302600_NS5minusIyEEEE10hipError_tPvRmT2_T3_mT4_P12ihipStream_tbEUlT_E_NS1_11comp_targetILNS1_3genE9ELNS1_11target_archE1100ELNS1_3gpuE3ELNS1_3repE0EEENS1_30default_config_static_selectorELNS0_4arch9wavefront6targetE0EEEvT1_,comdat
.Lfunc_end110:
	.size	_ZN7rocprim17ROCPRIM_400000_NS6detail17trampoline_kernelINS0_14default_configENS1_35adjacent_difference_config_selectorILb0EyEEZNS1_24adjacent_difference_implIS3_Lb0ELb0EPyS7_N6thrust23THRUST_200600_302600_NS5minusIyEEEE10hipError_tPvRmT2_T3_mT4_P12ihipStream_tbEUlT_E_NS1_11comp_targetILNS1_3genE9ELNS1_11target_archE1100ELNS1_3gpuE3ELNS1_3repE0EEENS1_30default_config_static_selectorELNS0_4arch9wavefront6targetE0EEEvT1_, .Lfunc_end110-_ZN7rocprim17ROCPRIM_400000_NS6detail17trampoline_kernelINS0_14default_configENS1_35adjacent_difference_config_selectorILb0EyEEZNS1_24adjacent_difference_implIS3_Lb0ELb0EPyS7_N6thrust23THRUST_200600_302600_NS5minusIyEEEE10hipError_tPvRmT2_T3_mT4_P12ihipStream_tbEUlT_E_NS1_11comp_targetILNS1_3genE9ELNS1_11target_archE1100ELNS1_3gpuE3ELNS1_3repE0EEENS1_30default_config_static_selectorELNS0_4arch9wavefront6targetE0EEEvT1_
                                        ; -- End function
	.section	.AMDGPU.csdata,"",@progbits
; Kernel info:
; codeLenInByte = 1008
; NumSgprs: 22
; NumVgprs: 6
; ScratchSize: 0
; MemoryBound: 0
; FloatMode: 240
; IeeeMode: 1
; LDSByteSize: 8192 bytes/workgroup (compile time only)
; SGPRBlocks: 2
; VGPRBlocks: 0
; NumSGPRsForWavesPerEU: 22
; NumVGPRsForWavesPerEU: 6
; Occupancy: 16
; WaveLimiterHint : 0
; COMPUTE_PGM_RSRC2:SCRATCH_EN: 0
; COMPUTE_PGM_RSRC2:USER_SGPR: 15
; COMPUTE_PGM_RSRC2:TRAP_HANDLER: 0
; COMPUTE_PGM_RSRC2:TGID_X_EN: 1
; COMPUTE_PGM_RSRC2:TGID_Y_EN: 0
; COMPUTE_PGM_RSRC2:TGID_Z_EN: 0
; COMPUTE_PGM_RSRC2:TIDIG_COMP_CNT: 0
	.section	.text._ZN7rocprim17ROCPRIM_400000_NS6detail17trampoline_kernelINS0_14default_configENS1_35adjacent_difference_config_selectorILb0EyEEZNS1_24adjacent_difference_implIS3_Lb0ELb0EPyS7_N6thrust23THRUST_200600_302600_NS5minusIyEEEE10hipError_tPvRmT2_T3_mT4_P12ihipStream_tbEUlT_E_NS1_11comp_targetILNS1_3genE8ELNS1_11target_archE1030ELNS1_3gpuE2ELNS1_3repE0EEENS1_30default_config_static_selectorELNS0_4arch9wavefront6targetE0EEEvT1_,"axG",@progbits,_ZN7rocprim17ROCPRIM_400000_NS6detail17trampoline_kernelINS0_14default_configENS1_35adjacent_difference_config_selectorILb0EyEEZNS1_24adjacent_difference_implIS3_Lb0ELb0EPyS7_N6thrust23THRUST_200600_302600_NS5minusIyEEEE10hipError_tPvRmT2_T3_mT4_P12ihipStream_tbEUlT_E_NS1_11comp_targetILNS1_3genE8ELNS1_11target_archE1030ELNS1_3gpuE2ELNS1_3repE0EEENS1_30default_config_static_selectorELNS0_4arch9wavefront6targetE0EEEvT1_,comdat
	.protected	_ZN7rocprim17ROCPRIM_400000_NS6detail17trampoline_kernelINS0_14default_configENS1_35adjacent_difference_config_selectorILb0EyEEZNS1_24adjacent_difference_implIS3_Lb0ELb0EPyS7_N6thrust23THRUST_200600_302600_NS5minusIyEEEE10hipError_tPvRmT2_T3_mT4_P12ihipStream_tbEUlT_E_NS1_11comp_targetILNS1_3genE8ELNS1_11target_archE1030ELNS1_3gpuE2ELNS1_3repE0EEENS1_30default_config_static_selectorELNS0_4arch9wavefront6targetE0EEEvT1_ ; -- Begin function _ZN7rocprim17ROCPRIM_400000_NS6detail17trampoline_kernelINS0_14default_configENS1_35adjacent_difference_config_selectorILb0EyEEZNS1_24adjacent_difference_implIS3_Lb0ELb0EPyS7_N6thrust23THRUST_200600_302600_NS5minusIyEEEE10hipError_tPvRmT2_T3_mT4_P12ihipStream_tbEUlT_E_NS1_11comp_targetILNS1_3genE8ELNS1_11target_archE1030ELNS1_3gpuE2ELNS1_3repE0EEENS1_30default_config_static_selectorELNS0_4arch9wavefront6targetE0EEEvT1_
	.globl	_ZN7rocprim17ROCPRIM_400000_NS6detail17trampoline_kernelINS0_14default_configENS1_35adjacent_difference_config_selectorILb0EyEEZNS1_24adjacent_difference_implIS3_Lb0ELb0EPyS7_N6thrust23THRUST_200600_302600_NS5minusIyEEEE10hipError_tPvRmT2_T3_mT4_P12ihipStream_tbEUlT_E_NS1_11comp_targetILNS1_3genE8ELNS1_11target_archE1030ELNS1_3gpuE2ELNS1_3repE0EEENS1_30default_config_static_selectorELNS0_4arch9wavefront6targetE0EEEvT1_
	.p2align	8
	.type	_ZN7rocprim17ROCPRIM_400000_NS6detail17trampoline_kernelINS0_14default_configENS1_35adjacent_difference_config_selectorILb0EyEEZNS1_24adjacent_difference_implIS3_Lb0ELb0EPyS7_N6thrust23THRUST_200600_302600_NS5minusIyEEEE10hipError_tPvRmT2_T3_mT4_P12ihipStream_tbEUlT_E_NS1_11comp_targetILNS1_3genE8ELNS1_11target_archE1030ELNS1_3gpuE2ELNS1_3repE0EEENS1_30default_config_static_selectorELNS0_4arch9wavefront6targetE0EEEvT1_,@function
_ZN7rocprim17ROCPRIM_400000_NS6detail17trampoline_kernelINS0_14default_configENS1_35adjacent_difference_config_selectorILb0EyEEZNS1_24adjacent_difference_implIS3_Lb0ELb0EPyS7_N6thrust23THRUST_200600_302600_NS5minusIyEEEE10hipError_tPvRmT2_T3_mT4_P12ihipStream_tbEUlT_E_NS1_11comp_targetILNS1_3genE8ELNS1_11target_archE1030ELNS1_3gpuE2ELNS1_3repE0EEENS1_30default_config_static_selectorELNS0_4arch9wavefront6targetE0EEEvT1_: ; @_ZN7rocprim17ROCPRIM_400000_NS6detail17trampoline_kernelINS0_14default_configENS1_35adjacent_difference_config_selectorILb0EyEEZNS1_24adjacent_difference_implIS3_Lb0ELb0EPyS7_N6thrust23THRUST_200600_302600_NS5minusIyEEEE10hipError_tPvRmT2_T3_mT4_P12ihipStream_tbEUlT_E_NS1_11comp_targetILNS1_3genE8ELNS1_11target_archE1030ELNS1_3gpuE2ELNS1_3repE0EEENS1_30default_config_static_selectorELNS0_4arch9wavefront6targetE0EEEvT1_
; %bb.0:
	.section	.rodata,"a",@progbits
	.p2align	6, 0x0
	.amdhsa_kernel _ZN7rocprim17ROCPRIM_400000_NS6detail17trampoline_kernelINS0_14default_configENS1_35adjacent_difference_config_selectorILb0EyEEZNS1_24adjacent_difference_implIS3_Lb0ELb0EPyS7_N6thrust23THRUST_200600_302600_NS5minusIyEEEE10hipError_tPvRmT2_T3_mT4_P12ihipStream_tbEUlT_E_NS1_11comp_targetILNS1_3genE8ELNS1_11target_archE1030ELNS1_3gpuE2ELNS1_3repE0EEENS1_30default_config_static_selectorELNS0_4arch9wavefront6targetE0EEEvT1_
		.amdhsa_group_segment_fixed_size 0
		.amdhsa_private_segment_fixed_size 0
		.amdhsa_kernarg_size 56
		.amdhsa_user_sgpr_count 15
		.amdhsa_user_sgpr_dispatch_ptr 0
		.amdhsa_user_sgpr_queue_ptr 0
		.amdhsa_user_sgpr_kernarg_segment_ptr 1
		.amdhsa_user_sgpr_dispatch_id 0
		.amdhsa_user_sgpr_private_segment_size 0
		.amdhsa_wavefront_size32 1
		.amdhsa_uses_dynamic_stack 0
		.amdhsa_enable_private_segment 0
		.amdhsa_system_sgpr_workgroup_id_x 1
		.amdhsa_system_sgpr_workgroup_id_y 0
		.amdhsa_system_sgpr_workgroup_id_z 0
		.amdhsa_system_sgpr_workgroup_info 0
		.amdhsa_system_vgpr_workitem_id 0
		.amdhsa_next_free_vgpr 1
		.amdhsa_next_free_sgpr 1
		.amdhsa_reserve_vcc 0
		.amdhsa_float_round_mode_32 0
		.amdhsa_float_round_mode_16_64 0
		.amdhsa_float_denorm_mode_32 3
		.amdhsa_float_denorm_mode_16_64 3
		.amdhsa_dx10_clamp 1
		.amdhsa_ieee_mode 1
		.amdhsa_fp16_overflow 0
		.amdhsa_workgroup_processor_mode 1
		.amdhsa_memory_ordered 1
		.amdhsa_forward_progress 0
		.amdhsa_shared_vgpr_count 0
		.amdhsa_exception_fp_ieee_invalid_op 0
		.amdhsa_exception_fp_denorm_src 0
		.amdhsa_exception_fp_ieee_div_zero 0
		.amdhsa_exception_fp_ieee_overflow 0
		.amdhsa_exception_fp_ieee_underflow 0
		.amdhsa_exception_fp_ieee_inexact 0
		.amdhsa_exception_int_div_zero 0
	.end_amdhsa_kernel
	.section	.text._ZN7rocprim17ROCPRIM_400000_NS6detail17trampoline_kernelINS0_14default_configENS1_35adjacent_difference_config_selectorILb0EyEEZNS1_24adjacent_difference_implIS3_Lb0ELb0EPyS7_N6thrust23THRUST_200600_302600_NS5minusIyEEEE10hipError_tPvRmT2_T3_mT4_P12ihipStream_tbEUlT_E_NS1_11comp_targetILNS1_3genE8ELNS1_11target_archE1030ELNS1_3gpuE2ELNS1_3repE0EEENS1_30default_config_static_selectorELNS0_4arch9wavefront6targetE0EEEvT1_,"axG",@progbits,_ZN7rocprim17ROCPRIM_400000_NS6detail17trampoline_kernelINS0_14default_configENS1_35adjacent_difference_config_selectorILb0EyEEZNS1_24adjacent_difference_implIS3_Lb0ELb0EPyS7_N6thrust23THRUST_200600_302600_NS5minusIyEEEE10hipError_tPvRmT2_T3_mT4_P12ihipStream_tbEUlT_E_NS1_11comp_targetILNS1_3genE8ELNS1_11target_archE1030ELNS1_3gpuE2ELNS1_3repE0EEENS1_30default_config_static_selectorELNS0_4arch9wavefront6targetE0EEEvT1_,comdat
.Lfunc_end111:
	.size	_ZN7rocprim17ROCPRIM_400000_NS6detail17trampoline_kernelINS0_14default_configENS1_35adjacent_difference_config_selectorILb0EyEEZNS1_24adjacent_difference_implIS3_Lb0ELb0EPyS7_N6thrust23THRUST_200600_302600_NS5minusIyEEEE10hipError_tPvRmT2_T3_mT4_P12ihipStream_tbEUlT_E_NS1_11comp_targetILNS1_3genE8ELNS1_11target_archE1030ELNS1_3gpuE2ELNS1_3repE0EEENS1_30default_config_static_selectorELNS0_4arch9wavefront6targetE0EEEvT1_, .Lfunc_end111-_ZN7rocprim17ROCPRIM_400000_NS6detail17trampoline_kernelINS0_14default_configENS1_35adjacent_difference_config_selectorILb0EyEEZNS1_24adjacent_difference_implIS3_Lb0ELb0EPyS7_N6thrust23THRUST_200600_302600_NS5minusIyEEEE10hipError_tPvRmT2_T3_mT4_P12ihipStream_tbEUlT_E_NS1_11comp_targetILNS1_3genE8ELNS1_11target_archE1030ELNS1_3gpuE2ELNS1_3repE0EEENS1_30default_config_static_selectorELNS0_4arch9wavefront6targetE0EEEvT1_
                                        ; -- End function
	.section	.AMDGPU.csdata,"",@progbits
; Kernel info:
; codeLenInByte = 0
; NumSgprs: 0
; NumVgprs: 0
; ScratchSize: 0
; MemoryBound: 0
; FloatMode: 240
; IeeeMode: 1
; LDSByteSize: 0 bytes/workgroup (compile time only)
; SGPRBlocks: 0
; VGPRBlocks: 0
; NumSGPRsForWavesPerEU: 1
; NumVGPRsForWavesPerEU: 1
; Occupancy: 16
; WaveLimiterHint : 0
; COMPUTE_PGM_RSRC2:SCRATCH_EN: 0
; COMPUTE_PGM_RSRC2:USER_SGPR: 15
; COMPUTE_PGM_RSRC2:TRAP_HANDLER: 0
; COMPUTE_PGM_RSRC2:TGID_X_EN: 1
; COMPUTE_PGM_RSRC2:TGID_Y_EN: 0
; COMPUTE_PGM_RSRC2:TGID_Z_EN: 0
; COMPUTE_PGM_RSRC2:TIDIG_COMP_CNT: 0
	.section	.text._ZN7rocprim17ROCPRIM_400000_NS6detail17trampoline_kernelINS0_14default_configENS1_25transform_config_selectorIyLb0EEEZNS1_14transform_implILb0ES3_S5_NS0_18transform_iteratorINS0_17counting_iteratorImlEEZNS1_24adjacent_difference_implIS3_Lb1ELb0EPySB_N6thrust23THRUST_200600_302600_NS5minusIyEEEE10hipError_tPvRmT2_T3_mT4_P12ihipStream_tbEUlmE_yEESB_NS0_8identityIvEEEESG_SJ_SK_mSL_SN_bEUlT_E_NS1_11comp_targetILNS1_3genE0ELNS1_11target_archE4294967295ELNS1_3gpuE0ELNS1_3repE0EEENS1_30default_config_static_selectorELNS0_4arch9wavefront6targetE0EEEvT1_,"axG",@progbits,_ZN7rocprim17ROCPRIM_400000_NS6detail17trampoline_kernelINS0_14default_configENS1_25transform_config_selectorIyLb0EEEZNS1_14transform_implILb0ES3_S5_NS0_18transform_iteratorINS0_17counting_iteratorImlEEZNS1_24adjacent_difference_implIS3_Lb1ELb0EPySB_N6thrust23THRUST_200600_302600_NS5minusIyEEEE10hipError_tPvRmT2_T3_mT4_P12ihipStream_tbEUlmE_yEESB_NS0_8identityIvEEEESG_SJ_SK_mSL_SN_bEUlT_E_NS1_11comp_targetILNS1_3genE0ELNS1_11target_archE4294967295ELNS1_3gpuE0ELNS1_3repE0EEENS1_30default_config_static_selectorELNS0_4arch9wavefront6targetE0EEEvT1_,comdat
	.protected	_ZN7rocprim17ROCPRIM_400000_NS6detail17trampoline_kernelINS0_14default_configENS1_25transform_config_selectorIyLb0EEEZNS1_14transform_implILb0ES3_S5_NS0_18transform_iteratorINS0_17counting_iteratorImlEEZNS1_24adjacent_difference_implIS3_Lb1ELb0EPySB_N6thrust23THRUST_200600_302600_NS5minusIyEEEE10hipError_tPvRmT2_T3_mT4_P12ihipStream_tbEUlmE_yEESB_NS0_8identityIvEEEESG_SJ_SK_mSL_SN_bEUlT_E_NS1_11comp_targetILNS1_3genE0ELNS1_11target_archE4294967295ELNS1_3gpuE0ELNS1_3repE0EEENS1_30default_config_static_selectorELNS0_4arch9wavefront6targetE0EEEvT1_ ; -- Begin function _ZN7rocprim17ROCPRIM_400000_NS6detail17trampoline_kernelINS0_14default_configENS1_25transform_config_selectorIyLb0EEEZNS1_14transform_implILb0ES3_S5_NS0_18transform_iteratorINS0_17counting_iteratorImlEEZNS1_24adjacent_difference_implIS3_Lb1ELb0EPySB_N6thrust23THRUST_200600_302600_NS5minusIyEEEE10hipError_tPvRmT2_T3_mT4_P12ihipStream_tbEUlmE_yEESB_NS0_8identityIvEEEESG_SJ_SK_mSL_SN_bEUlT_E_NS1_11comp_targetILNS1_3genE0ELNS1_11target_archE4294967295ELNS1_3gpuE0ELNS1_3repE0EEENS1_30default_config_static_selectorELNS0_4arch9wavefront6targetE0EEEvT1_
	.globl	_ZN7rocprim17ROCPRIM_400000_NS6detail17trampoline_kernelINS0_14default_configENS1_25transform_config_selectorIyLb0EEEZNS1_14transform_implILb0ES3_S5_NS0_18transform_iteratorINS0_17counting_iteratorImlEEZNS1_24adjacent_difference_implIS3_Lb1ELb0EPySB_N6thrust23THRUST_200600_302600_NS5minusIyEEEE10hipError_tPvRmT2_T3_mT4_P12ihipStream_tbEUlmE_yEESB_NS0_8identityIvEEEESG_SJ_SK_mSL_SN_bEUlT_E_NS1_11comp_targetILNS1_3genE0ELNS1_11target_archE4294967295ELNS1_3gpuE0ELNS1_3repE0EEENS1_30default_config_static_selectorELNS0_4arch9wavefront6targetE0EEEvT1_
	.p2align	8
	.type	_ZN7rocprim17ROCPRIM_400000_NS6detail17trampoline_kernelINS0_14default_configENS1_25transform_config_selectorIyLb0EEEZNS1_14transform_implILb0ES3_S5_NS0_18transform_iteratorINS0_17counting_iteratorImlEEZNS1_24adjacent_difference_implIS3_Lb1ELb0EPySB_N6thrust23THRUST_200600_302600_NS5minusIyEEEE10hipError_tPvRmT2_T3_mT4_P12ihipStream_tbEUlmE_yEESB_NS0_8identityIvEEEESG_SJ_SK_mSL_SN_bEUlT_E_NS1_11comp_targetILNS1_3genE0ELNS1_11target_archE4294967295ELNS1_3gpuE0ELNS1_3repE0EEENS1_30default_config_static_selectorELNS0_4arch9wavefront6targetE0EEEvT1_,@function
_ZN7rocprim17ROCPRIM_400000_NS6detail17trampoline_kernelINS0_14default_configENS1_25transform_config_selectorIyLb0EEEZNS1_14transform_implILb0ES3_S5_NS0_18transform_iteratorINS0_17counting_iteratorImlEEZNS1_24adjacent_difference_implIS3_Lb1ELb0EPySB_N6thrust23THRUST_200600_302600_NS5minusIyEEEE10hipError_tPvRmT2_T3_mT4_P12ihipStream_tbEUlmE_yEESB_NS0_8identityIvEEEESG_SJ_SK_mSL_SN_bEUlT_E_NS1_11comp_targetILNS1_3genE0ELNS1_11target_archE4294967295ELNS1_3gpuE0ELNS1_3repE0EEENS1_30default_config_static_selectorELNS0_4arch9wavefront6targetE0EEEvT1_: ; @_ZN7rocprim17ROCPRIM_400000_NS6detail17trampoline_kernelINS0_14default_configENS1_25transform_config_selectorIyLb0EEEZNS1_14transform_implILb0ES3_S5_NS0_18transform_iteratorINS0_17counting_iteratorImlEEZNS1_24adjacent_difference_implIS3_Lb1ELb0EPySB_N6thrust23THRUST_200600_302600_NS5minusIyEEEE10hipError_tPvRmT2_T3_mT4_P12ihipStream_tbEUlmE_yEESB_NS0_8identityIvEEEESG_SJ_SK_mSL_SN_bEUlT_E_NS1_11comp_targetILNS1_3genE0ELNS1_11target_archE4294967295ELNS1_3gpuE0ELNS1_3repE0EEENS1_30default_config_static_selectorELNS0_4arch9wavefront6targetE0EEEvT1_
; %bb.0:
	.section	.rodata,"a",@progbits
	.p2align	6, 0x0
	.amdhsa_kernel _ZN7rocprim17ROCPRIM_400000_NS6detail17trampoline_kernelINS0_14default_configENS1_25transform_config_selectorIyLb0EEEZNS1_14transform_implILb0ES3_S5_NS0_18transform_iteratorINS0_17counting_iteratorImlEEZNS1_24adjacent_difference_implIS3_Lb1ELb0EPySB_N6thrust23THRUST_200600_302600_NS5minusIyEEEE10hipError_tPvRmT2_T3_mT4_P12ihipStream_tbEUlmE_yEESB_NS0_8identityIvEEEESG_SJ_SK_mSL_SN_bEUlT_E_NS1_11comp_targetILNS1_3genE0ELNS1_11target_archE4294967295ELNS1_3gpuE0ELNS1_3repE0EEENS1_30default_config_static_selectorELNS0_4arch9wavefront6targetE0EEEvT1_
		.amdhsa_group_segment_fixed_size 0
		.amdhsa_private_segment_fixed_size 0
		.amdhsa_kernarg_size 56
		.amdhsa_user_sgpr_count 15
		.amdhsa_user_sgpr_dispatch_ptr 0
		.amdhsa_user_sgpr_queue_ptr 0
		.amdhsa_user_sgpr_kernarg_segment_ptr 1
		.amdhsa_user_sgpr_dispatch_id 0
		.amdhsa_user_sgpr_private_segment_size 0
		.amdhsa_wavefront_size32 1
		.amdhsa_uses_dynamic_stack 0
		.amdhsa_enable_private_segment 0
		.amdhsa_system_sgpr_workgroup_id_x 1
		.amdhsa_system_sgpr_workgroup_id_y 0
		.amdhsa_system_sgpr_workgroup_id_z 0
		.amdhsa_system_sgpr_workgroup_info 0
		.amdhsa_system_vgpr_workitem_id 0
		.amdhsa_next_free_vgpr 1
		.amdhsa_next_free_sgpr 1
		.amdhsa_reserve_vcc 0
		.amdhsa_float_round_mode_32 0
		.amdhsa_float_round_mode_16_64 0
		.amdhsa_float_denorm_mode_32 3
		.amdhsa_float_denorm_mode_16_64 3
		.amdhsa_dx10_clamp 1
		.amdhsa_ieee_mode 1
		.amdhsa_fp16_overflow 0
		.amdhsa_workgroup_processor_mode 1
		.amdhsa_memory_ordered 1
		.amdhsa_forward_progress 0
		.amdhsa_shared_vgpr_count 0
		.amdhsa_exception_fp_ieee_invalid_op 0
		.amdhsa_exception_fp_denorm_src 0
		.amdhsa_exception_fp_ieee_div_zero 0
		.amdhsa_exception_fp_ieee_overflow 0
		.amdhsa_exception_fp_ieee_underflow 0
		.amdhsa_exception_fp_ieee_inexact 0
		.amdhsa_exception_int_div_zero 0
	.end_amdhsa_kernel
	.section	.text._ZN7rocprim17ROCPRIM_400000_NS6detail17trampoline_kernelINS0_14default_configENS1_25transform_config_selectorIyLb0EEEZNS1_14transform_implILb0ES3_S5_NS0_18transform_iteratorINS0_17counting_iteratorImlEEZNS1_24adjacent_difference_implIS3_Lb1ELb0EPySB_N6thrust23THRUST_200600_302600_NS5minusIyEEEE10hipError_tPvRmT2_T3_mT4_P12ihipStream_tbEUlmE_yEESB_NS0_8identityIvEEEESG_SJ_SK_mSL_SN_bEUlT_E_NS1_11comp_targetILNS1_3genE0ELNS1_11target_archE4294967295ELNS1_3gpuE0ELNS1_3repE0EEENS1_30default_config_static_selectorELNS0_4arch9wavefront6targetE0EEEvT1_,"axG",@progbits,_ZN7rocprim17ROCPRIM_400000_NS6detail17trampoline_kernelINS0_14default_configENS1_25transform_config_selectorIyLb0EEEZNS1_14transform_implILb0ES3_S5_NS0_18transform_iteratorINS0_17counting_iteratorImlEEZNS1_24adjacent_difference_implIS3_Lb1ELb0EPySB_N6thrust23THRUST_200600_302600_NS5minusIyEEEE10hipError_tPvRmT2_T3_mT4_P12ihipStream_tbEUlmE_yEESB_NS0_8identityIvEEEESG_SJ_SK_mSL_SN_bEUlT_E_NS1_11comp_targetILNS1_3genE0ELNS1_11target_archE4294967295ELNS1_3gpuE0ELNS1_3repE0EEENS1_30default_config_static_selectorELNS0_4arch9wavefront6targetE0EEEvT1_,comdat
.Lfunc_end112:
	.size	_ZN7rocprim17ROCPRIM_400000_NS6detail17trampoline_kernelINS0_14default_configENS1_25transform_config_selectorIyLb0EEEZNS1_14transform_implILb0ES3_S5_NS0_18transform_iteratorINS0_17counting_iteratorImlEEZNS1_24adjacent_difference_implIS3_Lb1ELb0EPySB_N6thrust23THRUST_200600_302600_NS5minusIyEEEE10hipError_tPvRmT2_T3_mT4_P12ihipStream_tbEUlmE_yEESB_NS0_8identityIvEEEESG_SJ_SK_mSL_SN_bEUlT_E_NS1_11comp_targetILNS1_3genE0ELNS1_11target_archE4294967295ELNS1_3gpuE0ELNS1_3repE0EEENS1_30default_config_static_selectorELNS0_4arch9wavefront6targetE0EEEvT1_, .Lfunc_end112-_ZN7rocprim17ROCPRIM_400000_NS6detail17trampoline_kernelINS0_14default_configENS1_25transform_config_selectorIyLb0EEEZNS1_14transform_implILb0ES3_S5_NS0_18transform_iteratorINS0_17counting_iteratorImlEEZNS1_24adjacent_difference_implIS3_Lb1ELb0EPySB_N6thrust23THRUST_200600_302600_NS5minusIyEEEE10hipError_tPvRmT2_T3_mT4_P12ihipStream_tbEUlmE_yEESB_NS0_8identityIvEEEESG_SJ_SK_mSL_SN_bEUlT_E_NS1_11comp_targetILNS1_3genE0ELNS1_11target_archE4294967295ELNS1_3gpuE0ELNS1_3repE0EEENS1_30default_config_static_selectorELNS0_4arch9wavefront6targetE0EEEvT1_
                                        ; -- End function
	.section	.AMDGPU.csdata,"",@progbits
; Kernel info:
; codeLenInByte = 0
; NumSgprs: 0
; NumVgprs: 0
; ScratchSize: 0
; MemoryBound: 0
; FloatMode: 240
; IeeeMode: 1
; LDSByteSize: 0 bytes/workgroup (compile time only)
; SGPRBlocks: 0
; VGPRBlocks: 0
; NumSGPRsForWavesPerEU: 1
; NumVGPRsForWavesPerEU: 1
; Occupancy: 16
; WaveLimiterHint : 0
; COMPUTE_PGM_RSRC2:SCRATCH_EN: 0
; COMPUTE_PGM_RSRC2:USER_SGPR: 15
; COMPUTE_PGM_RSRC2:TRAP_HANDLER: 0
; COMPUTE_PGM_RSRC2:TGID_X_EN: 1
; COMPUTE_PGM_RSRC2:TGID_Y_EN: 0
; COMPUTE_PGM_RSRC2:TGID_Z_EN: 0
; COMPUTE_PGM_RSRC2:TIDIG_COMP_CNT: 0
	.section	.text._ZN7rocprim17ROCPRIM_400000_NS6detail17trampoline_kernelINS0_14default_configENS1_25transform_config_selectorIyLb0EEEZNS1_14transform_implILb0ES3_S5_NS0_18transform_iteratorINS0_17counting_iteratorImlEEZNS1_24adjacent_difference_implIS3_Lb1ELb0EPySB_N6thrust23THRUST_200600_302600_NS5minusIyEEEE10hipError_tPvRmT2_T3_mT4_P12ihipStream_tbEUlmE_yEESB_NS0_8identityIvEEEESG_SJ_SK_mSL_SN_bEUlT_E_NS1_11comp_targetILNS1_3genE5ELNS1_11target_archE942ELNS1_3gpuE9ELNS1_3repE0EEENS1_30default_config_static_selectorELNS0_4arch9wavefront6targetE0EEEvT1_,"axG",@progbits,_ZN7rocprim17ROCPRIM_400000_NS6detail17trampoline_kernelINS0_14default_configENS1_25transform_config_selectorIyLb0EEEZNS1_14transform_implILb0ES3_S5_NS0_18transform_iteratorINS0_17counting_iteratorImlEEZNS1_24adjacent_difference_implIS3_Lb1ELb0EPySB_N6thrust23THRUST_200600_302600_NS5minusIyEEEE10hipError_tPvRmT2_T3_mT4_P12ihipStream_tbEUlmE_yEESB_NS0_8identityIvEEEESG_SJ_SK_mSL_SN_bEUlT_E_NS1_11comp_targetILNS1_3genE5ELNS1_11target_archE942ELNS1_3gpuE9ELNS1_3repE0EEENS1_30default_config_static_selectorELNS0_4arch9wavefront6targetE0EEEvT1_,comdat
	.protected	_ZN7rocprim17ROCPRIM_400000_NS6detail17trampoline_kernelINS0_14default_configENS1_25transform_config_selectorIyLb0EEEZNS1_14transform_implILb0ES3_S5_NS0_18transform_iteratorINS0_17counting_iteratorImlEEZNS1_24adjacent_difference_implIS3_Lb1ELb0EPySB_N6thrust23THRUST_200600_302600_NS5minusIyEEEE10hipError_tPvRmT2_T3_mT4_P12ihipStream_tbEUlmE_yEESB_NS0_8identityIvEEEESG_SJ_SK_mSL_SN_bEUlT_E_NS1_11comp_targetILNS1_3genE5ELNS1_11target_archE942ELNS1_3gpuE9ELNS1_3repE0EEENS1_30default_config_static_selectorELNS0_4arch9wavefront6targetE0EEEvT1_ ; -- Begin function _ZN7rocprim17ROCPRIM_400000_NS6detail17trampoline_kernelINS0_14default_configENS1_25transform_config_selectorIyLb0EEEZNS1_14transform_implILb0ES3_S5_NS0_18transform_iteratorINS0_17counting_iteratorImlEEZNS1_24adjacent_difference_implIS3_Lb1ELb0EPySB_N6thrust23THRUST_200600_302600_NS5minusIyEEEE10hipError_tPvRmT2_T3_mT4_P12ihipStream_tbEUlmE_yEESB_NS0_8identityIvEEEESG_SJ_SK_mSL_SN_bEUlT_E_NS1_11comp_targetILNS1_3genE5ELNS1_11target_archE942ELNS1_3gpuE9ELNS1_3repE0EEENS1_30default_config_static_selectorELNS0_4arch9wavefront6targetE0EEEvT1_
	.globl	_ZN7rocprim17ROCPRIM_400000_NS6detail17trampoline_kernelINS0_14default_configENS1_25transform_config_selectorIyLb0EEEZNS1_14transform_implILb0ES3_S5_NS0_18transform_iteratorINS0_17counting_iteratorImlEEZNS1_24adjacent_difference_implIS3_Lb1ELb0EPySB_N6thrust23THRUST_200600_302600_NS5minusIyEEEE10hipError_tPvRmT2_T3_mT4_P12ihipStream_tbEUlmE_yEESB_NS0_8identityIvEEEESG_SJ_SK_mSL_SN_bEUlT_E_NS1_11comp_targetILNS1_3genE5ELNS1_11target_archE942ELNS1_3gpuE9ELNS1_3repE0EEENS1_30default_config_static_selectorELNS0_4arch9wavefront6targetE0EEEvT1_
	.p2align	8
	.type	_ZN7rocprim17ROCPRIM_400000_NS6detail17trampoline_kernelINS0_14default_configENS1_25transform_config_selectorIyLb0EEEZNS1_14transform_implILb0ES3_S5_NS0_18transform_iteratorINS0_17counting_iteratorImlEEZNS1_24adjacent_difference_implIS3_Lb1ELb0EPySB_N6thrust23THRUST_200600_302600_NS5minusIyEEEE10hipError_tPvRmT2_T3_mT4_P12ihipStream_tbEUlmE_yEESB_NS0_8identityIvEEEESG_SJ_SK_mSL_SN_bEUlT_E_NS1_11comp_targetILNS1_3genE5ELNS1_11target_archE942ELNS1_3gpuE9ELNS1_3repE0EEENS1_30default_config_static_selectorELNS0_4arch9wavefront6targetE0EEEvT1_,@function
_ZN7rocprim17ROCPRIM_400000_NS6detail17trampoline_kernelINS0_14default_configENS1_25transform_config_selectorIyLb0EEEZNS1_14transform_implILb0ES3_S5_NS0_18transform_iteratorINS0_17counting_iteratorImlEEZNS1_24adjacent_difference_implIS3_Lb1ELb0EPySB_N6thrust23THRUST_200600_302600_NS5minusIyEEEE10hipError_tPvRmT2_T3_mT4_P12ihipStream_tbEUlmE_yEESB_NS0_8identityIvEEEESG_SJ_SK_mSL_SN_bEUlT_E_NS1_11comp_targetILNS1_3genE5ELNS1_11target_archE942ELNS1_3gpuE9ELNS1_3repE0EEENS1_30default_config_static_selectorELNS0_4arch9wavefront6targetE0EEEvT1_: ; @_ZN7rocprim17ROCPRIM_400000_NS6detail17trampoline_kernelINS0_14default_configENS1_25transform_config_selectorIyLb0EEEZNS1_14transform_implILb0ES3_S5_NS0_18transform_iteratorINS0_17counting_iteratorImlEEZNS1_24adjacent_difference_implIS3_Lb1ELb0EPySB_N6thrust23THRUST_200600_302600_NS5minusIyEEEE10hipError_tPvRmT2_T3_mT4_P12ihipStream_tbEUlmE_yEESB_NS0_8identityIvEEEESG_SJ_SK_mSL_SN_bEUlT_E_NS1_11comp_targetILNS1_3genE5ELNS1_11target_archE942ELNS1_3gpuE9ELNS1_3repE0EEENS1_30default_config_static_selectorELNS0_4arch9wavefront6targetE0EEEvT1_
; %bb.0:
	.section	.rodata,"a",@progbits
	.p2align	6, 0x0
	.amdhsa_kernel _ZN7rocprim17ROCPRIM_400000_NS6detail17trampoline_kernelINS0_14default_configENS1_25transform_config_selectorIyLb0EEEZNS1_14transform_implILb0ES3_S5_NS0_18transform_iteratorINS0_17counting_iteratorImlEEZNS1_24adjacent_difference_implIS3_Lb1ELb0EPySB_N6thrust23THRUST_200600_302600_NS5minusIyEEEE10hipError_tPvRmT2_T3_mT4_P12ihipStream_tbEUlmE_yEESB_NS0_8identityIvEEEESG_SJ_SK_mSL_SN_bEUlT_E_NS1_11comp_targetILNS1_3genE5ELNS1_11target_archE942ELNS1_3gpuE9ELNS1_3repE0EEENS1_30default_config_static_selectorELNS0_4arch9wavefront6targetE0EEEvT1_
		.amdhsa_group_segment_fixed_size 0
		.amdhsa_private_segment_fixed_size 0
		.amdhsa_kernarg_size 56
		.amdhsa_user_sgpr_count 15
		.amdhsa_user_sgpr_dispatch_ptr 0
		.amdhsa_user_sgpr_queue_ptr 0
		.amdhsa_user_sgpr_kernarg_segment_ptr 1
		.amdhsa_user_sgpr_dispatch_id 0
		.amdhsa_user_sgpr_private_segment_size 0
		.amdhsa_wavefront_size32 1
		.amdhsa_uses_dynamic_stack 0
		.amdhsa_enable_private_segment 0
		.amdhsa_system_sgpr_workgroup_id_x 1
		.amdhsa_system_sgpr_workgroup_id_y 0
		.amdhsa_system_sgpr_workgroup_id_z 0
		.amdhsa_system_sgpr_workgroup_info 0
		.amdhsa_system_vgpr_workitem_id 0
		.amdhsa_next_free_vgpr 1
		.amdhsa_next_free_sgpr 1
		.amdhsa_reserve_vcc 0
		.amdhsa_float_round_mode_32 0
		.amdhsa_float_round_mode_16_64 0
		.amdhsa_float_denorm_mode_32 3
		.amdhsa_float_denorm_mode_16_64 3
		.amdhsa_dx10_clamp 1
		.amdhsa_ieee_mode 1
		.amdhsa_fp16_overflow 0
		.amdhsa_workgroup_processor_mode 1
		.amdhsa_memory_ordered 1
		.amdhsa_forward_progress 0
		.amdhsa_shared_vgpr_count 0
		.amdhsa_exception_fp_ieee_invalid_op 0
		.amdhsa_exception_fp_denorm_src 0
		.amdhsa_exception_fp_ieee_div_zero 0
		.amdhsa_exception_fp_ieee_overflow 0
		.amdhsa_exception_fp_ieee_underflow 0
		.amdhsa_exception_fp_ieee_inexact 0
		.amdhsa_exception_int_div_zero 0
	.end_amdhsa_kernel
	.section	.text._ZN7rocprim17ROCPRIM_400000_NS6detail17trampoline_kernelINS0_14default_configENS1_25transform_config_selectorIyLb0EEEZNS1_14transform_implILb0ES3_S5_NS0_18transform_iteratorINS0_17counting_iteratorImlEEZNS1_24adjacent_difference_implIS3_Lb1ELb0EPySB_N6thrust23THRUST_200600_302600_NS5minusIyEEEE10hipError_tPvRmT2_T3_mT4_P12ihipStream_tbEUlmE_yEESB_NS0_8identityIvEEEESG_SJ_SK_mSL_SN_bEUlT_E_NS1_11comp_targetILNS1_3genE5ELNS1_11target_archE942ELNS1_3gpuE9ELNS1_3repE0EEENS1_30default_config_static_selectorELNS0_4arch9wavefront6targetE0EEEvT1_,"axG",@progbits,_ZN7rocprim17ROCPRIM_400000_NS6detail17trampoline_kernelINS0_14default_configENS1_25transform_config_selectorIyLb0EEEZNS1_14transform_implILb0ES3_S5_NS0_18transform_iteratorINS0_17counting_iteratorImlEEZNS1_24adjacent_difference_implIS3_Lb1ELb0EPySB_N6thrust23THRUST_200600_302600_NS5minusIyEEEE10hipError_tPvRmT2_T3_mT4_P12ihipStream_tbEUlmE_yEESB_NS0_8identityIvEEEESG_SJ_SK_mSL_SN_bEUlT_E_NS1_11comp_targetILNS1_3genE5ELNS1_11target_archE942ELNS1_3gpuE9ELNS1_3repE0EEENS1_30default_config_static_selectorELNS0_4arch9wavefront6targetE0EEEvT1_,comdat
.Lfunc_end113:
	.size	_ZN7rocprim17ROCPRIM_400000_NS6detail17trampoline_kernelINS0_14default_configENS1_25transform_config_selectorIyLb0EEEZNS1_14transform_implILb0ES3_S5_NS0_18transform_iteratorINS0_17counting_iteratorImlEEZNS1_24adjacent_difference_implIS3_Lb1ELb0EPySB_N6thrust23THRUST_200600_302600_NS5minusIyEEEE10hipError_tPvRmT2_T3_mT4_P12ihipStream_tbEUlmE_yEESB_NS0_8identityIvEEEESG_SJ_SK_mSL_SN_bEUlT_E_NS1_11comp_targetILNS1_3genE5ELNS1_11target_archE942ELNS1_3gpuE9ELNS1_3repE0EEENS1_30default_config_static_selectorELNS0_4arch9wavefront6targetE0EEEvT1_, .Lfunc_end113-_ZN7rocprim17ROCPRIM_400000_NS6detail17trampoline_kernelINS0_14default_configENS1_25transform_config_selectorIyLb0EEEZNS1_14transform_implILb0ES3_S5_NS0_18transform_iteratorINS0_17counting_iteratorImlEEZNS1_24adjacent_difference_implIS3_Lb1ELb0EPySB_N6thrust23THRUST_200600_302600_NS5minusIyEEEE10hipError_tPvRmT2_T3_mT4_P12ihipStream_tbEUlmE_yEESB_NS0_8identityIvEEEESG_SJ_SK_mSL_SN_bEUlT_E_NS1_11comp_targetILNS1_3genE5ELNS1_11target_archE942ELNS1_3gpuE9ELNS1_3repE0EEENS1_30default_config_static_selectorELNS0_4arch9wavefront6targetE0EEEvT1_
                                        ; -- End function
	.section	.AMDGPU.csdata,"",@progbits
; Kernel info:
; codeLenInByte = 0
; NumSgprs: 0
; NumVgprs: 0
; ScratchSize: 0
; MemoryBound: 0
; FloatMode: 240
; IeeeMode: 1
; LDSByteSize: 0 bytes/workgroup (compile time only)
; SGPRBlocks: 0
; VGPRBlocks: 0
; NumSGPRsForWavesPerEU: 1
; NumVGPRsForWavesPerEU: 1
; Occupancy: 16
; WaveLimiterHint : 0
; COMPUTE_PGM_RSRC2:SCRATCH_EN: 0
; COMPUTE_PGM_RSRC2:USER_SGPR: 15
; COMPUTE_PGM_RSRC2:TRAP_HANDLER: 0
; COMPUTE_PGM_RSRC2:TGID_X_EN: 1
; COMPUTE_PGM_RSRC2:TGID_Y_EN: 0
; COMPUTE_PGM_RSRC2:TGID_Z_EN: 0
; COMPUTE_PGM_RSRC2:TIDIG_COMP_CNT: 0
	.section	.text._ZN7rocprim17ROCPRIM_400000_NS6detail17trampoline_kernelINS0_14default_configENS1_25transform_config_selectorIyLb0EEEZNS1_14transform_implILb0ES3_S5_NS0_18transform_iteratorINS0_17counting_iteratorImlEEZNS1_24adjacent_difference_implIS3_Lb1ELb0EPySB_N6thrust23THRUST_200600_302600_NS5minusIyEEEE10hipError_tPvRmT2_T3_mT4_P12ihipStream_tbEUlmE_yEESB_NS0_8identityIvEEEESG_SJ_SK_mSL_SN_bEUlT_E_NS1_11comp_targetILNS1_3genE4ELNS1_11target_archE910ELNS1_3gpuE8ELNS1_3repE0EEENS1_30default_config_static_selectorELNS0_4arch9wavefront6targetE0EEEvT1_,"axG",@progbits,_ZN7rocprim17ROCPRIM_400000_NS6detail17trampoline_kernelINS0_14default_configENS1_25transform_config_selectorIyLb0EEEZNS1_14transform_implILb0ES3_S5_NS0_18transform_iteratorINS0_17counting_iteratorImlEEZNS1_24adjacent_difference_implIS3_Lb1ELb0EPySB_N6thrust23THRUST_200600_302600_NS5minusIyEEEE10hipError_tPvRmT2_T3_mT4_P12ihipStream_tbEUlmE_yEESB_NS0_8identityIvEEEESG_SJ_SK_mSL_SN_bEUlT_E_NS1_11comp_targetILNS1_3genE4ELNS1_11target_archE910ELNS1_3gpuE8ELNS1_3repE0EEENS1_30default_config_static_selectorELNS0_4arch9wavefront6targetE0EEEvT1_,comdat
	.protected	_ZN7rocprim17ROCPRIM_400000_NS6detail17trampoline_kernelINS0_14default_configENS1_25transform_config_selectorIyLb0EEEZNS1_14transform_implILb0ES3_S5_NS0_18transform_iteratorINS0_17counting_iteratorImlEEZNS1_24adjacent_difference_implIS3_Lb1ELb0EPySB_N6thrust23THRUST_200600_302600_NS5minusIyEEEE10hipError_tPvRmT2_T3_mT4_P12ihipStream_tbEUlmE_yEESB_NS0_8identityIvEEEESG_SJ_SK_mSL_SN_bEUlT_E_NS1_11comp_targetILNS1_3genE4ELNS1_11target_archE910ELNS1_3gpuE8ELNS1_3repE0EEENS1_30default_config_static_selectorELNS0_4arch9wavefront6targetE0EEEvT1_ ; -- Begin function _ZN7rocprim17ROCPRIM_400000_NS6detail17trampoline_kernelINS0_14default_configENS1_25transform_config_selectorIyLb0EEEZNS1_14transform_implILb0ES3_S5_NS0_18transform_iteratorINS0_17counting_iteratorImlEEZNS1_24adjacent_difference_implIS3_Lb1ELb0EPySB_N6thrust23THRUST_200600_302600_NS5minusIyEEEE10hipError_tPvRmT2_T3_mT4_P12ihipStream_tbEUlmE_yEESB_NS0_8identityIvEEEESG_SJ_SK_mSL_SN_bEUlT_E_NS1_11comp_targetILNS1_3genE4ELNS1_11target_archE910ELNS1_3gpuE8ELNS1_3repE0EEENS1_30default_config_static_selectorELNS0_4arch9wavefront6targetE0EEEvT1_
	.globl	_ZN7rocprim17ROCPRIM_400000_NS6detail17trampoline_kernelINS0_14default_configENS1_25transform_config_selectorIyLb0EEEZNS1_14transform_implILb0ES3_S5_NS0_18transform_iteratorINS0_17counting_iteratorImlEEZNS1_24adjacent_difference_implIS3_Lb1ELb0EPySB_N6thrust23THRUST_200600_302600_NS5minusIyEEEE10hipError_tPvRmT2_T3_mT4_P12ihipStream_tbEUlmE_yEESB_NS0_8identityIvEEEESG_SJ_SK_mSL_SN_bEUlT_E_NS1_11comp_targetILNS1_3genE4ELNS1_11target_archE910ELNS1_3gpuE8ELNS1_3repE0EEENS1_30default_config_static_selectorELNS0_4arch9wavefront6targetE0EEEvT1_
	.p2align	8
	.type	_ZN7rocprim17ROCPRIM_400000_NS6detail17trampoline_kernelINS0_14default_configENS1_25transform_config_selectorIyLb0EEEZNS1_14transform_implILb0ES3_S5_NS0_18transform_iteratorINS0_17counting_iteratorImlEEZNS1_24adjacent_difference_implIS3_Lb1ELb0EPySB_N6thrust23THRUST_200600_302600_NS5minusIyEEEE10hipError_tPvRmT2_T3_mT4_P12ihipStream_tbEUlmE_yEESB_NS0_8identityIvEEEESG_SJ_SK_mSL_SN_bEUlT_E_NS1_11comp_targetILNS1_3genE4ELNS1_11target_archE910ELNS1_3gpuE8ELNS1_3repE0EEENS1_30default_config_static_selectorELNS0_4arch9wavefront6targetE0EEEvT1_,@function
_ZN7rocprim17ROCPRIM_400000_NS6detail17trampoline_kernelINS0_14default_configENS1_25transform_config_selectorIyLb0EEEZNS1_14transform_implILb0ES3_S5_NS0_18transform_iteratorINS0_17counting_iteratorImlEEZNS1_24adjacent_difference_implIS3_Lb1ELb0EPySB_N6thrust23THRUST_200600_302600_NS5minusIyEEEE10hipError_tPvRmT2_T3_mT4_P12ihipStream_tbEUlmE_yEESB_NS0_8identityIvEEEESG_SJ_SK_mSL_SN_bEUlT_E_NS1_11comp_targetILNS1_3genE4ELNS1_11target_archE910ELNS1_3gpuE8ELNS1_3repE0EEENS1_30default_config_static_selectorELNS0_4arch9wavefront6targetE0EEEvT1_: ; @_ZN7rocprim17ROCPRIM_400000_NS6detail17trampoline_kernelINS0_14default_configENS1_25transform_config_selectorIyLb0EEEZNS1_14transform_implILb0ES3_S5_NS0_18transform_iteratorINS0_17counting_iteratorImlEEZNS1_24adjacent_difference_implIS3_Lb1ELb0EPySB_N6thrust23THRUST_200600_302600_NS5minusIyEEEE10hipError_tPvRmT2_T3_mT4_P12ihipStream_tbEUlmE_yEESB_NS0_8identityIvEEEESG_SJ_SK_mSL_SN_bEUlT_E_NS1_11comp_targetILNS1_3genE4ELNS1_11target_archE910ELNS1_3gpuE8ELNS1_3repE0EEENS1_30default_config_static_selectorELNS0_4arch9wavefront6targetE0EEEvT1_
; %bb.0:
	.section	.rodata,"a",@progbits
	.p2align	6, 0x0
	.amdhsa_kernel _ZN7rocprim17ROCPRIM_400000_NS6detail17trampoline_kernelINS0_14default_configENS1_25transform_config_selectorIyLb0EEEZNS1_14transform_implILb0ES3_S5_NS0_18transform_iteratorINS0_17counting_iteratorImlEEZNS1_24adjacent_difference_implIS3_Lb1ELb0EPySB_N6thrust23THRUST_200600_302600_NS5minusIyEEEE10hipError_tPvRmT2_T3_mT4_P12ihipStream_tbEUlmE_yEESB_NS0_8identityIvEEEESG_SJ_SK_mSL_SN_bEUlT_E_NS1_11comp_targetILNS1_3genE4ELNS1_11target_archE910ELNS1_3gpuE8ELNS1_3repE0EEENS1_30default_config_static_selectorELNS0_4arch9wavefront6targetE0EEEvT1_
		.amdhsa_group_segment_fixed_size 0
		.amdhsa_private_segment_fixed_size 0
		.amdhsa_kernarg_size 56
		.amdhsa_user_sgpr_count 15
		.amdhsa_user_sgpr_dispatch_ptr 0
		.amdhsa_user_sgpr_queue_ptr 0
		.amdhsa_user_sgpr_kernarg_segment_ptr 1
		.amdhsa_user_sgpr_dispatch_id 0
		.amdhsa_user_sgpr_private_segment_size 0
		.amdhsa_wavefront_size32 1
		.amdhsa_uses_dynamic_stack 0
		.amdhsa_enable_private_segment 0
		.amdhsa_system_sgpr_workgroup_id_x 1
		.amdhsa_system_sgpr_workgroup_id_y 0
		.amdhsa_system_sgpr_workgroup_id_z 0
		.amdhsa_system_sgpr_workgroup_info 0
		.amdhsa_system_vgpr_workitem_id 0
		.amdhsa_next_free_vgpr 1
		.amdhsa_next_free_sgpr 1
		.amdhsa_reserve_vcc 0
		.amdhsa_float_round_mode_32 0
		.amdhsa_float_round_mode_16_64 0
		.amdhsa_float_denorm_mode_32 3
		.amdhsa_float_denorm_mode_16_64 3
		.amdhsa_dx10_clamp 1
		.amdhsa_ieee_mode 1
		.amdhsa_fp16_overflow 0
		.amdhsa_workgroup_processor_mode 1
		.amdhsa_memory_ordered 1
		.amdhsa_forward_progress 0
		.amdhsa_shared_vgpr_count 0
		.amdhsa_exception_fp_ieee_invalid_op 0
		.amdhsa_exception_fp_denorm_src 0
		.amdhsa_exception_fp_ieee_div_zero 0
		.amdhsa_exception_fp_ieee_overflow 0
		.amdhsa_exception_fp_ieee_underflow 0
		.amdhsa_exception_fp_ieee_inexact 0
		.amdhsa_exception_int_div_zero 0
	.end_amdhsa_kernel
	.section	.text._ZN7rocprim17ROCPRIM_400000_NS6detail17trampoline_kernelINS0_14default_configENS1_25transform_config_selectorIyLb0EEEZNS1_14transform_implILb0ES3_S5_NS0_18transform_iteratorINS0_17counting_iteratorImlEEZNS1_24adjacent_difference_implIS3_Lb1ELb0EPySB_N6thrust23THRUST_200600_302600_NS5minusIyEEEE10hipError_tPvRmT2_T3_mT4_P12ihipStream_tbEUlmE_yEESB_NS0_8identityIvEEEESG_SJ_SK_mSL_SN_bEUlT_E_NS1_11comp_targetILNS1_3genE4ELNS1_11target_archE910ELNS1_3gpuE8ELNS1_3repE0EEENS1_30default_config_static_selectorELNS0_4arch9wavefront6targetE0EEEvT1_,"axG",@progbits,_ZN7rocprim17ROCPRIM_400000_NS6detail17trampoline_kernelINS0_14default_configENS1_25transform_config_selectorIyLb0EEEZNS1_14transform_implILb0ES3_S5_NS0_18transform_iteratorINS0_17counting_iteratorImlEEZNS1_24adjacent_difference_implIS3_Lb1ELb0EPySB_N6thrust23THRUST_200600_302600_NS5minusIyEEEE10hipError_tPvRmT2_T3_mT4_P12ihipStream_tbEUlmE_yEESB_NS0_8identityIvEEEESG_SJ_SK_mSL_SN_bEUlT_E_NS1_11comp_targetILNS1_3genE4ELNS1_11target_archE910ELNS1_3gpuE8ELNS1_3repE0EEENS1_30default_config_static_selectorELNS0_4arch9wavefront6targetE0EEEvT1_,comdat
.Lfunc_end114:
	.size	_ZN7rocprim17ROCPRIM_400000_NS6detail17trampoline_kernelINS0_14default_configENS1_25transform_config_selectorIyLb0EEEZNS1_14transform_implILb0ES3_S5_NS0_18transform_iteratorINS0_17counting_iteratorImlEEZNS1_24adjacent_difference_implIS3_Lb1ELb0EPySB_N6thrust23THRUST_200600_302600_NS5minusIyEEEE10hipError_tPvRmT2_T3_mT4_P12ihipStream_tbEUlmE_yEESB_NS0_8identityIvEEEESG_SJ_SK_mSL_SN_bEUlT_E_NS1_11comp_targetILNS1_3genE4ELNS1_11target_archE910ELNS1_3gpuE8ELNS1_3repE0EEENS1_30default_config_static_selectorELNS0_4arch9wavefront6targetE0EEEvT1_, .Lfunc_end114-_ZN7rocprim17ROCPRIM_400000_NS6detail17trampoline_kernelINS0_14default_configENS1_25transform_config_selectorIyLb0EEEZNS1_14transform_implILb0ES3_S5_NS0_18transform_iteratorINS0_17counting_iteratorImlEEZNS1_24adjacent_difference_implIS3_Lb1ELb0EPySB_N6thrust23THRUST_200600_302600_NS5minusIyEEEE10hipError_tPvRmT2_T3_mT4_P12ihipStream_tbEUlmE_yEESB_NS0_8identityIvEEEESG_SJ_SK_mSL_SN_bEUlT_E_NS1_11comp_targetILNS1_3genE4ELNS1_11target_archE910ELNS1_3gpuE8ELNS1_3repE0EEENS1_30default_config_static_selectorELNS0_4arch9wavefront6targetE0EEEvT1_
                                        ; -- End function
	.section	.AMDGPU.csdata,"",@progbits
; Kernel info:
; codeLenInByte = 0
; NumSgprs: 0
; NumVgprs: 0
; ScratchSize: 0
; MemoryBound: 0
; FloatMode: 240
; IeeeMode: 1
; LDSByteSize: 0 bytes/workgroup (compile time only)
; SGPRBlocks: 0
; VGPRBlocks: 0
; NumSGPRsForWavesPerEU: 1
; NumVGPRsForWavesPerEU: 1
; Occupancy: 16
; WaveLimiterHint : 0
; COMPUTE_PGM_RSRC2:SCRATCH_EN: 0
; COMPUTE_PGM_RSRC2:USER_SGPR: 15
; COMPUTE_PGM_RSRC2:TRAP_HANDLER: 0
; COMPUTE_PGM_RSRC2:TGID_X_EN: 1
; COMPUTE_PGM_RSRC2:TGID_Y_EN: 0
; COMPUTE_PGM_RSRC2:TGID_Z_EN: 0
; COMPUTE_PGM_RSRC2:TIDIG_COMP_CNT: 0
	.section	.text._ZN7rocprim17ROCPRIM_400000_NS6detail17trampoline_kernelINS0_14default_configENS1_25transform_config_selectorIyLb0EEEZNS1_14transform_implILb0ES3_S5_NS0_18transform_iteratorINS0_17counting_iteratorImlEEZNS1_24adjacent_difference_implIS3_Lb1ELb0EPySB_N6thrust23THRUST_200600_302600_NS5minusIyEEEE10hipError_tPvRmT2_T3_mT4_P12ihipStream_tbEUlmE_yEESB_NS0_8identityIvEEEESG_SJ_SK_mSL_SN_bEUlT_E_NS1_11comp_targetILNS1_3genE3ELNS1_11target_archE908ELNS1_3gpuE7ELNS1_3repE0EEENS1_30default_config_static_selectorELNS0_4arch9wavefront6targetE0EEEvT1_,"axG",@progbits,_ZN7rocprim17ROCPRIM_400000_NS6detail17trampoline_kernelINS0_14default_configENS1_25transform_config_selectorIyLb0EEEZNS1_14transform_implILb0ES3_S5_NS0_18transform_iteratorINS0_17counting_iteratorImlEEZNS1_24adjacent_difference_implIS3_Lb1ELb0EPySB_N6thrust23THRUST_200600_302600_NS5minusIyEEEE10hipError_tPvRmT2_T3_mT4_P12ihipStream_tbEUlmE_yEESB_NS0_8identityIvEEEESG_SJ_SK_mSL_SN_bEUlT_E_NS1_11comp_targetILNS1_3genE3ELNS1_11target_archE908ELNS1_3gpuE7ELNS1_3repE0EEENS1_30default_config_static_selectorELNS0_4arch9wavefront6targetE0EEEvT1_,comdat
	.protected	_ZN7rocprim17ROCPRIM_400000_NS6detail17trampoline_kernelINS0_14default_configENS1_25transform_config_selectorIyLb0EEEZNS1_14transform_implILb0ES3_S5_NS0_18transform_iteratorINS0_17counting_iteratorImlEEZNS1_24adjacent_difference_implIS3_Lb1ELb0EPySB_N6thrust23THRUST_200600_302600_NS5minusIyEEEE10hipError_tPvRmT2_T3_mT4_P12ihipStream_tbEUlmE_yEESB_NS0_8identityIvEEEESG_SJ_SK_mSL_SN_bEUlT_E_NS1_11comp_targetILNS1_3genE3ELNS1_11target_archE908ELNS1_3gpuE7ELNS1_3repE0EEENS1_30default_config_static_selectorELNS0_4arch9wavefront6targetE0EEEvT1_ ; -- Begin function _ZN7rocprim17ROCPRIM_400000_NS6detail17trampoline_kernelINS0_14default_configENS1_25transform_config_selectorIyLb0EEEZNS1_14transform_implILb0ES3_S5_NS0_18transform_iteratorINS0_17counting_iteratorImlEEZNS1_24adjacent_difference_implIS3_Lb1ELb0EPySB_N6thrust23THRUST_200600_302600_NS5minusIyEEEE10hipError_tPvRmT2_T3_mT4_P12ihipStream_tbEUlmE_yEESB_NS0_8identityIvEEEESG_SJ_SK_mSL_SN_bEUlT_E_NS1_11comp_targetILNS1_3genE3ELNS1_11target_archE908ELNS1_3gpuE7ELNS1_3repE0EEENS1_30default_config_static_selectorELNS0_4arch9wavefront6targetE0EEEvT1_
	.globl	_ZN7rocprim17ROCPRIM_400000_NS6detail17trampoline_kernelINS0_14default_configENS1_25transform_config_selectorIyLb0EEEZNS1_14transform_implILb0ES3_S5_NS0_18transform_iteratorINS0_17counting_iteratorImlEEZNS1_24adjacent_difference_implIS3_Lb1ELb0EPySB_N6thrust23THRUST_200600_302600_NS5minusIyEEEE10hipError_tPvRmT2_T3_mT4_P12ihipStream_tbEUlmE_yEESB_NS0_8identityIvEEEESG_SJ_SK_mSL_SN_bEUlT_E_NS1_11comp_targetILNS1_3genE3ELNS1_11target_archE908ELNS1_3gpuE7ELNS1_3repE0EEENS1_30default_config_static_selectorELNS0_4arch9wavefront6targetE0EEEvT1_
	.p2align	8
	.type	_ZN7rocprim17ROCPRIM_400000_NS6detail17trampoline_kernelINS0_14default_configENS1_25transform_config_selectorIyLb0EEEZNS1_14transform_implILb0ES3_S5_NS0_18transform_iteratorINS0_17counting_iteratorImlEEZNS1_24adjacent_difference_implIS3_Lb1ELb0EPySB_N6thrust23THRUST_200600_302600_NS5minusIyEEEE10hipError_tPvRmT2_T3_mT4_P12ihipStream_tbEUlmE_yEESB_NS0_8identityIvEEEESG_SJ_SK_mSL_SN_bEUlT_E_NS1_11comp_targetILNS1_3genE3ELNS1_11target_archE908ELNS1_3gpuE7ELNS1_3repE0EEENS1_30default_config_static_selectorELNS0_4arch9wavefront6targetE0EEEvT1_,@function
_ZN7rocprim17ROCPRIM_400000_NS6detail17trampoline_kernelINS0_14default_configENS1_25transform_config_selectorIyLb0EEEZNS1_14transform_implILb0ES3_S5_NS0_18transform_iteratorINS0_17counting_iteratorImlEEZNS1_24adjacent_difference_implIS3_Lb1ELb0EPySB_N6thrust23THRUST_200600_302600_NS5minusIyEEEE10hipError_tPvRmT2_T3_mT4_P12ihipStream_tbEUlmE_yEESB_NS0_8identityIvEEEESG_SJ_SK_mSL_SN_bEUlT_E_NS1_11comp_targetILNS1_3genE3ELNS1_11target_archE908ELNS1_3gpuE7ELNS1_3repE0EEENS1_30default_config_static_selectorELNS0_4arch9wavefront6targetE0EEEvT1_: ; @_ZN7rocprim17ROCPRIM_400000_NS6detail17trampoline_kernelINS0_14default_configENS1_25transform_config_selectorIyLb0EEEZNS1_14transform_implILb0ES3_S5_NS0_18transform_iteratorINS0_17counting_iteratorImlEEZNS1_24adjacent_difference_implIS3_Lb1ELb0EPySB_N6thrust23THRUST_200600_302600_NS5minusIyEEEE10hipError_tPvRmT2_T3_mT4_P12ihipStream_tbEUlmE_yEESB_NS0_8identityIvEEEESG_SJ_SK_mSL_SN_bEUlT_E_NS1_11comp_targetILNS1_3genE3ELNS1_11target_archE908ELNS1_3gpuE7ELNS1_3repE0EEENS1_30default_config_static_selectorELNS0_4arch9wavefront6targetE0EEEvT1_
; %bb.0:
	.section	.rodata,"a",@progbits
	.p2align	6, 0x0
	.amdhsa_kernel _ZN7rocprim17ROCPRIM_400000_NS6detail17trampoline_kernelINS0_14default_configENS1_25transform_config_selectorIyLb0EEEZNS1_14transform_implILb0ES3_S5_NS0_18transform_iteratorINS0_17counting_iteratorImlEEZNS1_24adjacent_difference_implIS3_Lb1ELb0EPySB_N6thrust23THRUST_200600_302600_NS5minusIyEEEE10hipError_tPvRmT2_T3_mT4_P12ihipStream_tbEUlmE_yEESB_NS0_8identityIvEEEESG_SJ_SK_mSL_SN_bEUlT_E_NS1_11comp_targetILNS1_3genE3ELNS1_11target_archE908ELNS1_3gpuE7ELNS1_3repE0EEENS1_30default_config_static_selectorELNS0_4arch9wavefront6targetE0EEEvT1_
		.amdhsa_group_segment_fixed_size 0
		.amdhsa_private_segment_fixed_size 0
		.amdhsa_kernarg_size 56
		.amdhsa_user_sgpr_count 15
		.amdhsa_user_sgpr_dispatch_ptr 0
		.amdhsa_user_sgpr_queue_ptr 0
		.amdhsa_user_sgpr_kernarg_segment_ptr 1
		.amdhsa_user_sgpr_dispatch_id 0
		.amdhsa_user_sgpr_private_segment_size 0
		.amdhsa_wavefront_size32 1
		.amdhsa_uses_dynamic_stack 0
		.amdhsa_enable_private_segment 0
		.amdhsa_system_sgpr_workgroup_id_x 1
		.amdhsa_system_sgpr_workgroup_id_y 0
		.amdhsa_system_sgpr_workgroup_id_z 0
		.amdhsa_system_sgpr_workgroup_info 0
		.amdhsa_system_vgpr_workitem_id 0
		.amdhsa_next_free_vgpr 1
		.amdhsa_next_free_sgpr 1
		.amdhsa_reserve_vcc 0
		.amdhsa_float_round_mode_32 0
		.amdhsa_float_round_mode_16_64 0
		.amdhsa_float_denorm_mode_32 3
		.amdhsa_float_denorm_mode_16_64 3
		.amdhsa_dx10_clamp 1
		.amdhsa_ieee_mode 1
		.amdhsa_fp16_overflow 0
		.amdhsa_workgroup_processor_mode 1
		.amdhsa_memory_ordered 1
		.amdhsa_forward_progress 0
		.amdhsa_shared_vgpr_count 0
		.amdhsa_exception_fp_ieee_invalid_op 0
		.amdhsa_exception_fp_denorm_src 0
		.amdhsa_exception_fp_ieee_div_zero 0
		.amdhsa_exception_fp_ieee_overflow 0
		.amdhsa_exception_fp_ieee_underflow 0
		.amdhsa_exception_fp_ieee_inexact 0
		.amdhsa_exception_int_div_zero 0
	.end_amdhsa_kernel
	.section	.text._ZN7rocprim17ROCPRIM_400000_NS6detail17trampoline_kernelINS0_14default_configENS1_25transform_config_selectorIyLb0EEEZNS1_14transform_implILb0ES3_S5_NS0_18transform_iteratorINS0_17counting_iteratorImlEEZNS1_24adjacent_difference_implIS3_Lb1ELb0EPySB_N6thrust23THRUST_200600_302600_NS5minusIyEEEE10hipError_tPvRmT2_T3_mT4_P12ihipStream_tbEUlmE_yEESB_NS0_8identityIvEEEESG_SJ_SK_mSL_SN_bEUlT_E_NS1_11comp_targetILNS1_3genE3ELNS1_11target_archE908ELNS1_3gpuE7ELNS1_3repE0EEENS1_30default_config_static_selectorELNS0_4arch9wavefront6targetE0EEEvT1_,"axG",@progbits,_ZN7rocprim17ROCPRIM_400000_NS6detail17trampoline_kernelINS0_14default_configENS1_25transform_config_selectorIyLb0EEEZNS1_14transform_implILb0ES3_S5_NS0_18transform_iteratorINS0_17counting_iteratorImlEEZNS1_24adjacent_difference_implIS3_Lb1ELb0EPySB_N6thrust23THRUST_200600_302600_NS5minusIyEEEE10hipError_tPvRmT2_T3_mT4_P12ihipStream_tbEUlmE_yEESB_NS0_8identityIvEEEESG_SJ_SK_mSL_SN_bEUlT_E_NS1_11comp_targetILNS1_3genE3ELNS1_11target_archE908ELNS1_3gpuE7ELNS1_3repE0EEENS1_30default_config_static_selectorELNS0_4arch9wavefront6targetE0EEEvT1_,comdat
.Lfunc_end115:
	.size	_ZN7rocprim17ROCPRIM_400000_NS6detail17trampoline_kernelINS0_14default_configENS1_25transform_config_selectorIyLb0EEEZNS1_14transform_implILb0ES3_S5_NS0_18transform_iteratorINS0_17counting_iteratorImlEEZNS1_24adjacent_difference_implIS3_Lb1ELb0EPySB_N6thrust23THRUST_200600_302600_NS5minusIyEEEE10hipError_tPvRmT2_T3_mT4_P12ihipStream_tbEUlmE_yEESB_NS0_8identityIvEEEESG_SJ_SK_mSL_SN_bEUlT_E_NS1_11comp_targetILNS1_3genE3ELNS1_11target_archE908ELNS1_3gpuE7ELNS1_3repE0EEENS1_30default_config_static_selectorELNS0_4arch9wavefront6targetE0EEEvT1_, .Lfunc_end115-_ZN7rocprim17ROCPRIM_400000_NS6detail17trampoline_kernelINS0_14default_configENS1_25transform_config_selectorIyLb0EEEZNS1_14transform_implILb0ES3_S5_NS0_18transform_iteratorINS0_17counting_iteratorImlEEZNS1_24adjacent_difference_implIS3_Lb1ELb0EPySB_N6thrust23THRUST_200600_302600_NS5minusIyEEEE10hipError_tPvRmT2_T3_mT4_P12ihipStream_tbEUlmE_yEESB_NS0_8identityIvEEEESG_SJ_SK_mSL_SN_bEUlT_E_NS1_11comp_targetILNS1_3genE3ELNS1_11target_archE908ELNS1_3gpuE7ELNS1_3repE0EEENS1_30default_config_static_selectorELNS0_4arch9wavefront6targetE0EEEvT1_
                                        ; -- End function
	.section	.AMDGPU.csdata,"",@progbits
; Kernel info:
; codeLenInByte = 0
; NumSgprs: 0
; NumVgprs: 0
; ScratchSize: 0
; MemoryBound: 0
; FloatMode: 240
; IeeeMode: 1
; LDSByteSize: 0 bytes/workgroup (compile time only)
; SGPRBlocks: 0
; VGPRBlocks: 0
; NumSGPRsForWavesPerEU: 1
; NumVGPRsForWavesPerEU: 1
; Occupancy: 16
; WaveLimiterHint : 0
; COMPUTE_PGM_RSRC2:SCRATCH_EN: 0
; COMPUTE_PGM_RSRC2:USER_SGPR: 15
; COMPUTE_PGM_RSRC2:TRAP_HANDLER: 0
; COMPUTE_PGM_RSRC2:TGID_X_EN: 1
; COMPUTE_PGM_RSRC2:TGID_Y_EN: 0
; COMPUTE_PGM_RSRC2:TGID_Z_EN: 0
; COMPUTE_PGM_RSRC2:TIDIG_COMP_CNT: 0
	.section	.text._ZN7rocprim17ROCPRIM_400000_NS6detail17trampoline_kernelINS0_14default_configENS1_25transform_config_selectorIyLb0EEEZNS1_14transform_implILb0ES3_S5_NS0_18transform_iteratorINS0_17counting_iteratorImlEEZNS1_24adjacent_difference_implIS3_Lb1ELb0EPySB_N6thrust23THRUST_200600_302600_NS5minusIyEEEE10hipError_tPvRmT2_T3_mT4_P12ihipStream_tbEUlmE_yEESB_NS0_8identityIvEEEESG_SJ_SK_mSL_SN_bEUlT_E_NS1_11comp_targetILNS1_3genE2ELNS1_11target_archE906ELNS1_3gpuE6ELNS1_3repE0EEENS1_30default_config_static_selectorELNS0_4arch9wavefront6targetE0EEEvT1_,"axG",@progbits,_ZN7rocprim17ROCPRIM_400000_NS6detail17trampoline_kernelINS0_14default_configENS1_25transform_config_selectorIyLb0EEEZNS1_14transform_implILb0ES3_S5_NS0_18transform_iteratorINS0_17counting_iteratorImlEEZNS1_24adjacent_difference_implIS3_Lb1ELb0EPySB_N6thrust23THRUST_200600_302600_NS5minusIyEEEE10hipError_tPvRmT2_T3_mT4_P12ihipStream_tbEUlmE_yEESB_NS0_8identityIvEEEESG_SJ_SK_mSL_SN_bEUlT_E_NS1_11comp_targetILNS1_3genE2ELNS1_11target_archE906ELNS1_3gpuE6ELNS1_3repE0EEENS1_30default_config_static_selectorELNS0_4arch9wavefront6targetE0EEEvT1_,comdat
	.protected	_ZN7rocprim17ROCPRIM_400000_NS6detail17trampoline_kernelINS0_14default_configENS1_25transform_config_selectorIyLb0EEEZNS1_14transform_implILb0ES3_S5_NS0_18transform_iteratorINS0_17counting_iteratorImlEEZNS1_24adjacent_difference_implIS3_Lb1ELb0EPySB_N6thrust23THRUST_200600_302600_NS5minusIyEEEE10hipError_tPvRmT2_T3_mT4_P12ihipStream_tbEUlmE_yEESB_NS0_8identityIvEEEESG_SJ_SK_mSL_SN_bEUlT_E_NS1_11comp_targetILNS1_3genE2ELNS1_11target_archE906ELNS1_3gpuE6ELNS1_3repE0EEENS1_30default_config_static_selectorELNS0_4arch9wavefront6targetE0EEEvT1_ ; -- Begin function _ZN7rocprim17ROCPRIM_400000_NS6detail17trampoline_kernelINS0_14default_configENS1_25transform_config_selectorIyLb0EEEZNS1_14transform_implILb0ES3_S5_NS0_18transform_iteratorINS0_17counting_iteratorImlEEZNS1_24adjacent_difference_implIS3_Lb1ELb0EPySB_N6thrust23THRUST_200600_302600_NS5minusIyEEEE10hipError_tPvRmT2_T3_mT4_P12ihipStream_tbEUlmE_yEESB_NS0_8identityIvEEEESG_SJ_SK_mSL_SN_bEUlT_E_NS1_11comp_targetILNS1_3genE2ELNS1_11target_archE906ELNS1_3gpuE6ELNS1_3repE0EEENS1_30default_config_static_selectorELNS0_4arch9wavefront6targetE0EEEvT1_
	.globl	_ZN7rocprim17ROCPRIM_400000_NS6detail17trampoline_kernelINS0_14default_configENS1_25transform_config_selectorIyLb0EEEZNS1_14transform_implILb0ES3_S5_NS0_18transform_iteratorINS0_17counting_iteratorImlEEZNS1_24adjacent_difference_implIS3_Lb1ELb0EPySB_N6thrust23THRUST_200600_302600_NS5minusIyEEEE10hipError_tPvRmT2_T3_mT4_P12ihipStream_tbEUlmE_yEESB_NS0_8identityIvEEEESG_SJ_SK_mSL_SN_bEUlT_E_NS1_11comp_targetILNS1_3genE2ELNS1_11target_archE906ELNS1_3gpuE6ELNS1_3repE0EEENS1_30default_config_static_selectorELNS0_4arch9wavefront6targetE0EEEvT1_
	.p2align	8
	.type	_ZN7rocprim17ROCPRIM_400000_NS6detail17trampoline_kernelINS0_14default_configENS1_25transform_config_selectorIyLb0EEEZNS1_14transform_implILb0ES3_S5_NS0_18transform_iteratorINS0_17counting_iteratorImlEEZNS1_24adjacent_difference_implIS3_Lb1ELb0EPySB_N6thrust23THRUST_200600_302600_NS5minusIyEEEE10hipError_tPvRmT2_T3_mT4_P12ihipStream_tbEUlmE_yEESB_NS0_8identityIvEEEESG_SJ_SK_mSL_SN_bEUlT_E_NS1_11comp_targetILNS1_3genE2ELNS1_11target_archE906ELNS1_3gpuE6ELNS1_3repE0EEENS1_30default_config_static_selectorELNS0_4arch9wavefront6targetE0EEEvT1_,@function
_ZN7rocprim17ROCPRIM_400000_NS6detail17trampoline_kernelINS0_14default_configENS1_25transform_config_selectorIyLb0EEEZNS1_14transform_implILb0ES3_S5_NS0_18transform_iteratorINS0_17counting_iteratorImlEEZNS1_24adjacent_difference_implIS3_Lb1ELb0EPySB_N6thrust23THRUST_200600_302600_NS5minusIyEEEE10hipError_tPvRmT2_T3_mT4_P12ihipStream_tbEUlmE_yEESB_NS0_8identityIvEEEESG_SJ_SK_mSL_SN_bEUlT_E_NS1_11comp_targetILNS1_3genE2ELNS1_11target_archE906ELNS1_3gpuE6ELNS1_3repE0EEENS1_30default_config_static_selectorELNS0_4arch9wavefront6targetE0EEEvT1_: ; @_ZN7rocprim17ROCPRIM_400000_NS6detail17trampoline_kernelINS0_14default_configENS1_25transform_config_selectorIyLb0EEEZNS1_14transform_implILb0ES3_S5_NS0_18transform_iteratorINS0_17counting_iteratorImlEEZNS1_24adjacent_difference_implIS3_Lb1ELb0EPySB_N6thrust23THRUST_200600_302600_NS5minusIyEEEE10hipError_tPvRmT2_T3_mT4_P12ihipStream_tbEUlmE_yEESB_NS0_8identityIvEEEESG_SJ_SK_mSL_SN_bEUlT_E_NS1_11comp_targetILNS1_3genE2ELNS1_11target_archE906ELNS1_3gpuE6ELNS1_3repE0EEENS1_30default_config_static_selectorELNS0_4arch9wavefront6targetE0EEEvT1_
; %bb.0:
	.section	.rodata,"a",@progbits
	.p2align	6, 0x0
	.amdhsa_kernel _ZN7rocprim17ROCPRIM_400000_NS6detail17trampoline_kernelINS0_14default_configENS1_25transform_config_selectorIyLb0EEEZNS1_14transform_implILb0ES3_S5_NS0_18transform_iteratorINS0_17counting_iteratorImlEEZNS1_24adjacent_difference_implIS3_Lb1ELb0EPySB_N6thrust23THRUST_200600_302600_NS5minusIyEEEE10hipError_tPvRmT2_T3_mT4_P12ihipStream_tbEUlmE_yEESB_NS0_8identityIvEEEESG_SJ_SK_mSL_SN_bEUlT_E_NS1_11comp_targetILNS1_3genE2ELNS1_11target_archE906ELNS1_3gpuE6ELNS1_3repE0EEENS1_30default_config_static_selectorELNS0_4arch9wavefront6targetE0EEEvT1_
		.amdhsa_group_segment_fixed_size 0
		.amdhsa_private_segment_fixed_size 0
		.amdhsa_kernarg_size 56
		.amdhsa_user_sgpr_count 15
		.amdhsa_user_sgpr_dispatch_ptr 0
		.amdhsa_user_sgpr_queue_ptr 0
		.amdhsa_user_sgpr_kernarg_segment_ptr 1
		.amdhsa_user_sgpr_dispatch_id 0
		.amdhsa_user_sgpr_private_segment_size 0
		.amdhsa_wavefront_size32 1
		.amdhsa_uses_dynamic_stack 0
		.amdhsa_enable_private_segment 0
		.amdhsa_system_sgpr_workgroup_id_x 1
		.amdhsa_system_sgpr_workgroup_id_y 0
		.amdhsa_system_sgpr_workgroup_id_z 0
		.amdhsa_system_sgpr_workgroup_info 0
		.amdhsa_system_vgpr_workitem_id 0
		.amdhsa_next_free_vgpr 1
		.amdhsa_next_free_sgpr 1
		.amdhsa_reserve_vcc 0
		.amdhsa_float_round_mode_32 0
		.amdhsa_float_round_mode_16_64 0
		.amdhsa_float_denorm_mode_32 3
		.amdhsa_float_denorm_mode_16_64 3
		.amdhsa_dx10_clamp 1
		.amdhsa_ieee_mode 1
		.amdhsa_fp16_overflow 0
		.amdhsa_workgroup_processor_mode 1
		.amdhsa_memory_ordered 1
		.amdhsa_forward_progress 0
		.amdhsa_shared_vgpr_count 0
		.amdhsa_exception_fp_ieee_invalid_op 0
		.amdhsa_exception_fp_denorm_src 0
		.amdhsa_exception_fp_ieee_div_zero 0
		.amdhsa_exception_fp_ieee_overflow 0
		.amdhsa_exception_fp_ieee_underflow 0
		.amdhsa_exception_fp_ieee_inexact 0
		.amdhsa_exception_int_div_zero 0
	.end_amdhsa_kernel
	.section	.text._ZN7rocprim17ROCPRIM_400000_NS6detail17trampoline_kernelINS0_14default_configENS1_25transform_config_selectorIyLb0EEEZNS1_14transform_implILb0ES3_S5_NS0_18transform_iteratorINS0_17counting_iteratorImlEEZNS1_24adjacent_difference_implIS3_Lb1ELb0EPySB_N6thrust23THRUST_200600_302600_NS5minusIyEEEE10hipError_tPvRmT2_T3_mT4_P12ihipStream_tbEUlmE_yEESB_NS0_8identityIvEEEESG_SJ_SK_mSL_SN_bEUlT_E_NS1_11comp_targetILNS1_3genE2ELNS1_11target_archE906ELNS1_3gpuE6ELNS1_3repE0EEENS1_30default_config_static_selectorELNS0_4arch9wavefront6targetE0EEEvT1_,"axG",@progbits,_ZN7rocprim17ROCPRIM_400000_NS6detail17trampoline_kernelINS0_14default_configENS1_25transform_config_selectorIyLb0EEEZNS1_14transform_implILb0ES3_S5_NS0_18transform_iteratorINS0_17counting_iteratorImlEEZNS1_24adjacent_difference_implIS3_Lb1ELb0EPySB_N6thrust23THRUST_200600_302600_NS5minusIyEEEE10hipError_tPvRmT2_T3_mT4_P12ihipStream_tbEUlmE_yEESB_NS0_8identityIvEEEESG_SJ_SK_mSL_SN_bEUlT_E_NS1_11comp_targetILNS1_3genE2ELNS1_11target_archE906ELNS1_3gpuE6ELNS1_3repE0EEENS1_30default_config_static_selectorELNS0_4arch9wavefront6targetE0EEEvT1_,comdat
.Lfunc_end116:
	.size	_ZN7rocprim17ROCPRIM_400000_NS6detail17trampoline_kernelINS0_14default_configENS1_25transform_config_selectorIyLb0EEEZNS1_14transform_implILb0ES3_S5_NS0_18transform_iteratorINS0_17counting_iteratorImlEEZNS1_24adjacent_difference_implIS3_Lb1ELb0EPySB_N6thrust23THRUST_200600_302600_NS5minusIyEEEE10hipError_tPvRmT2_T3_mT4_P12ihipStream_tbEUlmE_yEESB_NS0_8identityIvEEEESG_SJ_SK_mSL_SN_bEUlT_E_NS1_11comp_targetILNS1_3genE2ELNS1_11target_archE906ELNS1_3gpuE6ELNS1_3repE0EEENS1_30default_config_static_selectorELNS0_4arch9wavefront6targetE0EEEvT1_, .Lfunc_end116-_ZN7rocprim17ROCPRIM_400000_NS6detail17trampoline_kernelINS0_14default_configENS1_25transform_config_selectorIyLb0EEEZNS1_14transform_implILb0ES3_S5_NS0_18transform_iteratorINS0_17counting_iteratorImlEEZNS1_24adjacent_difference_implIS3_Lb1ELb0EPySB_N6thrust23THRUST_200600_302600_NS5minusIyEEEE10hipError_tPvRmT2_T3_mT4_P12ihipStream_tbEUlmE_yEESB_NS0_8identityIvEEEESG_SJ_SK_mSL_SN_bEUlT_E_NS1_11comp_targetILNS1_3genE2ELNS1_11target_archE906ELNS1_3gpuE6ELNS1_3repE0EEENS1_30default_config_static_selectorELNS0_4arch9wavefront6targetE0EEEvT1_
                                        ; -- End function
	.section	.AMDGPU.csdata,"",@progbits
; Kernel info:
; codeLenInByte = 0
; NumSgprs: 0
; NumVgprs: 0
; ScratchSize: 0
; MemoryBound: 0
; FloatMode: 240
; IeeeMode: 1
; LDSByteSize: 0 bytes/workgroup (compile time only)
; SGPRBlocks: 0
; VGPRBlocks: 0
; NumSGPRsForWavesPerEU: 1
; NumVGPRsForWavesPerEU: 1
; Occupancy: 16
; WaveLimiterHint : 0
; COMPUTE_PGM_RSRC2:SCRATCH_EN: 0
; COMPUTE_PGM_RSRC2:USER_SGPR: 15
; COMPUTE_PGM_RSRC2:TRAP_HANDLER: 0
; COMPUTE_PGM_RSRC2:TGID_X_EN: 1
; COMPUTE_PGM_RSRC2:TGID_Y_EN: 0
; COMPUTE_PGM_RSRC2:TGID_Z_EN: 0
; COMPUTE_PGM_RSRC2:TIDIG_COMP_CNT: 0
	.section	.text._ZN7rocprim17ROCPRIM_400000_NS6detail17trampoline_kernelINS0_14default_configENS1_25transform_config_selectorIyLb0EEEZNS1_14transform_implILb0ES3_S5_NS0_18transform_iteratorINS0_17counting_iteratorImlEEZNS1_24adjacent_difference_implIS3_Lb1ELb0EPySB_N6thrust23THRUST_200600_302600_NS5minusIyEEEE10hipError_tPvRmT2_T3_mT4_P12ihipStream_tbEUlmE_yEESB_NS0_8identityIvEEEESG_SJ_SK_mSL_SN_bEUlT_E_NS1_11comp_targetILNS1_3genE10ELNS1_11target_archE1201ELNS1_3gpuE5ELNS1_3repE0EEENS1_30default_config_static_selectorELNS0_4arch9wavefront6targetE0EEEvT1_,"axG",@progbits,_ZN7rocprim17ROCPRIM_400000_NS6detail17trampoline_kernelINS0_14default_configENS1_25transform_config_selectorIyLb0EEEZNS1_14transform_implILb0ES3_S5_NS0_18transform_iteratorINS0_17counting_iteratorImlEEZNS1_24adjacent_difference_implIS3_Lb1ELb0EPySB_N6thrust23THRUST_200600_302600_NS5minusIyEEEE10hipError_tPvRmT2_T3_mT4_P12ihipStream_tbEUlmE_yEESB_NS0_8identityIvEEEESG_SJ_SK_mSL_SN_bEUlT_E_NS1_11comp_targetILNS1_3genE10ELNS1_11target_archE1201ELNS1_3gpuE5ELNS1_3repE0EEENS1_30default_config_static_selectorELNS0_4arch9wavefront6targetE0EEEvT1_,comdat
	.protected	_ZN7rocprim17ROCPRIM_400000_NS6detail17trampoline_kernelINS0_14default_configENS1_25transform_config_selectorIyLb0EEEZNS1_14transform_implILb0ES3_S5_NS0_18transform_iteratorINS0_17counting_iteratorImlEEZNS1_24adjacent_difference_implIS3_Lb1ELb0EPySB_N6thrust23THRUST_200600_302600_NS5minusIyEEEE10hipError_tPvRmT2_T3_mT4_P12ihipStream_tbEUlmE_yEESB_NS0_8identityIvEEEESG_SJ_SK_mSL_SN_bEUlT_E_NS1_11comp_targetILNS1_3genE10ELNS1_11target_archE1201ELNS1_3gpuE5ELNS1_3repE0EEENS1_30default_config_static_selectorELNS0_4arch9wavefront6targetE0EEEvT1_ ; -- Begin function _ZN7rocprim17ROCPRIM_400000_NS6detail17trampoline_kernelINS0_14default_configENS1_25transform_config_selectorIyLb0EEEZNS1_14transform_implILb0ES3_S5_NS0_18transform_iteratorINS0_17counting_iteratorImlEEZNS1_24adjacent_difference_implIS3_Lb1ELb0EPySB_N6thrust23THRUST_200600_302600_NS5minusIyEEEE10hipError_tPvRmT2_T3_mT4_P12ihipStream_tbEUlmE_yEESB_NS0_8identityIvEEEESG_SJ_SK_mSL_SN_bEUlT_E_NS1_11comp_targetILNS1_3genE10ELNS1_11target_archE1201ELNS1_3gpuE5ELNS1_3repE0EEENS1_30default_config_static_selectorELNS0_4arch9wavefront6targetE0EEEvT1_
	.globl	_ZN7rocprim17ROCPRIM_400000_NS6detail17trampoline_kernelINS0_14default_configENS1_25transform_config_selectorIyLb0EEEZNS1_14transform_implILb0ES3_S5_NS0_18transform_iteratorINS0_17counting_iteratorImlEEZNS1_24adjacent_difference_implIS3_Lb1ELb0EPySB_N6thrust23THRUST_200600_302600_NS5minusIyEEEE10hipError_tPvRmT2_T3_mT4_P12ihipStream_tbEUlmE_yEESB_NS0_8identityIvEEEESG_SJ_SK_mSL_SN_bEUlT_E_NS1_11comp_targetILNS1_3genE10ELNS1_11target_archE1201ELNS1_3gpuE5ELNS1_3repE0EEENS1_30default_config_static_selectorELNS0_4arch9wavefront6targetE0EEEvT1_
	.p2align	8
	.type	_ZN7rocprim17ROCPRIM_400000_NS6detail17trampoline_kernelINS0_14default_configENS1_25transform_config_selectorIyLb0EEEZNS1_14transform_implILb0ES3_S5_NS0_18transform_iteratorINS0_17counting_iteratorImlEEZNS1_24adjacent_difference_implIS3_Lb1ELb0EPySB_N6thrust23THRUST_200600_302600_NS5minusIyEEEE10hipError_tPvRmT2_T3_mT4_P12ihipStream_tbEUlmE_yEESB_NS0_8identityIvEEEESG_SJ_SK_mSL_SN_bEUlT_E_NS1_11comp_targetILNS1_3genE10ELNS1_11target_archE1201ELNS1_3gpuE5ELNS1_3repE0EEENS1_30default_config_static_selectorELNS0_4arch9wavefront6targetE0EEEvT1_,@function
_ZN7rocprim17ROCPRIM_400000_NS6detail17trampoline_kernelINS0_14default_configENS1_25transform_config_selectorIyLb0EEEZNS1_14transform_implILb0ES3_S5_NS0_18transform_iteratorINS0_17counting_iteratorImlEEZNS1_24adjacent_difference_implIS3_Lb1ELb0EPySB_N6thrust23THRUST_200600_302600_NS5minusIyEEEE10hipError_tPvRmT2_T3_mT4_P12ihipStream_tbEUlmE_yEESB_NS0_8identityIvEEEESG_SJ_SK_mSL_SN_bEUlT_E_NS1_11comp_targetILNS1_3genE10ELNS1_11target_archE1201ELNS1_3gpuE5ELNS1_3repE0EEENS1_30default_config_static_selectorELNS0_4arch9wavefront6targetE0EEEvT1_: ; @_ZN7rocprim17ROCPRIM_400000_NS6detail17trampoline_kernelINS0_14default_configENS1_25transform_config_selectorIyLb0EEEZNS1_14transform_implILb0ES3_S5_NS0_18transform_iteratorINS0_17counting_iteratorImlEEZNS1_24adjacent_difference_implIS3_Lb1ELb0EPySB_N6thrust23THRUST_200600_302600_NS5minusIyEEEE10hipError_tPvRmT2_T3_mT4_P12ihipStream_tbEUlmE_yEESB_NS0_8identityIvEEEESG_SJ_SK_mSL_SN_bEUlT_E_NS1_11comp_targetILNS1_3genE10ELNS1_11target_archE1201ELNS1_3gpuE5ELNS1_3repE0EEENS1_30default_config_static_selectorELNS0_4arch9wavefront6targetE0EEEvT1_
; %bb.0:
	.section	.rodata,"a",@progbits
	.p2align	6, 0x0
	.amdhsa_kernel _ZN7rocprim17ROCPRIM_400000_NS6detail17trampoline_kernelINS0_14default_configENS1_25transform_config_selectorIyLb0EEEZNS1_14transform_implILb0ES3_S5_NS0_18transform_iteratorINS0_17counting_iteratorImlEEZNS1_24adjacent_difference_implIS3_Lb1ELb0EPySB_N6thrust23THRUST_200600_302600_NS5minusIyEEEE10hipError_tPvRmT2_T3_mT4_P12ihipStream_tbEUlmE_yEESB_NS0_8identityIvEEEESG_SJ_SK_mSL_SN_bEUlT_E_NS1_11comp_targetILNS1_3genE10ELNS1_11target_archE1201ELNS1_3gpuE5ELNS1_3repE0EEENS1_30default_config_static_selectorELNS0_4arch9wavefront6targetE0EEEvT1_
		.amdhsa_group_segment_fixed_size 0
		.amdhsa_private_segment_fixed_size 0
		.amdhsa_kernarg_size 56
		.amdhsa_user_sgpr_count 15
		.amdhsa_user_sgpr_dispatch_ptr 0
		.amdhsa_user_sgpr_queue_ptr 0
		.amdhsa_user_sgpr_kernarg_segment_ptr 1
		.amdhsa_user_sgpr_dispatch_id 0
		.amdhsa_user_sgpr_private_segment_size 0
		.amdhsa_wavefront_size32 1
		.amdhsa_uses_dynamic_stack 0
		.amdhsa_enable_private_segment 0
		.amdhsa_system_sgpr_workgroup_id_x 1
		.amdhsa_system_sgpr_workgroup_id_y 0
		.amdhsa_system_sgpr_workgroup_id_z 0
		.amdhsa_system_sgpr_workgroup_info 0
		.amdhsa_system_vgpr_workitem_id 0
		.amdhsa_next_free_vgpr 1
		.amdhsa_next_free_sgpr 1
		.amdhsa_reserve_vcc 0
		.amdhsa_float_round_mode_32 0
		.amdhsa_float_round_mode_16_64 0
		.amdhsa_float_denorm_mode_32 3
		.amdhsa_float_denorm_mode_16_64 3
		.amdhsa_dx10_clamp 1
		.amdhsa_ieee_mode 1
		.amdhsa_fp16_overflow 0
		.amdhsa_workgroup_processor_mode 1
		.amdhsa_memory_ordered 1
		.amdhsa_forward_progress 0
		.amdhsa_shared_vgpr_count 0
		.amdhsa_exception_fp_ieee_invalid_op 0
		.amdhsa_exception_fp_denorm_src 0
		.amdhsa_exception_fp_ieee_div_zero 0
		.amdhsa_exception_fp_ieee_overflow 0
		.amdhsa_exception_fp_ieee_underflow 0
		.amdhsa_exception_fp_ieee_inexact 0
		.amdhsa_exception_int_div_zero 0
	.end_amdhsa_kernel
	.section	.text._ZN7rocprim17ROCPRIM_400000_NS6detail17trampoline_kernelINS0_14default_configENS1_25transform_config_selectorIyLb0EEEZNS1_14transform_implILb0ES3_S5_NS0_18transform_iteratorINS0_17counting_iteratorImlEEZNS1_24adjacent_difference_implIS3_Lb1ELb0EPySB_N6thrust23THRUST_200600_302600_NS5minusIyEEEE10hipError_tPvRmT2_T3_mT4_P12ihipStream_tbEUlmE_yEESB_NS0_8identityIvEEEESG_SJ_SK_mSL_SN_bEUlT_E_NS1_11comp_targetILNS1_3genE10ELNS1_11target_archE1201ELNS1_3gpuE5ELNS1_3repE0EEENS1_30default_config_static_selectorELNS0_4arch9wavefront6targetE0EEEvT1_,"axG",@progbits,_ZN7rocprim17ROCPRIM_400000_NS6detail17trampoline_kernelINS0_14default_configENS1_25transform_config_selectorIyLb0EEEZNS1_14transform_implILb0ES3_S5_NS0_18transform_iteratorINS0_17counting_iteratorImlEEZNS1_24adjacent_difference_implIS3_Lb1ELb0EPySB_N6thrust23THRUST_200600_302600_NS5minusIyEEEE10hipError_tPvRmT2_T3_mT4_P12ihipStream_tbEUlmE_yEESB_NS0_8identityIvEEEESG_SJ_SK_mSL_SN_bEUlT_E_NS1_11comp_targetILNS1_3genE10ELNS1_11target_archE1201ELNS1_3gpuE5ELNS1_3repE0EEENS1_30default_config_static_selectorELNS0_4arch9wavefront6targetE0EEEvT1_,comdat
.Lfunc_end117:
	.size	_ZN7rocprim17ROCPRIM_400000_NS6detail17trampoline_kernelINS0_14default_configENS1_25transform_config_selectorIyLb0EEEZNS1_14transform_implILb0ES3_S5_NS0_18transform_iteratorINS0_17counting_iteratorImlEEZNS1_24adjacent_difference_implIS3_Lb1ELb0EPySB_N6thrust23THRUST_200600_302600_NS5minusIyEEEE10hipError_tPvRmT2_T3_mT4_P12ihipStream_tbEUlmE_yEESB_NS0_8identityIvEEEESG_SJ_SK_mSL_SN_bEUlT_E_NS1_11comp_targetILNS1_3genE10ELNS1_11target_archE1201ELNS1_3gpuE5ELNS1_3repE0EEENS1_30default_config_static_selectorELNS0_4arch9wavefront6targetE0EEEvT1_, .Lfunc_end117-_ZN7rocprim17ROCPRIM_400000_NS6detail17trampoline_kernelINS0_14default_configENS1_25transform_config_selectorIyLb0EEEZNS1_14transform_implILb0ES3_S5_NS0_18transform_iteratorINS0_17counting_iteratorImlEEZNS1_24adjacent_difference_implIS3_Lb1ELb0EPySB_N6thrust23THRUST_200600_302600_NS5minusIyEEEE10hipError_tPvRmT2_T3_mT4_P12ihipStream_tbEUlmE_yEESB_NS0_8identityIvEEEESG_SJ_SK_mSL_SN_bEUlT_E_NS1_11comp_targetILNS1_3genE10ELNS1_11target_archE1201ELNS1_3gpuE5ELNS1_3repE0EEENS1_30default_config_static_selectorELNS0_4arch9wavefront6targetE0EEEvT1_
                                        ; -- End function
	.section	.AMDGPU.csdata,"",@progbits
; Kernel info:
; codeLenInByte = 0
; NumSgprs: 0
; NumVgprs: 0
; ScratchSize: 0
; MemoryBound: 0
; FloatMode: 240
; IeeeMode: 1
; LDSByteSize: 0 bytes/workgroup (compile time only)
; SGPRBlocks: 0
; VGPRBlocks: 0
; NumSGPRsForWavesPerEU: 1
; NumVGPRsForWavesPerEU: 1
; Occupancy: 16
; WaveLimiterHint : 0
; COMPUTE_PGM_RSRC2:SCRATCH_EN: 0
; COMPUTE_PGM_RSRC2:USER_SGPR: 15
; COMPUTE_PGM_RSRC2:TRAP_HANDLER: 0
; COMPUTE_PGM_RSRC2:TGID_X_EN: 1
; COMPUTE_PGM_RSRC2:TGID_Y_EN: 0
; COMPUTE_PGM_RSRC2:TGID_Z_EN: 0
; COMPUTE_PGM_RSRC2:TIDIG_COMP_CNT: 0
	.section	.text._ZN7rocprim17ROCPRIM_400000_NS6detail17trampoline_kernelINS0_14default_configENS1_25transform_config_selectorIyLb0EEEZNS1_14transform_implILb0ES3_S5_NS0_18transform_iteratorINS0_17counting_iteratorImlEEZNS1_24adjacent_difference_implIS3_Lb1ELb0EPySB_N6thrust23THRUST_200600_302600_NS5minusIyEEEE10hipError_tPvRmT2_T3_mT4_P12ihipStream_tbEUlmE_yEESB_NS0_8identityIvEEEESG_SJ_SK_mSL_SN_bEUlT_E_NS1_11comp_targetILNS1_3genE10ELNS1_11target_archE1200ELNS1_3gpuE4ELNS1_3repE0EEENS1_30default_config_static_selectorELNS0_4arch9wavefront6targetE0EEEvT1_,"axG",@progbits,_ZN7rocprim17ROCPRIM_400000_NS6detail17trampoline_kernelINS0_14default_configENS1_25transform_config_selectorIyLb0EEEZNS1_14transform_implILb0ES3_S5_NS0_18transform_iteratorINS0_17counting_iteratorImlEEZNS1_24adjacent_difference_implIS3_Lb1ELb0EPySB_N6thrust23THRUST_200600_302600_NS5minusIyEEEE10hipError_tPvRmT2_T3_mT4_P12ihipStream_tbEUlmE_yEESB_NS0_8identityIvEEEESG_SJ_SK_mSL_SN_bEUlT_E_NS1_11comp_targetILNS1_3genE10ELNS1_11target_archE1200ELNS1_3gpuE4ELNS1_3repE0EEENS1_30default_config_static_selectorELNS0_4arch9wavefront6targetE0EEEvT1_,comdat
	.protected	_ZN7rocprim17ROCPRIM_400000_NS6detail17trampoline_kernelINS0_14default_configENS1_25transform_config_selectorIyLb0EEEZNS1_14transform_implILb0ES3_S5_NS0_18transform_iteratorINS0_17counting_iteratorImlEEZNS1_24adjacent_difference_implIS3_Lb1ELb0EPySB_N6thrust23THRUST_200600_302600_NS5minusIyEEEE10hipError_tPvRmT2_T3_mT4_P12ihipStream_tbEUlmE_yEESB_NS0_8identityIvEEEESG_SJ_SK_mSL_SN_bEUlT_E_NS1_11comp_targetILNS1_3genE10ELNS1_11target_archE1200ELNS1_3gpuE4ELNS1_3repE0EEENS1_30default_config_static_selectorELNS0_4arch9wavefront6targetE0EEEvT1_ ; -- Begin function _ZN7rocprim17ROCPRIM_400000_NS6detail17trampoline_kernelINS0_14default_configENS1_25transform_config_selectorIyLb0EEEZNS1_14transform_implILb0ES3_S5_NS0_18transform_iteratorINS0_17counting_iteratorImlEEZNS1_24adjacent_difference_implIS3_Lb1ELb0EPySB_N6thrust23THRUST_200600_302600_NS5minusIyEEEE10hipError_tPvRmT2_T3_mT4_P12ihipStream_tbEUlmE_yEESB_NS0_8identityIvEEEESG_SJ_SK_mSL_SN_bEUlT_E_NS1_11comp_targetILNS1_3genE10ELNS1_11target_archE1200ELNS1_3gpuE4ELNS1_3repE0EEENS1_30default_config_static_selectorELNS0_4arch9wavefront6targetE0EEEvT1_
	.globl	_ZN7rocprim17ROCPRIM_400000_NS6detail17trampoline_kernelINS0_14default_configENS1_25transform_config_selectorIyLb0EEEZNS1_14transform_implILb0ES3_S5_NS0_18transform_iteratorINS0_17counting_iteratorImlEEZNS1_24adjacent_difference_implIS3_Lb1ELb0EPySB_N6thrust23THRUST_200600_302600_NS5minusIyEEEE10hipError_tPvRmT2_T3_mT4_P12ihipStream_tbEUlmE_yEESB_NS0_8identityIvEEEESG_SJ_SK_mSL_SN_bEUlT_E_NS1_11comp_targetILNS1_3genE10ELNS1_11target_archE1200ELNS1_3gpuE4ELNS1_3repE0EEENS1_30default_config_static_selectorELNS0_4arch9wavefront6targetE0EEEvT1_
	.p2align	8
	.type	_ZN7rocprim17ROCPRIM_400000_NS6detail17trampoline_kernelINS0_14default_configENS1_25transform_config_selectorIyLb0EEEZNS1_14transform_implILb0ES3_S5_NS0_18transform_iteratorINS0_17counting_iteratorImlEEZNS1_24adjacent_difference_implIS3_Lb1ELb0EPySB_N6thrust23THRUST_200600_302600_NS5minusIyEEEE10hipError_tPvRmT2_T3_mT4_P12ihipStream_tbEUlmE_yEESB_NS0_8identityIvEEEESG_SJ_SK_mSL_SN_bEUlT_E_NS1_11comp_targetILNS1_3genE10ELNS1_11target_archE1200ELNS1_3gpuE4ELNS1_3repE0EEENS1_30default_config_static_selectorELNS0_4arch9wavefront6targetE0EEEvT1_,@function
_ZN7rocprim17ROCPRIM_400000_NS6detail17trampoline_kernelINS0_14default_configENS1_25transform_config_selectorIyLb0EEEZNS1_14transform_implILb0ES3_S5_NS0_18transform_iteratorINS0_17counting_iteratorImlEEZNS1_24adjacent_difference_implIS3_Lb1ELb0EPySB_N6thrust23THRUST_200600_302600_NS5minusIyEEEE10hipError_tPvRmT2_T3_mT4_P12ihipStream_tbEUlmE_yEESB_NS0_8identityIvEEEESG_SJ_SK_mSL_SN_bEUlT_E_NS1_11comp_targetILNS1_3genE10ELNS1_11target_archE1200ELNS1_3gpuE4ELNS1_3repE0EEENS1_30default_config_static_selectorELNS0_4arch9wavefront6targetE0EEEvT1_: ; @_ZN7rocprim17ROCPRIM_400000_NS6detail17trampoline_kernelINS0_14default_configENS1_25transform_config_selectorIyLb0EEEZNS1_14transform_implILb0ES3_S5_NS0_18transform_iteratorINS0_17counting_iteratorImlEEZNS1_24adjacent_difference_implIS3_Lb1ELb0EPySB_N6thrust23THRUST_200600_302600_NS5minusIyEEEE10hipError_tPvRmT2_T3_mT4_P12ihipStream_tbEUlmE_yEESB_NS0_8identityIvEEEESG_SJ_SK_mSL_SN_bEUlT_E_NS1_11comp_targetILNS1_3genE10ELNS1_11target_archE1200ELNS1_3gpuE4ELNS1_3repE0EEENS1_30default_config_static_selectorELNS0_4arch9wavefront6targetE0EEEvT1_
; %bb.0:
	.section	.rodata,"a",@progbits
	.p2align	6, 0x0
	.amdhsa_kernel _ZN7rocprim17ROCPRIM_400000_NS6detail17trampoline_kernelINS0_14default_configENS1_25transform_config_selectorIyLb0EEEZNS1_14transform_implILb0ES3_S5_NS0_18transform_iteratorINS0_17counting_iteratorImlEEZNS1_24adjacent_difference_implIS3_Lb1ELb0EPySB_N6thrust23THRUST_200600_302600_NS5minusIyEEEE10hipError_tPvRmT2_T3_mT4_P12ihipStream_tbEUlmE_yEESB_NS0_8identityIvEEEESG_SJ_SK_mSL_SN_bEUlT_E_NS1_11comp_targetILNS1_3genE10ELNS1_11target_archE1200ELNS1_3gpuE4ELNS1_3repE0EEENS1_30default_config_static_selectorELNS0_4arch9wavefront6targetE0EEEvT1_
		.amdhsa_group_segment_fixed_size 0
		.amdhsa_private_segment_fixed_size 0
		.amdhsa_kernarg_size 56
		.amdhsa_user_sgpr_count 15
		.amdhsa_user_sgpr_dispatch_ptr 0
		.amdhsa_user_sgpr_queue_ptr 0
		.amdhsa_user_sgpr_kernarg_segment_ptr 1
		.amdhsa_user_sgpr_dispatch_id 0
		.amdhsa_user_sgpr_private_segment_size 0
		.amdhsa_wavefront_size32 1
		.amdhsa_uses_dynamic_stack 0
		.amdhsa_enable_private_segment 0
		.amdhsa_system_sgpr_workgroup_id_x 1
		.amdhsa_system_sgpr_workgroup_id_y 0
		.amdhsa_system_sgpr_workgroup_id_z 0
		.amdhsa_system_sgpr_workgroup_info 0
		.amdhsa_system_vgpr_workitem_id 0
		.amdhsa_next_free_vgpr 1
		.amdhsa_next_free_sgpr 1
		.amdhsa_reserve_vcc 0
		.amdhsa_float_round_mode_32 0
		.amdhsa_float_round_mode_16_64 0
		.amdhsa_float_denorm_mode_32 3
		.amdhsa_float_denorm_mode_16_64 3
		.amdhsa_dx10_clamp 1
		.amdhsa_ieee_mode 1
		.amdhsa_fp16_overflow 0
		.amdhsa_workgroup_processor_mode 1
		.amdhsa_memory_ordered 1
		.amdhsa_forward_progress 0
		.amdhsa_shared_vgpr_count 0
		.amdhsa_exception_fp_ieee_invalid_op 0
		.amdhsa_exception_fp_denorm_src 0
		.amdhsa_exception_fp_ieee_div_zero 0
		.amdhsa_exception_fp_ieee_overflow 0
		.amdhsa_exception_fp_ieee_underflow 0
		.amdhsa_exception_fp_ieee_inexact 0
		.amdhsa_exception_int_div_zero 0
	.end_amdhsa_kernel
	.section	.text._ZN7rocprim17ROCPRIM_400000_NS6detail17trampoline_kernelINS0_14default_configENS1_25transform_config_selectorIyLb0EEEZNS1_14transform_implILb0ES3_S5_NS0_18transform_iteratorINS0_17counting_iteratorImlEEZNS1_24adjacent_difference_implIS3_Lb1ELb0EPySB_N6thrust23THRUST_200600_302600_NS5minusIyEEEE10hipError_tPvRmT2_T3_mT4_P12ihipStream_tbEUlmE_yEESB_NS0_8identityIvEEEESG_SJ_SK_mSL_SN_bEUlT_E_NS1_11comp_targetILNS1_3genE10ELNS1_11target_archE1200ELNS1_3gpuE4ELNS1_3repE0EEENS1_30default_config_static_selectorELNS0_4arch9wavefront6targetE0EEEvT1_,"axG",@progbits,_ZN7rocprim17ROCPRIM_400000_NS6detail17trampoline_kernelINS0_14default_configENS1_25transform_config_selectorIyLb0EEEZNS1_14transform_implILb0ES3_S5_NS0_18transform_iteratorINS0_17counting_iteratorImlEEZNS1_24adjacent_difference_implIS3_Lb1ELb0EPySB_N6thrust23THRUST_200600_302600_NS5minusIyEEEE10hipError_tPvRmT2_T3_mT4_P12ihipStream_tbEUlmE_yEESB_NS0_8identityIvEEEESG_SJ_SK_mSL_SN_bEUlT_E_NS1_11comp_targetILNS1_3genE10ELNS1_11target_archE1200ELNS1_3gpuE4ELNS1_3repE0EEENS1_30default_config_static_selectorELNS0_4arch9wavefront6targetE0EEEvT1_,comdat
.Lfunc_end118:
	.size	_ZN7rocprim17ROCPRIM_400000_NS6detail17trampoline_kernelINS0_14default_configENS1_25transform_config_selectorIyLb0EEEZNS1_14transform_implILb0ES3_S5_NS0_18transform_iteratorINS0_17counting_iteratorImlEEZNS1_24adjacent_difference_implIS3_Lb1ELb0EPySB_N6thrust23THRUST_200600_302600_NS5minusIyEEEE10hipError_tPvRmT2_T3_mT4_P12ihipStream_tbEUlmE_yEESB_NS0_8identityIvEEEESG_SJ_SK_mSL_SN_bEUlT_E_NS1_11comp_targetILNS1_3genE10ELNS1_11target_archE1200ELNS1_3gpuE4ELNS1_3repE0EEENS1_30default_config_static_selectorELNS0_4arch9wavefront6targetE0EEEvT1_, .Lfunc_end118-_ZN7rocprim17ROCPRIM_400000_NS6detail17trampoline_kernelINS0_14default_configENS1_25transform_config_selectorIyLb0EEEZNS1_14transform_implILb0ES3_S5_NS0_18transform_iteratorINS0_17counting_iteratorImlEEZNS1_24adjacent_difference_implIS3_Lb1ELb0EPySB_N6thrust23THRUST_200600_302600_NS5minusIyEEEE10hipError_tPvRmT2_T3_mT4_P12ihipStream_tbEUlmE_yEESB_NS0_8identityIvEEEESG_SJ_SK_mSL_SN_bEUlT_E_NS1_11comp_targetILNS1_3genE10ELNS1_11target_archE1200ELNS1_3gpuE4ELNS1_3repE0EEENS1_30default_config_static_selectorELNS0_4arch9wavefront6targetE0EEEvT1_
                                        ; -- End function
	.section	.AMDGPU.csdata,"",@progbits
; Kernel info:
; codeLenInByte = 0
; NumSgprs: 0
; NumVgprs: 0
; ScratchSize: 0
; MemoryBound: 0
; FloatMode: 240
; IeeeMode: 1
; LDSByteSize: 0 bytes/workgroup (compile time only)
; SGPRBlocks: 0
; VGPRBlocks: 0
; NumSGPRsForWavesPerEU: 1
; NumVGPRsForWavesPerEU: 1
; Occupancy: 16
; WaveLimiterHint : 0
; COMPUTE_PGM_RSRC2:SCRATCH_EN: 0
; COMPUTE_PGM_RSRC2:USER_SGPR: 15
; COMPUTE_PGM_RSRC2:TRAP_HANDLER: 0
; COMPUTE_PGM_RSRC2:TGID_X_EN: 1
; COMPUTE_PGM_RSRC2:TGID_Y_EN: 0
; COMPUTE_PGM_RSRC2:TGID_Z_EN: 0
; COMPUTE_PGM_RSRC2:TIDIG_COMP_CNT: 0
	.section	.text._ZN7rocprim17ROCPRIM_400000_NS6detail17trampoline_kernelINS0_14default_configENS1_25transform_config_selectorIyLb0EEEZNS1_14transform_implILb0ES3_S5_NS0_18transform_iteratorINS0_17counting_iteratorImlEEZNS1_24adjacent_difference_implIS3_Lb1ELb0EPySB_N6thrust23THRUST_200600_302600_NS5minusIyEEEE10hipError_tPvRmT2_T3_mT4_P12ihipStream_tbEUlmE_yEESB_NS0_8identityIvEEEESG_SJ_SK_mSL_SN_bEUlT_E_NS1_11comp_targetILNS1_3genE9ELNS1_11target_archE1100ELNS1_3gpuE3ELNS1_3repE0EEENS1_30default_config_static_selectorELNS0_4arch9wavefront6targetE0EEEvT1_,"axG",@progbits,_ZN7rocprim17ROCPRIM_400000_NS6detail17trampoline_kernelINS0_14default_configENS1_25transform_config_selectorIyLb0EEEZNS1_14transform_implILb0ES3_S5_NS0_18transform_iteratorINS0_17counting_iteratorImlEEZNS1_24adjacent_difference_implIS3_Lb1ELb0EPySB_N6thrust23THRUST_200600_302600_NS5minusIyEEEE10hipError_tPvRmT2_T3_mT4_P12ihipStream_tbEUlmE_yEESB_NS0_8identityIvEEEESG_SJ_SK_mSL_SN_bEUlT_E_NS1_11comp_targetILNS1_3genE9ELNS1_11target_archE1100ELNS1_3gpuE3ELNS1_3repE0EEENS1_30default_config_static_selectorELNS0_4arch9wavefront6targetE0EEEvT1_,comdat
	.protected	_ZN7rocprim17ROCPRIM_400000_NS6detail17trampoline_kernelINS0_14default_configENS1_25transform_config_selectorIyLb0EEEZNS1_14transform_implILb0ES3_S5_NS0_18transform_iteratorINS0_17counting_iteratorImlEEZNS1_24adjacent_difference_implIS3_Lb1ELb0EPySB_N6thrust23THRUST_200600_302600_NS5minusIyEEEE10hipError_tPvRmT2_T3_mT4_P12ihipStream_tbEUlmE_yEESB_NS0_8identityIvEEEESG_SJ_SK_mSL_SN_bEUlT_E_NS1_11comp_targetILNS1_3genE9ELNS1_11target_archE1100ELNS1_3gpuE3ELNS1_3repE0EEENS1_30default_config_static_selectorELNS0_4arch9wavefront6targetE0EEEvT1_ ; -- Begin function _ZN7rocprim17ROCPRIM_400000_NS6detail17trampoline_kernelINS0_14default_configENS1_25transform_config_selectorIyLb0EEEZNS1_14transform_implILb0ES3_S5_NS0_18transform_iteratorINS0_17counting_iteratorImlEEZNS1_24adjacent_difference_implIS3_Lb1ELb0EPySB_N6thrust23THRUST_200600_302600_NS5minusIyEEEE10hipError_tPvRmT2_T3_mT4_P12ihipStream_tbEUlmE_yEESB_NS0_8identityIvEEEESG_SJ_SK_mSL_SN_bEUlT_E_NS1_11comp_targetILNS1_3genE9ELNS1_11target_archE1100ELNS1_3gpuE3ELNS1_3repE0EEENS1_30default_config_static_selectorELNS0_4arch9wavefront6targetE0EEEvT1_
	.globl	_ZN7rocprim17ROCPRIM_400000_NS6detail17trampoline_kernelINS0_14default_configENS1_25transform_config_selectorIyLb0EEEZNS1_14transform_implILb0ES3_S5_NS0_18transform_iteratorINS0_17counting_iteratorImlEEZNS1_24adjacent_difference_implIS3_Lb1ELb0EPySB_N6thrust23THRUST_200600_302600_NS5minusIyEEEE10hipError_tPvRmT2_T3_mT4_P12ihipStream_tbEUlmE_yEESB_NS0_8identityIvEEEESG_SJ_SK_mSL_SN_bEUlT_E_NS1_11comp_targetILNS1_3genE9ELNS1_11target_archE1100ELNS1_3gpuE3ELNS1_3repE0EEENS1_30default_config_static_selectorELNS0_4arch9wavefront6targetE0EEEvT1_
	.p2align	8
	.type	_ZN7rocprim17ROCPRIM_400000_NS6detail17trampoline_kernelINS0_14default_configENS1_25transform_config_selectorIyLb0EEEZNS1_14transform_implILb0ES3_S5_NS0_18transform_iteratorINS0_17counting_iteratorImlEEZNS1_24adjacent_difference_implIS3_Lb1ELb0EPySB_N6thrust23THRUST_200600_302600_NS5minusIyEEEE10hipError_tPvRmT2_T3_mT4_P12ihipStream_tbEUlmE_yEESB_NS0_8identityIvEEEESG_SJ_SK_mSL_SN_bEUlT_E_NS1_11comp_targetILNS1_3genE9ELNS1_11target_archE1100ELNS1_3gpuE3ELNS1_3repE0EEENS1_30default_config_static_selectorELNS0_4arch9wavefront6targetE0EEEvT1_,@function
_ZN7rocprim17ROCPRIM_400000_NS6detail17trampoline_kernelINS0_14default_configENS1_25transform_config_selectorIyLb0EEEZNS1_14transform_implILb0ES3_S5_NS0_18transform_iteratorINS0_17counting_iteratorImlEEZNS1_24adjacent_difference_implIS3_Lb1ELb0EPySB_N6thrust23THRUST_200600_302600_NS5minusIyEEEE10hipError_tPvRmT2_T3_mT4_P12ihipStream_tbEUlmE_yEESB_NS0_8identityIvEEEESG_SJ_SK_mSL_SN_bEUlT_E_NS1_11comp_targetILNS1_3genE9ELNS1_11target_archE1100ELNS1_3gpuE3ELNS1_3repE0EEENS1_30default_config_static_selectorELNS0_4arch9wavefront6targetE0EEEvT1_: ; @_ZN7rocprim17ROCPRIM_400000_NS6detail17trampoline_kernelINS0_14default_configENS1_25transform_config_selectorIyLb0EEEZNS1_14transform_implILb0ES3_S5_NS0_18transform_iteratorINS0_17counting_iteratorImlEEZNS1_24adjacent_difference_implIS3_Lb1ELb0EPySB_N6thrust23THRUST_200600_302600_NS5minusIyEEEE10hipError_tPvRmT2_T3_mT4_P12ihipStream_tbEUlmE_yEESB_NS0_8identityIvEEEESG_SJ_SK_mSL_SN_bEUlT_E_NS1_11comp_targetILNS1_3genE9ELNS1_11target_archE1100ELNS1_3gpuE3ELNS1_3repE0EEENS1_30default_config_static_selectorELNS0_4arch9wavefront6targetE0EEEvT1_
; %bb.0:
	s_clause 0x4
	s_load_b128 s[4:7], s[0:1], 0x0
	s_load_b64 s[2:3], s[0:1], 0x18
	s_load_b64 s[12:13], s[0:1], 0x28
	s_load_b32 s11, s[0:1], 0x38
	s_load_b32 s8, s[0:1], 0x10
	s_waitcnt lgkmcnt(0)
	s_add_u32 s9, s2, s4
	s_addc_u32 s10, s3, s5
	s_lshl_b64 s[2:3], s[2:3], 3
	s_delay_alu instid0(SALU_CYCLE_1)
	s_add_u32 s4, s12, s2
	s_addc_u32 s5, s13, s3
	s_add_i32 s11, s11, -1
	s_lshl_b32 s2, s15, 9
	s_mov_b32 s3, 0
	s_cmp_lg_u32 s15, s11
	s_mov_b32 s11, -1
	s_cbranch_scc0 .LBB119_2
; %bb.1:
	s_add_u32 s11, s9, s2
	s_addc_u32 s12, s10, 0
	v_add_co_u32 v3, s11, s11, v0
	s_delay_alu instid0(VALU_DEP_1) | instskip(SKIP_1) | instid1(VALU_DEP_2)
	v_add_co_ci_u32_e64 v5, null, s12, 0, s11
	s_lshl_b64 s[12:13], s[2:3], 3
	v_mad_u64_u32 v[1:2], null, v3, s8, 0
	s_add_u32 s12, s4, s12
	s_addc_u32 s13, s5, s13
	s_mov_b32 s11, s3
	s_delay_alu instid0(VALU_DEP_1) | instskip(NEXT) | instid1(VALU_DEP_1)
	v_mad_u64_u32 v[3:4], null, v5, s8, v[2:3]
	v_dual_mov_b32 v2, v3 :: v_dual_lshlrev_b32 v3, 3, v0
	s_delay_alu instid0(VALU_DEP_1) | instskip(NEXT) | instid1(VALU_DEP_1)
	v_lshlrev_b64 v[1:2], 3, v[1:2]
	v_add_co_u32 v1, vcc_lo, s6, v1
	s_delay_alu instid0(VALU_DEP_2)
	v_add_co_ci_u32_e32 v2, vcc_lo, s7, v2, vcc_lo
	global_load_b64 v[1:2], v[1:2], off
	s_waitcnt vmcnt(0)
	global_store_b64 v3, v[1:2], s[12:13]
.LBB119_2:
	s_and_not1_b32 vcc_lo, exec_lo, s11
	s_cbranch_vccnz .LBB119_7
; %bb.3:
	s_load_b32 s0, s[0:1], 0x20
                                        ; implicit-def: $vgpr1_vgpr2
	s_waitcnt lgkmcnt(0)
	s_sub_i32 s0, s0, s2
	s_delay_alu instid0(SALU_CYCLE_1)
	v_cmp_gt_u32_e32 vcc_lo, s0, v0
	s_and_saveexec_b32 s1, vcc_lo
	s_cbranch_execz .LBB119_5
; %bb.4:
	s_add_u32 s0, s9, s2
	s_addc_u32 s9, s10, 0
	v_add_co_u32 v3, s0, s0, v0
	s_delay_alu instid0(VALU_DEP_1) | instskip(NEXT) | instid1(VALU_DEP_2)
	v_add_co_ci_u32_e64 v5, null, s9, 0, s0
	v_mad_u64_u32 v[1:2], null, v3, s8, 0
	s_delay_alu instid0(VALU_DEP_1) | instskip(NEXT) | instid1(VALU_DEP_1)
	v_mad_u64_u32 v[3:4], null, v5, s8, v[2:3]
	v_mov_b32_e32 v2, v3
	s_delay_alu instid0(VALU_DEP_1) | instskip(NEXT) | instid1(VALU_DEP_1)
	v_lshlrev_b64 v[1:2], 3, v[1:2]
	v_add_co_u32 v1, s0, s6, v1
	s_delay_alu instid0(VALU_DEP_1)
	v_add_co_ci_u32_e64 v2, s0, s7, v2, s0
	global_load_b64 v[1:2], v[1:2], off
.LBB119_5:
	s_or_b32 exec_lo, exec_lo, s1
	s_and_saveexec_b32 s0, vcc_lo
	s_cbranch_execz .LBB119_7
; %bb.6:
	s_lshl_b64 s[0:1], s[2:3], 3
	v_lshlrev_b32_e32 v0, 3, v0
	s_add_u32 s0, s4, s0
	s_addc_u32 s1, s5, s1
	s_waitcnt vmcnt(0)
	global_store_b64 v0, v[1:2], s[0:1]
.LBB119_7:
	s_nop 0
	s_sendmsg sendmsg(MSG_DEALLOC_VGPRS)
	s_endpgm
	.section	.rodata,"a",@progbits
	.p2align	6, 0x0
	.amdhsa_kernel _ZN7rocprim17ROCPRIM_400000_NS6detail17trampoline_kernelINS0_14default_configENS1_25transform_config_selectorIyLb0EEEZNS1_14transform_implILb0ES3_S5_NS0_18transform_iteratorINS0_17counting_iteratorImlEEZNS1_24adjacent_difference_implIS3_Lb1ELb0EPySB_N6thrust23THRUST_200600_302600_NS5minusIyEEEE10hipError_tPvRmT2_T3_mT4_P12ihipStream_tbEUlmE_yEESB_NS0_8identityIvEEEESG_SJ_SK_mSL_SN_bEUlT_E_NS1_11comp_targetILNS1_3genE9ELNS1_11target_archE1100ELNS1_3gpuE3ELNS1_3repE0EEENS1_30default_config_static_selectorELNS0_4arch9wavefront6targetE0EEEvT1_
		.amdhsa_group_segment_fixed_size 0
		.amdhsa_private_segment_fixed_size 0
		.amdhsa_kernarg_size 312
		.amdhsa_user_sgpr_count 15
		.amdhsa_user_sgpr_dispatch_ptr 0
		.amdhsa_user_sgpr_queue_ptr 0
		.amdhsa_user_sgpr_kernarg_segment_ptr 1
		.amdhsa_user_sgpr_dispatch_id 0
		.amdhsa_user_sgpr_private_segment_size 0
		.amdhsa_wavefront_size32 1
		.amdhsa_uses_dynamic_stack 0
		.amdhsa_enable_private_segment 0
		.amdhsa_system_sgpr_workgroup_id_x 1
		.amdhsa_system_sgpr_workgroup_id_y 0
		.amdhsa_system_sgpr_workgroup_id_z 0
		.amdhsa_system_sgpr_workgroup_info 0
		.amdhsa_system_vgpr_workitem_id 0
		.amdhsa_next_free_vgpr 6
		.amdhsa_next_free_sgpr 16
		.amdhsa_reserve_vcc 1
		.amdhsa_float_round_mode_32 0
		.amdhsa_float_round_mode_16_64 0
		.amdhsa_float_denorm_mode_32 3
		.amdhsa_float_denorm_mode_16_64 3
		.amdhsa_dx10_clamp 1
		.amdhsa_ieee_mode 1
		.amdhsa_fp16_overflow 0
		.amdhsa_workgroup_processor_mode 1
		.amdhsa_memory_ordered 1
		.amdhsa_forward_progress 0
		.amdhsa_shared_vgpr_count 0
		.amdhsa_exception_fp_ieee_invalid_op 0
		.amdhsa_exception_fp_denorm_src 0
		.amdhsa_exception_fp_ieee_div_zero 0
		.amdhsa_exception_fp_ieee_overflow 0
		.amdhsa_exception_fp_ieee_underflow 0
		.amdhsa_exception_fp_ieee_inexact 0
		.amdhsa_exception_int_div_zero 0
	.end_amdhsa_kernel
	.section	.text._ZN7rocprim17ROCPRIM_400000_NS6detail17trampoline_kernelINS0_14default_configENS1_25transform_config_selectorIyLb0EEEZNS1_14transform_implILb0ES3_S5_NS0_18transform_iteratorINS0_17counting_iteratorImlEEZNS1_24adjacent_difference_implIS3_Lb1ELb0EPySB_N6thrust23THRUST_200600_302600_NS5minusIyEEEE10hipError_tPvRmT2_T3_mT4_P12ihipStream_tbEUlmE_yEESB_NS0_8identityIvEEEESG_SJ_SK_mSL_SN_bEUlT_E_NS1_11comp_targetILNS1_3genE9ELNS1_11target_archE1100ELNS1_3gpuE3ELNS1_3repE0EEENS1_30default_config_static_selectorELNS0_4arch9wavefront6targetE0EEEvT1_,"axG",@progbits,_ZN7rocprim17ROCPRIM_400000_NS6detail17trampoline_kernelINS0_14default_configENS1_25transform_config_selectorIyLb0EEEZNS1_14transform_implILb0ES3_S5_NS0_18transform_iteratorINS0_17counting_iteratorImlEEZNS1_24adjacent_difference_implIS3_Lb1ELb0EPySB_N6thrust23THRUST_200600_302600_NS5minusIyEEEE10hipError_tPvRmT2_T3_mT4_P12ihipStream_tbEUlmE_yEESB_NS0_8identityIvEEEESG_SJ_SK_mSL_SN_bEUlT_E_NS1_11comp_targetILNS1_3genE9ELNS1_11target_archE1100ELNS1_3gpuE3ELNS1_3repE0EEENS1_30default_config_static_selectorELNS0_4arch9wavefront6targetE0EEEvT1_,comdat
.Lfunc_end119:
	.size	_ZN7rocprim17ROCPRIM_400000_NS6detail17trampoline_kernelINS0_14default_configENS1_25transform_config_selectorIyLb0EEEZNS1_14transform_implILb0ES3_S5_NS0_18transform_iteratorINS0_17counting_iteratorImlEEZNS1_24adjacent_difference_implIS3_Lb1ELb0EPySB_N6thrust23THRUST_200600_302600_NS5minusIyEEEE10hipError_tPvRmT2_T3_mT4_P12ihipStream_tbEUlmE_yEESB_NS0_8identityIvEEEESG_SJ_SK_mSL_SN_bEUlT_E_NS1_11comp_targetILNS1_3genE9ELNS1_11target_archE1100ELNS1_3gpuE3ELNS1_3repE0EEENS1_30default_config_static_selectorELNS0_4arch9wavefront6targetE0EEEvT1_, .Lfunc_end119-_ZN7rocprim17ROCPRIM_400000_NS6detail17trampoline_kernelINS0_14default_configENS1_25transform_config_selectorIyLb0EEEZNS1_14transform_implILb0ES3_S5_NS0_18transform_iteratorINS0_17counting_iteratorImlEEZNS1_24adjacent_difference_implIS3_Lb1ELb0EPySB_N6thrust23THRUST_200600_302600_NS5minusIyEEEE10hipError_tPvRmT2_T3_mT4_P12ihipStream_tbEUlmE_yEESB_NS0_8identityIvEEEESG_SJ_SK_mSL_SN_bEUlT_E_NS1_11comp_targetILNS1_3genE9ELNS1_11target_archE1100ELNS1_3gpuE3ELNS1_3repE0EEENS1_30default_config_static_selectorELNS0_4arch9wavefront6targetE0EEEvT1_
                                        ; -- End function
	.section	.AMDGPU.csdata,"",@progbits
; Kernel info:
; codeLenInByte = 400
; NumSgprs: 18
; NumVgprs: 6
; ScratchSize: 0
; MemoryBound: 0
; FloatMode: 240
; IeeeMode: 1
; LDSByteSize: 0 bytes/workgroup (compile time only)
; SGPRBlocks: 2
; VGPRBlocks: 0
; NumSGPRsForWavesPerEU: 18
; NumVGPRsForWavesPerEU: 6
; Occupancy: 16
; WaveLimiterHint : 0
; COMPUTE_PGM_RSRC2:SCRATCH_EN: 0
; COMPUTE_PGM_RSRC2:USER_SGPR: 15
; COMPUTE_PGM_RSRC2:TRAP_HANDLER: 0
; COMPUTE_PGM_RSRC2:TGID_X_EN: 1
; COMPUTE_PGM_RSRC2:TGID_Y_EN: 0
; COMPUTE_PGM_RSRC2:TGID_Z_EN: 0
; COMPUTE_PGM_RSRC2:TIDIG_COMP_CNT: 0
	.section	.text._ZN7rocprim17ROCPRIM_400000_NS6detail17trampoline_kernelINS0_14default_configENS1_25transform_config_selectorIyLb0EEEZNS1_14transform_implILb0ES3_S5_NS0_18transform_iteratorINS0_17counting_iteratorImlEEZNS1_24adjacent_difference_implIS3_Lb1ELb0EPySB_N6thrust23THRUST_200600_302600_NS5minusIyEEEE10hipError_tPvRmT2_T3_mT4_P12ihipStream_tbEUlmE_yEESB_NS0_8identityIvEEEESG_SJ_SK_mSL_SN_bEUlT_E_NS1_11comp_targetILNS1_3genE8ELNS1_11target_archE1030ELNS1_3gpuE2ELNS1_3repE0EEENS1_30default_config_static_selectorELNS0_4arch9wavefront6targetE0EEEvT1_,"axG",@progbits,_ZN7rocprim17ROCPRIM_400000_NS6detail17trampoline_kernelINS0_14default_configENS1_25transform_config_selectorIyLb0EEEZNS1_14transform_implILb0ES3_S5_NS0_18transform_iteratorINS0_17counting_iteratorImlEEZNS1_24adjacent_difference_implIS3_Lb1ELb0EPySB_N6thrust23THRUST_200600_302600_NS5minusIyEEEE10hipError_tPvRmT2_T3_mT4_P12ihipStream_tbEUlmE_yEESB_NS0_8identityIvEEEESG_SJ_SK_mSL_SN_bEUlT_E_NS1_11comp_targetILNS1_3genE8ELNS1_11target_archE1030ELNS1_3gpuE2ELNS1_3repE0EEENS1_30default_config_static_selectorELNS0_4arch9wavefront6targetE0EEEvT1_,comdat
	.protected	_ZN7rocprim17ROCPRIM_400000_NS6detail17trampoline_kernelINS0_14default_configENS1_25transform_config_selectorIyLb0EEEZNS1_14transform_implILb0ES3_S5_NS0_18transform_iteratorINS0_17counting_iteratorImlEEZNS1_24adjacent_difference_implIS3_Lb1ELb0EPySB_N6thrust23THRUST_200600_302600_NS5minusIyEEEE10hipError_tPvRmT2_T3_mT4_P12ihipStream_tbEUlmE_yEESB_NS0_8identityIvEEEESG_SJ_SK_mSL_SN_bEUlT_E_NS1_11comp_targetILNS1_3genE8ELNS1_11target_archE1030ELNS1_3gpuE2ELNS1_3repE0EEENS1_30default_config_static_selectorELNS0_4arch9wavefront6targetE0EEEvT1_ ; -- Begin function _ZN7rocprim17ROCPRIM_400000_NS6detail17trampoline_kernelINS0_14default_configENS1_25transform_config_selectorIyLb0EEEZNS1_14transform_implILb0ES3_S5_NS0_18transform_iteratorINS0_17counting_iteratorImlEEZNS1_24adjacent_difference_implIS3_Lb1ELb0EPySB_N6thrust23THRUST_200600_302600_NS5minusIyEEEE10hipError_tPvRmT2_T3_mT4_P12ihipStream_tbEUlmE_yEESB_NS0_8identityIvEEEESG_SJ_SK_mSL_SN_bEUlT_E_NS1_11comp_targetILNS1_3genE8ELNS1_11target_archE1030ELNS1_3gpuE2ELNS1_3repE0EEENS1_30default_config_static_selectorELNS0_4arch9wavefront6targetE0EEEvT1_
	.globl	_ZN7rocprim17ROCPRIM_400000_NS6detail17trampoline_kernelINS0_14default_configENS1_25transform_config_selectorIyLb0EEEZNS1_14transform_implILb0ES3_S5_NS0_18transform_iteratorINS0_17counting_iteratorImlEEZNS1_24adjacent_difference_implIS3_Lb1ELb0EPySB_N6thrust23THRUST_200600_302600_NS5minusIyEEEE10hipError_tPvRmT2_T3_mT4_P12ihipStream_tbEUlmE_yEESB_NS0_8identityIvEEEESG_SJ_SK_mSL_SN_bEUlT_E_NS1_11comp_targetILNS1_3genE8ELNS1_11target_archE1030ELNS1_3gpuE2ELNS1_3repE0EEENS1_30default_config_static_selectorELNS0_4arch9wavefront6targetE0EEEvT1_
	.p2align	8
	.type	_ZN7rocprim17ROCPRIM_400000_NS6detail17trampoline_kernelINS0_14default_configENS1_25transform_config_selectorIyLb0EEEZNS1_14transform_implILb0ES3_S5_NS0_18transform_iteratorINS0_17counting_iteratorImlEEZNS1_24adjacent_difference_implIS3_Lb1ELb0EPySB_N6thrust23THRUST_200600_302600_NS5minusIyEEEE10hipError_tPvRmT2_T3_mT4_P12ihipStream_tbEUlmE_yEESB_NS0_8identityIvEEEESG_SJ_SK_mSL_SN_bEUlT_E_NS1_11comp_targetILNS1_3genE8ELNS1_11target_archE1030ELNS1_3gpuE2ELNS1_3repE0EEENS1_30default_config_static_selectorELNS0_4arch9wavefront6targetE0EEEvT1_,@function
_ZN7rocprim17ROCPRIM_400000_NS6detail17trampoline_kernelINS0_14default_configENS1_25transform_config_selectorIyLb0EEEZNS1_14transform_implILb0ES3_S5_NS0_18transform_iteratorINS0_17counting_iteratorImlEEZNS1_24adjacent_difference_implIS3_Lb1ELb0EPySB_N6thrust23THRUST_200600_302600_NS5minusIyEEEE10hipError_tPvRmT2_T3_mT4_P12ihipStream_tbEUlmE_yEESB_NS0_8identityIvEEEESG_SJ_SK_mSL_SN_bEUlT_E_NS1_11comp_targetILNS1_3genE8ELNS1_11target_archE1030ELNS1_3gpuE2ELNS1_3repE0EEENS1_30default_config_static_selectorELNS0_4arch9wavefront6targetE0EEEvT1_: ; @_ZN7rocprim17ROCPRIM_400000_NS6detail17trampoline_kernelINS0_14default_configENS1_25transform_config_selectorIyLb0EEEZNS1_14transform_implILb0ES3_S5_NS0_18transform_iteratorINS0_17counting_iteratorImlEEZNS1_24adjacent_difference_implIS3_Lb1ELb0EPySB_N6thrust23THRUST_200600_302600_NS5minusIyEEEE10hipError_tPvRmT2_T3_mT4_P12ihipStream_tbEUlmE_yEESB_NS0_8identityIvEEEESG_SJ_SK_mSL_SN_bEUlT_E_NS1_11comp_targetILNS1_3genE8ELNS1_11target_archE1030ELNS1_3gpuE2ELNS1_3repE0EEENS1_30default_config_static_selectorELNS0_4arch9wavefront6targetE0EEEvT1_
; %bb.0:
	.section	.rodata,"a",@progbits
	.p2align	6, 0x0
	.amdhsa_kernel _ZN7rocprim17ROCPRIM_400000_NS6detail17trampoline_kernelINS0_14default_configENS1_25transform_config_selectorIyLb0EEEZNS1_14transform_implILb0ES3_S5_NS0_18transform_iteratorINS0_17counting_iteratorImlEEZNS1_24adjacent_difference_implIS3_Lb1ELb0EPySB_N6thrust23THRUST_200600_302600_NS5minusIyEEEE10hipError_tPvRmT2_T3_mT4_P12ihipStream_tbEUlmE_yEESB_NS0_8identityIvEEEESG_SJ_SK_mSL_SN_bEUlT_E_NS1_11comp_targetILNS1_3genE8ELNS1_11target_archE1030ELNS1_3gpuE2ELNS1_3repE0EEENS1_30default_config_static_selectorELNS0_4arch9wavefront6targetE0EEEvT1_
		.amdhsa_group_segment_fixed_size 0
		.amdhsa_private_segment_fixed_size 0
		.amdhsa_kernarg_size 56
		.amdhsa_user_sgpr_count 15
		.amdhsa_user_sgpr_dispatch_ptr 0
		.amdhsa_user_sgpr_queue_ptr 0
		.amdhsa_user_sgpr_kernarg_segment_ptr 1
		.amdhsa_user_sgpr_dispatch_id 0
		.amdhsa_user_sgpr_private_segment_size 0
		.amdhsa_wavefront_size32 1
		.amdhsa_uses_dynamic_stack 0
		.amdhsa_enable_private_segment 0
		.amdhsa_system_sgpr_workgroup_id_x 1
		.amdhsa_system_sgpr_workgroup_id_y 0
		.amdhsa_system_sgpr_workgroup_id_z 0
		.amdhsa_system_sgpr_workgroup_info 0
		.amdhsa_system_vgpr_workitem_id 0
		.amdhsa_next_free_vgpr 1
		.amdhsa_next_free_sgpr 1
		.amdhsa_reserve_vcc 0
		.amdhsa_float_round_mode_32 0
		.amdhsa_float_round_mode_16_64 0
		.amdhsa_float_denorm_mode_32 3
		.amdhsa_float_denorm_mode_16_64 3
		.amdhsa_dx10_clamp 1
		.amdhsa_ieee_mode 1
		.amdhsa_fp16_overflow 0
		.amdhsa_workgroup_processor_mode 1
		.amdhsa_memory_ordered 1
		.amdhsa_forward_progress 0
		.amdhsa_shared_vgpr_count 0
		.amdhsa_exception_fp_ieee_invalid_op 0
		.amdhsa_exception_fp_denorm_src 0
		.amdhsa_exception_fp_ieee_div_zero 0
		.amdhsa_exception_fp_ieee_overflow 0
		.amdhsa_exception_fp_ieee_underflow 0
		.amdhsa_exception_fp_ieee_inexact 0
		.amdhsa_exception_int_div_zero 0
	.end_amdhsa_kernel
	.section	.text._ZN7rocprim17ROCPRIM_400000_NS6detail17trampoline_kernelINS0_14default_configENS1_25transform_config_selectorIyLb0EEEZNS1_14transform_implILb0ES3_S5_NS0_18transform_iteratorINS0_17counting_iteratorImlEEZNS1_24adjacent_difference_implIS3_Lb1ELb0EPySB_N6thrust23THRUST_200600_302600_NS5minusIyEEEE10hipError_tPvRmT2_T3_mT4_P12ihipStream_tbEUlmE_yEESB_NS0_8identityIvEEEESG_SJ_SK_mSL_SN_bEUlT_E_NS1_11comp_targetILNS1_3genE8ELNS1_11target_archE1030ELNS1_3gpuE2ELNS1_3repE0EEENS1_30default_config_static_selectorELNS0_4arch9wavefront6targetE0EEEvT1_,"axG",@progbits,_ZN7rocprim17ROCPRIM_400000_NS6detail17trampoline_kernelINS0_14default_configENS1_25transform_config_selectorIyLb0EEEZNS1_14transform_implILb0ES3_S5_NS0_18transform_iteratorINS0_17counting_iteratorImlEEZNS1_24adjacent_difference_implIS3_Lb1ELb0EPySB_N6thrust23THRUST_200600_302600_NS5minusIyEEEE10hipError_tPvRmT2_T3_mT4_P12ihipStream_tbEUlmE_yEESB_NS0_8identityIvEEEESG_SJ_SK_mSL_SN_bEUlT_E_NS1_11comp_targetILNS1_3genE8ELNS1_11target_archE1030ELNS1_3gpuE2ELNS1_3repE0EEENS1_30default_config_static_selectorELNS0_4arch9wavefront6targetE0EEEvT1_,comdat
.Lfunc_end120:
	.size	_ZN7rocprim17ROCPRIM_400000_NS6detail17trampoline_kernelINS0_14default_configENS1_25transform_config_selectorIyLb0EEEZNS1_14transform_implILb0ES3_S5_NS0_18transform_iteratorINS0_17counting_iteratorImlEEZNS1_24adjacent_difference_implIS3_Lb1ELb0EPySB_N6thrust23THRUST_200600_302600_NS5minusIyEEEE10hipError_tPvRmT2_T3_mT4_P12ihipStream_tbEUlmE_yEESB_NS0_8identityIvEEEESG_SJ_SK_mSL_SN_bEUlT_E_NS1_11comp_targetILNS1_3genE8ELNS1_11target_archE1030ELNS1_3gpuE2ELNS1_3repE0EEENS1_30default_config_static_selectorELNS0_4arch9wavefront6targetE0EEEvT1_, .Lfunc_end120-_ZN7rocprim17ROCPRIM_400000_NS6detail17trampoline_kernelINS0_14default_configENS1_25transform_config_selectorIyLb0EEEZNS1_14transform_implILb0ES3_S5_NS0_18transform_iteratorINS0_17counting_iteratorImlEEZNS1_24adjacent_difference_implIS3_Lb1ELb0EPySB_N6thrust23THRUST_200600_302600_NS5minusIyEEEE10hipError_tPvRmT2_T3_mT4_P12ihipStream_tbEUlmE_yEESB_NS0_8identityIvEEEESG_SJ_SK_mSL_SN_bEUlT_E_NS1_11comp_targetILNS1_3genE8ELNS1_11target_archE1030ELNS1_3gpuE2ELNS1_3repE0EEENS1_30default_config_static_selectorELNS0_4arch9wavefront6targetE0EEEvT1_
                                        ; -- End function
	.section	.AMDGPU.csdata,"",@progbits
; Kernel info:
; codeLenInByte = 0
; NumSgprs: 0
; NumVgprs: 0
; ScratchSize: 0
; MemoryBound: 0
; FloatMode: 240
; IeeeMode: 1
; LDSByteSize: 0 bytes/workgroup (compile time only)
; SGPRBlocks: 0
; VGPRBlocks: 0
; NumSGPRsForWavesPerEU: 1
; NumVGPRsForWavesPerEU: 1
; Occupancy: 16
; WaveLimiterHint : 0
; COMPUTE_PGM_RSRC2:SCRATCH_EN: 0
; COMPUTE_PGM_RSRC2:USER_SGPR: 15
; COMPUTE_PGM_RSRC2:TRAP_HANDLER: 0
; COMPUTE_PGM_RSRC2:TGID_X_EN: 1
; COMPUTE_PGM_RSRC2:TGID_Y_EN: 0
; COMPUTE_PGM_RSRC2:TGID_Z_EN: 0
; COMPUTE_PGM_RSRC2:TIDIG_COMP_CNT: 0
	.section	.text._ZN7rocprim17ROCPRIM_400000_NS6detail17trampoline_kernelINS0_14default_configENS1_35adjacent_difference_config_selectorILb1EyEEZNS1_24adjacent_difference_implIS3_Lb1ELb0EPyS7_N6thrust23THRUST_200600_302600_NS5minusIyEEEE10hipError_tPvRmT2_T3_mT4_P12ihipStream_tbEUlT_E_NS1_11comp_targetILNS1_3genE0ELNS1_11target_archE4294967295ELNS1_3gpuE0ELNS1_3repE0EEENS1_30default_config_static_selectorELNS0_4arch9wavefront6targetE0EEEvT1_,"axG",@progbits,_ZN7rocprim17ROCPRIM_400000_NS6detail17trampoline_kernelINS0_14default_configENS1_35adjacent_difference_config_selectorILb1EyEEZNS1_24adjacent_difference_implIS3_Lb1ELb0EPyS7_N6thrust23THRUST_200600_302600_NS5minusIyEEEE10hipError_tPvRmT2_T3_mT4_P12ihipStream_tbEUlT_E_NS1_11comp_targetILNS1_3genE0ELNS1_11target_archE4294967295ELNS1_3gpuE0ELNS1_3repE0EEENS1_30default_config_static_selectorELNS0_4arch9wavefront6targetE0EEEvT1_,comdat
	.protected	_ZN7rocprim17ROCPRIM_400000_NS6detail17trampoline_kernelINS0_14default_configENS1_35adjacent_difference_config_selectorILb1EyEEZNS1_24adjacent_difference_implIS3_Lb1ELb0EPyS7_N6thrust23THRUST_200600_302600_NS5minusIyEEEE10hipError_tPvRmT2_T3_mT4_P12ihipStream_tbEUlT_E_NS1_11comp_targetILNS1_3genE0ELNS1_11target_archE4294967295ELNS1_3gpuE0ELNS1_3repE0EEENS1_30default_config_static_selectorELNS0_4arch9wavefront6targetE0EEEvT1_ ; -- Begin function _ZN7rocprim17ROCPRIM_400000_NS6detail17trampoline_kernelINS0_14default_configENS1_35adjacent_difference_config_selectorILb1EyEEZNS1_24adjacent_difference_implIS3_Lb1ELb0EPyS7_N6thrust23THRUST_200600_302600_NS5minusIyEEEE10hipError_tPvRmT2_T3_mT4_P12ihipStream_tbEUlT_E_NS1_11comp_targetILNS1_3genE0ELNS1_11target_archE4294967295ELNS1_3gpuE0ELNS1_3repE0EEENS1_30default_config_static_selectorELNS0_4arch9wavefront6targetE0EEEvT1_
	.globl	_ZN7rocprim17ROCPRIM_400000_NS6detail17trampoline_kernelINS0_14default_configENS1_35adjacent_difference_config_selectorILb1EyEEZNS1_24adjacent_difference_implIS3_Lb1ELb0EPyS7_N6thrust23THRUST_200600_302600_NS5minusIyEEEE10hipError_tPvRmT2_T3_mT4_P12ihipStream_tbEUlT_E_NS1_11comp_targetILNS1_3genE0ELNS1_11target_archE4294967295ELNS1_3gpuE0ELNS1_3repE0EEENS1_30default_config_static_selectorELNS0_4arch9wavefront6targetE0EEEvT1_
	.p2align	8
	.type	_ZN7rocprim17ROCPRIM_400000_NS6detail17trampoline_kernelINS0_14default_configENS1_35adjacent_difference_config_selectorILb1EyEEZNS1_24adjacent_difference_implIS3_Lb1ELb0EPyS7_N6thrust23THRUST_200600_302600_NS5minusIyEEEE10hipError_tPvRmT2_T3_mT4_P12ihipStream_tbEUlT_E_NS1_11comp_targetILNS1_3genE0ELNS1_11target_archE4294967295ELNS1_3gpuE0ELNS1_3repE0EEENS1_30default_config_static_selectorELNS0_4arch9wavefront6targetE0EEEvT1_,@function
_ZN7rocprim17ROCPRIM_400000_NS6detail17trampoline_kernelINS0_14default_configENS1_35adjacent_difference_config_selectorILb1EyEEZNS1_24adjacent_difference_implIS3_Lb1ELb0EPyS7_N6thrust23THRUST_200600_302600_NS5minusIyEEEE10hipError_tPvRmT2_T3_mT4_P12ihipStream_tbEUlT_E_NS1_11comp_targetILNS1_3genE0ELNS1_11target_archE4294967295ELNS1_3gpuE0ELNS1_3repE0EEENS1_30default_config_static_selectorELNS0_4arch9wavefront6targetE0EEEvT1_: ; @_ZN7rocprim17ROCPRIM_400000_NS6detail17trampoline_kernelINS0_14default_configENS1_35adjacent_difference_config_selectorILb1EyEEZNS1_24adjacent_difference_implIS3_Lb1ELb0EPyS7_N6thrust23THRUST_200600_302600_NS5minusIyEEEE10hipError_tPvRmT2_T3_mT4_P12ihipStream_tbEUlT_E_NS1_11comp_targetILNS1_3genE0ELNS1_11target_archE4294967295ELNS1_3gpuE0ELNS1_3repE0EEENS1_30default_config_static_selectorELNS0_4arch9wavefront6targetE0EEEvT1_
; %bb.0:
	.section	.rodata,"a",@progbits
	.p2align	6, 0x0
	.amdhsa_kernel _ZN7rocprim17ROCPRIM_400000_NS6detail17trampoline_kernelINS0_14default_configENS1_35adjacent_difference_config_selectorILb1EyEEZNS1_24adjacent_difference_implIS3_Lb1ELb0EPyS7_N6thrust23THRUST_200600_302600_NS5minusIyEEEE10hipError_tPvRmT2_T3_mT4_P12ihipStream_tbEUlT_E_NS1_11comp_targetILNS1_3genE0ELNS1_11target_archE4294967295ELNS1_3gpuE0ELNS1_3repE0EEENS1_30default_config_static_selectorELNS0_4arch9wavefront6targetE0EEEvT1_
		.amdhsa_group_segment_fixed_size 0
		.amdhsa_private_segment_fixed_size 0
		.amdhsa_kernarg_size 56
		.amdhsa_user_sgpr_count 15
		.amdhsa_user_sgpr_dispatch_ptr 0
		.amdhsa_user_sgpr_queue_ptr 0
		.amdhsa_user_sgpr_kernarg_segment_ptr 1
		.amdhsa_user_sgpr_dispatch_id 0
		.amdhsa_user_sgpr_private_segment_size 0
		.amdhsa_wavefront_size32 1
		.amdhsa_uses_dynamic_stack 0
		.amdhsa_enable_private_segment 0
		.amdhsa_system_sgpr_workgroup_id_x 1
		.amdhsa_system_sgpr_workgroup_id_y 0
		.amdhsa_system_sgpr_workgroup_id_z 0
		.amdhsa_system_sgpr_workgroup_info 0
		.amdhsa_system_vgpr_workitem_id 0
		.amdhsa_next_free_vgpr 1
		.amdhsa_next_free_sgpr 1
		.amdhsa_reserve_vcc 0
		.amdhsa_float_round_mode_32 0
		.amdhsa_float_round_mode_16_64 0
		.amdhsa_float_denorm_mode_32 3
		.amdhsa_float_denorm_mode_16_64 3
		.amdhsa_dx10_clamp 1
		.amdhsa_ieee_mode 1
		.amdhsa_fp16_overflow 0
		.amdhsa_workgroup_processor_mode 1
		.amdhsa_memory_ordered 1
		.amdhsa_forward_progress 0
		.amdhsa_shared_vgpr_count 0
		.amdhsa_exception_fp_ieee_invalid_op 0
		.amdhsa_exception_fp_denorm_src 0
		.amdhsa_exception_fp_ieee_div_zero 0
		.amdhsa_exception_fp_ieee_overflow 0
		.amdhsa_exception_fp_ieee_underflow 0
		.amdhsa_exception_fp_ieee_inexact 0
		.amdhsa_exception_int_div_zero 0
	.end_amdhsa_kernel
	.section	.text._ZN7rocprim17ROCPRIM_400000_NS6detail17trampoline_kernelINS0_14default_configENS1_35adjacent_difference_config_selectorILb1EyEEZNS1_24adjacent_difference_implIS3_Lb1ELb0EPyS7_N6thrust23THRUST_200600_302600_NS5minusIyEEEE10hipError_tPvRmT2_T3_mT4_P12ihipStream_tbEUlT_E_NS1_11comp_targetILNS1_3genE0ELNS1_11target_archE4294967295ELNS1_3gpuE0ELNS1_3repE0EEENS1_30default_config_static_selectorELNS0_4arch9wavefront6targetE0EEEvT1_,"axG",@progbits,_ZN7rocprim17ROCPRIM_400000_NS6detail17trampoline_kernelINS0_14default_configENS1_35adjacent_difference_config_selectorILb1EyEEZNS1_24adjacent_difference_implIS3_Lb1ELb0EPyS7_N6thrust23THRUST_200600_302600_NS5minusIyEEEE10hipError_tPvRmT2_T3_mT4_P12ihipStream_tbEUlT_E_NS1_11comp_targetILNS1_3genE0ELNS1_11target_archE4294967295ELNS1_3gpuE0ELNS1_3repE0EEENS1_30default_config_static_selectorELNS0_4arch9wavefront6targetE0EEEvT1_,comdat
.Lfunc_end121:
	.size	_ZN7rocprim17ROCPRIM_400000_NS6detail17trampoline_kernelINS0_14default_configENS1_35adjacent_difference_config_selectorILb1EyEEZNS1_24adjacent_difference_implIS3_Lb1ELb0EPyS7_N6thrust23THRUST_200600_302600_NS5minusIyEEEE10hipError_tPvRmT2_T3_mT4_P12ihipStream_tbEUlT_E_NS1_11comp_targetILNS1_3genE0ELNS1_11target_archE4294967295ELNS1_3gpuE0ELNS1_3repE0EEENS1_30default_config_static_selectorELNS0_4arch9wavefront6targetE0EEEvT1_, .Lfunc_end121-_ZN7rocprim17ROCPRIM_400000_NS6detail17trampoline_kernelINS0_14default_configENS1_35adjacent_difference_config_selectorILb1EyEEZNS1_24adjacent_difference_implIS3_Lb1ELb0EPyS7_N6thrust23THRUST_200600_302600_NS5minusIyEEEE10hipError_tPvRmT2_T3_mT4_P12ihipStream_tbEUlT_E_NS1_11comp_targetILNS1_3genE0ELNS1_11target_archE4294967295ELNS1_3gpuE0ELNS1_3repE0EEENS1_30default_config_static_selectorELNS0_4arch9wavefront6targetE0EEEvT1_
                                        ; -- End function
	.section	.AMDGPU.csdata,"",@progbits
; Kernel info:
; codeLenInByte = 0
; NumSgprs: 0
; NumVgprs: 0
; ScratchSize: 0
; MemoryBound: 0
; FloatMode: 240
; IeeeMode: 1
; LDSByteSize: 0 bytes/workgroup (compile time only)
; SGPRBlocks: 0
; VGPRBlocks: 0
; NumSGPRsForWavesPerEU: 1
; NumVGPRsForWavesPerEU: 1
; Occupancy: 16
; WaveLimiterHint : 0
; COMPUTE_PGM_RSRC2:SCRATCH_EN: 0
; COMPUTE_PGM_RSRC2:USER_SGPR: 15
; COMPUTE_PGM_RSRC2:TRAP_HANDLER: 0
; COMPUTE_PGM_RSRC2:TGID_X_EN: 1
; COMPUTE_PGM_RSRC2:TGID_Y_EN: 0
; COMPUTE_PGM_RSRC2:TGID_Z_EN: 0
; COMPUTE_PGM_RSRC2:TIDIG_COMP_CNT: 0
	.section	.text._ZN7rocprim17ROCPRIM_400000_NS6detail17trampoline_kernelINS0_14default_configENS1_35adjacent_difference_config_selectorILb1EyEEZNS1_24adjacent_difference_implIS3_Lb1ELb0EPyS7_N6thrust23THRUST_200600_302600_NS5minusIyEEEE10hipError_tPvRmT2_T3_mT4_P12ihipStream_tbEUlT_E_NS1_11comp_targetILNS1_3genE10ELNS1_11target_archE1201ELNS1_3gpuE5ELNS1_3repE0EEENS1_30default_config_static_selectorELNS0_4arch9wavefront6targetE0EEEvT1_,"axG",@progbits,_ZN7rocprim17ROCPRIM_400000_NS6detail17trampoline_kernelINS0_14default_configENS1_35adjacent_difference_config_selectorILb1EyEEZNS1_24adjacent_difference_implIS3_Lb1ELb0EPyS7_N6thrust23THRUST_200600_302600_NS5minusIyEEEE10hipError_tPvRmT2_T3_mT4_P12ihipStream_tbEUlT_E_NS1_11comp_targetILNS1_3genE10ELNS1_11target_archE1201ELNS1_3gpuE5ELNS1_3repE0EEENS1_30default_config_static_selectorELNS0_4arch9wavefront6targetE0EEEvT1_,comdat
	.protected	_ZN7rocprim17ROCPRIM_400000_NS6detail17trampoline_kernelINS0_14default_configENS1_35adjacent_difference_config_selectorILb1EyEEZNS1_24adjacent_difference_implIS3_Lb1ELb0EPyS7_N6thrust23THRUST_200600_302600_NS5minusIyEEEE10hipError_tPvRmT2_T3_mT4_P12ihipStream_tbEUlT_E_NS1_11comp_targetILNS1_3genE10ELNS1_11target_archE1201ELNS1_3gpuE5ELNS1_3repE0EEENS1_30default_config_static_selectorELNS0_4arch9wavefront6targetE0EEEvT1_ ; -- Begin function _ZN7rocprim17ROCPRIM_400000_NS6detail17trampoline_kernelINS0_14default_configENS1_35adjacent_difference_config_selectorILb1EyEEZNS1_24adjacent_difference_implIS3_Lb1ELb0EPyS7_N6thrust23THRUST_200600_302600_NS5minusIyEEEE10hipError_tPvRmT2_T3_mT4_P12ihipStream_tbEUlT_E_NS1_11comp_targetILNS1_3genE10ELNS1_11target_archE1201ELNS1_3gpuE5ELNS1_3repE0EEENS1_30default_config_static_selectorELNS0_4arch9wavefront6targetE0EEEvT1_
	.globl	_ZN7rocprim17ROCPRIM_400000_NS6detail17trampoline_kernelINS0_14default_configENS1_35adjacent_difference_config_selectorILb1EyEEZNS1_24adjacent_difference_implIS3_Lb1ELb0EPyS7_N6thrust23THRUST_200600_302600_NS5minusIyEEEE10hipError_tPvRmT2_T3_mT4_P12ihipStream_tbEUlT_E_NS1_11comp_targetILNS1_3genE10ELNS1_11target_archE1201ELNS1_3gpuE5ELNS1_3repE0EEENS1_30default_config_static_selectorELNS0_4arch9wavefront6targetE0EEEvT1_
	.p2align	8
	.type	_ZN7rocprim17ROCPRIM_400000_NS6detail17trampoline_kernelINS0_14default_configENS1_35adjacent_difference_config_selectorILb1EyEEZNS1_24adjacent_difference_implIS3_Lb1ELb0EPyS7_N6thrust23THRUST_200600_302600_NS5minusIyEEEE10hipError_tPvRmT2_T3_mT4_P12ihipStream_tbEUlT_E_NS1_11comp_targetILNS1_3genE10ELNS1_11target_archE1201ELNS1_3gpuE5ELNS1_3repE0EEENS1_30default_config_static_selectorELNS0_4arch9wavefront6targetE0EEEvT1_,@function
_ZN7rocprim17ROCPRIM_400000_NS6detail17trampoline_kernelINS0_14default_configENS1_35adjacent_difference_config_selectorILb1EyEEZNS1_24adjacent_difference_implIS3_Lb1ELb0EPyS7_N6thrust23THRUST_200600_302600_NS5minusIyEEEE10hipError_tPvRmT2_T3_mT4_P12ihipStream_tbEUlT_E_NS1_11comp_targetILNS1_3genE10ELNS1_11target_archE1201ELNS1_3gpuE5ELNS1_3repE0EEENS1_30default_config_static_selectorELNS0_4arch9wavefront6targetE0EEEvT1_: ; @_ZN7rocprim17ROCPRIM_400000_NS6detail17trampoline_kernelINS0_14default_configENS1_35adjacent_difference_config_selectorILb1EyEEZNS1_24adjacent_difference_implIS3_Lb1ELb0EPyS7_N6thrust23THRUST_200600_302600_NS5minusIyEEEE10hipError_tPvRmT2_T3_mT4_P12ihipStream_tbEUlT_E_NS1_11comp_targetILNS1_3genE10ELNS1_11target_archE1201ELNS1_3gpuE5ELNS1_3repE0EEENS1_30default_config_static_selectorELNS0_4arch9wavefront6targetE0EEEvT1_
; %bb.0:
	.section	.rodata,"a",@progbits
	.p2align	6, 0x0
	.amdhsa_kernel _ZN7rocprim17ROCPRIM_400000_NS6detail17trampoline_kernelINS0_14default_configENS1_35adjacent_difference_config_selectorILb1EyEEZNS1_24adjacent_difference_implIS3_Lb1ELb0EPyS7_N6thrust23THRUST_200600_302600_NS5minusIyEEEE10hipError_tPvRmT2_T3_mT4_P12ihipStream_tbEUlT_E_NS1_11comp_targetILNS1_3genE10ELNS1_11target_archE1201ELNS1_3gpuE5ELNS1_3repE0EEENS1_30default_config_static_selectorELNS0_4arch9wavefront6targetE0EEEvT1_
		.amdhsa_group_segment_fixed_size 0
		.amdhsa_private_segment_fixed_size 0
		.amdhsa_kernarg_size 56
		.amdhsa_user_sgpr_count 15
		.amdhsa_user_sgpr_dispatch_ptr 0
		.amdhsa_user_sgpr_queue_ptr 0
		.amdhsa_user_sgpr_kernarg_segment_ptr 1
		.amdhsa_user_sgpr_dispatch_id 0
		.amdhsa_user_sgpr_private_segment_size 0
		.amdhsa_wavefront_size32 1
		.amdhsa_uses_dynamic_stack 0
		.amdhsa_enable_private_segment 0
		.amdhsa_system_sgpr_workgroup_id_x 1
		.amdhsa_system_sgpr_workgroup_id_y 0
		.amdhsa_system_sgpr_workgroup_id_z 0
		.amdhsa_system_sgpr_workgroup_info 0
		.amdhsa_system_vgpr_workitem_id 0
		.amdhsa_next_free_vgpr 1
		.amdhsa_next_free_sgpr 1
		.amdhsa_reserve_vcc 0
		.amdhsa_float_round_mode_32 0
		.amdhsa_float_round_mode_16_64 0
		.amdhsa_float_denorm_mode_32 3
		.amdhsa_float_denorm_mode_16_64 3
		.amdhsa_dx10_clamp 1
		.amdhsa_ieee_mode 1
		.amdhsa_fp16_overflow 0
		.amdhsa_workgroup_processor_mode 1
		.amdhsa_memory_ordered 1
		.amdhsa_forward_progress 0
		.amdhsa_shared_vgpr_count 0
		.amdhsa_exception_fp_ieee_invalid_op 0
		.amdhsa_exception_fp_denorm_src 0
		.amdhsa_exception_fp_ieee_div_zero 0
		.amdhsa_exception_fp_ieee_overflow 0
		.amdhsa_exception_fp_ieee_underflow 0
		.amdhsa_exception_fp_ieee_inexact 0
		.amdhsa_exception_int_div_zero 0
	.end_amdhsa_kernel
	.section	.text._ZN7rocprim17ROCPRIM_400000_NS6detail17trampoline_kernelINS0_14default_configENS1_35adjacent_difference_config_selectorILb1EyEEZNS1_24adjacent_difference_implIS3_Lb1ELb0EPyS7_N6thrust23THRUST_200600_302600_NS5minusIyEEEE10hipError_tPvRmT2_T3_mT4_P12ihipStream_tbEUlT_E_NS1_11comp_targetILNS1_3genE10ELNS1_11target_archE1201ELNS1_3gpuE5ELNS1_3repE0EEENS1_30default_config_static_selectorELNS0_4arch9wavefront6targetE0EEEvT1_,"axG",@progbits,_ZN7rocprim17ROCPRIM_400000_NS6detail17trampoline_kernelINS0_14default_configENS1_35adjacent_difference_config_selectorILb1EyEEZNS1_24adjacent_difference_implIS3_Lb1ELb0EPyS7_N6thrust23THRUST_200600_302600_NS5minusIyEEEE10hipError_tPvRmT2_T3_mT4_P12ihipStream_tbEUlT_E_NS1_11comp_targetILNS1_3genE10ELNS1_11target_archE1201ELNS1_3gpuE5ELNS1_3repE0EEENS1_30default_config_static_selectorELNS0_4arch9wavefront6targetE0EEEvT1_,comdat
.Lfunc_end122:
	.size	_ZN7rocprim17ROCPRIM_400000_NS6detail17trampoline_kernelINS0_14default_configENS1_35adjacent_difference_config_selectorILb1EyEEZNS1_24adjacent_difference_implIS3_Lb1ELb0EPyS7_N6thrust23THRUST_200600_302600_NS5minusIyEEEE10hipError_tPvRmT2_T3_mT4_P12ihipStream_tbEUlT_E_NS1_11comp_targetILNS1_3genE10ELNS1_11target_archE1201ELNS1_3gpuE5ELNS1_3repE0EEENS1_30default_config_static_selectorELNS0_4arch9wavefront6targetE0EEEvT1_, .Lfunc_end122-_ZN7rocprim17ROCPRIM_400000_NS6detail17trampoline_kernelINS0_14default_configENS1_35adjacent_difference_config_selectorILb1EyEEZNS1_24adjacent_difference_implIS3_Lb1ELb0EPyS7_N6thrust23THRUST_200600_302600_NS5minusIyEEEE10hipError_tPvRmT2_T3_mT4_P12ihipStream_tbEUlT_E_NS1_11comp_targetILNS1_3genE10ELNS1_11target_archE1201ELNS1_3gpuE5ELNS1_3repE0EEENS1_30default_config_static_selectorELNS0_4arch9wavefront6targetE0EEEvT1_
                                        ; -- End function
	.section	.AMDGPU.csdata,"",@progbits
; Kernel info:
; codeLenInByte = 0
; NumSgprs: 0
; NumVgprs: 0
; ScratchSize: 0
; MemoryBound: 0
; FloatMode: 240
; IeeeMode: 1
; LDSByteSize: 0 bytes/workgroup (compile time only)
; SGPRBlocks: 0
; VGPRBlocks: 0
; NumSGPRsForWavesPerEU: 1
; NumVGPRsForWavesPerEU: 1
; Occupancy: 16
; WaveLimiterHint : 0
; COMPUTE_PGM_RSRC2:SCRATCH_EN: 0
; COMPUTE_PGM_RSRC2:USER_SGPR: 15
; COMPUTE_PGM_RSRC2:TRAP_HANDLER: 0
; COMPUTE_PGM_RSRC2:TGID_X_EN: 1
; COMPUTE_PGM_RSRC2:TGID_Y_EN: 0
; COMPUTE_PGM_RSRC2:TGID_Z_EN: 0
; COMPUTE_PGM_RSRC2:TIDIG_COMP_CNT: 0
	.section	.text._ZN7rocprim17ROCPRIM_400000_NS6detail17trampoline_kernelINS0_14default_configENS1_35adjacent_difference_config_selectorILb1EyEEZNS1_24adjacent_difference_implIS3_Lb1ELb0EPyS7_N6thrust23THRUST_200600_302600_NS5minusIyEEEE10hipError_tPvRmT2_T3_mT4_P12ihipStream_tbEUlT_E_NS1_11comp_targetILNS1_3genE5ELNS1_11target_archE942ELNS1_3gpuE9ELNS1_3repE0EEENS1_30default_config_static_selectorELNS0_4arch9wavefront6targetE0EEEvT1_,"axG",@progbits,_ZN7rocprim17ROCPRIM_400000_NS6detail17trampoline_kernelINS0_14default_configENS1_35adjacent_difference_config_selectorILb1EyEEZNS1_24adjacent_difference_implIS3_Lb1ELb0EPyS7_N6thrust23THRUST_200600_302600_NS5minusIyEEEE10hipError_tPvRmT2_T3_mT4_P12ihipStream_tbEUlT_E_NS1_11comp_targetILNS1_3genE5ELNS1_11target_archE942ELNS1_3gpuE9ELNS1_3repE0EEENS1_30default_config_static_selectorELNS0_4arch9wavefront6targetE0EEEvT1_,comdat
	.protected	_ZN7rocprim17ROCPRIM_400000_NS6detail17trampoline_kernelINS0_14default_configENS1_35adjacent_difference_config_selectorILb1EyEEZNS1_24adjacent_difference_implIS3_Lb1ELb0EPyS7_N6thrust23THRUST_200600_302600_NS5minusIyEEEE10hipError_tPvRmT2_T3_mT4_P12ihipStream_tbEUlT_E_NS1_11comp_targetILNS1_3genE5ELNS1_11target_archE942ELNS1_3gpuE9ELNS1_3repE0EEENS1_30default_config_static_selectorELNS0_4arch9wavefront6targetE0EEEvT1_ ; -- Begin function _ZN7rocprim17ROCPRIM_400000_NS6detail17trampoline_kernelINS0_14default_configENS1_35adjacent_difference_config_selectorILb1EyEEZNS1_24adjacent_difference_implIS3_Lb1ELb0EPyS7_N6thrust23THRUST_200600_302600_NS5minusIyEEEE10hipError_tPvRmT2_T3_mT4_P12ihipStream_tbEUlT_E_NS1_11comp_targetILNS1_3genE5ELNS1_11target_archE942ELNS1_3gpuE9ELNS1_3repE0EEENS1_30default_config_static_selectorELNS0_4arch9wavefront6targetE0EEEvT1_
	.globl	_ZN7rocprim17ROCPRIM_400000_NS6detail17trampoline_kernelINS0_14default_configENS1_35adjacent_difference_config_selectorILb1EyEEZNS1_24adjacent_difference_implIS3_Lb1ELb0EPyS7_N6thrust23THRUST_200600_302600_NS5minusIyEEEE10hipError_tPvRmT2_T3_mT4_P12ihipStream_tbEUlT_E_NS1_11comp_targetILNS1_3genE5ELNS1_11target_archE942ELNS1_3gpuE9ELNS1_3repE0EEENS1_30default_config_static_selectorELNS0_4arch9wavefront6targetE0EEEvT1_
	.p2align	8
	.type	_ZN7rocprim17ROCPRIM_400000_NS6detail17trampoline_kernelINS0_14default_configENS1_35adjacent_difference_config_selectorILb1EyEEZNS1_24adjacent_difference_implIS3_Lb1ELb0EPyS7_N6thrust23THRUST_200600_302600_NS5minusIyEEEE10hipError_tPvRmT2_T3_mT4_P12ihipStream_tbEUlT_E_NS1_11comp_targetILNS1_3genE5ELNS1_11target_archE942ELNS1_3gpuE9ELNS1_3repE0EEENS1_30default_config_static_selectorELNS0_4arch9wavefront6targetE0EEEvT1_,@function
_ZN7rocprim17ROCPRIM_400000_NS6detail17trampoline_kernelINS0_14default_configENS1_35adjacent_difference_config_selectorILb1EyEEZNS1_24adjacent_difference_implIS3_Lb1ELb0EPyS7_N6thrust23THRUST_200600_302600_NS5minusIyEEEE10hipError_tPvRmT2_T3_mT4_P12ihipStream_tbEUlT_E_NS1_11comp_targetILNS1_3genE5ELNS1_11target_archE942ELNS1_3gpuE9ELNS1_3repE0EEENS1_30default_config_static_selectorELNS0_4arch9wavefront6targetE0EEEvT1_: ; @_ZN7rocprim17ROCPRIM_400000_NS6detail17trampoline_kernelINS0_14default_configENS1_35adjacent_difference_config_selectorILb1EyEEZNS1_24adjacent_difference_implIS3_Lb1ELb0EPyS7_N6thrust23THRUST_200600_302600_NS5minusIyEEEE10hipError_tPvRmT2_T3_mT4_P12ihipStream_tbEUlT_E_NS1_11comp_targetILNS1_3genE5ELNS1_11target_archE942ELNS1_3gpuE9ELNS1_3repE0EEENS1_30default_config_static_selectorELNS0_4arch9wavefront6targetE0EEEvT1_
; %bb.0:
	.section	.rodata,"a",@progbits
	.p2align	6, 0x0
	.amdhsa_kernel _ZN7rocprim17ROCPRIM_400000_NS6detail17trampoline_kernelINS0_14default_configENS1_35adjacent_difference_config_selectorILb1EyEEZNS1_24adjacent_difference_implIS3_Lb1ELb0EPyS7_N6thrust23THRUST_200600_302600_NS5minusIyEEEE10hipError_tPvRmT2_T3_mT4_P12ihipStream_tbEUlT_E_NS1_11comp_targetILNS1_3genE5ELNS1_11target_archE942ELNS1_3gpuE9ELNS1_3repE0EEENS1_30default_config_static_selectorELNS0_4arch9wavefront6targetE0EEEvT1_
		.amdhsa_group_segment_fixed_size 0
		.amdhsa_private_segment_fixed_size 0
		.amdhsa_kernarg_size 56
		.amdhsa_user_sgpr_count 15
		.amdhsa_user_sgpr_dispatch_ptr 0
		.amdhsa_user_sgpr_queue_ptr 0
		.amdhsa_user_sgpr_kernarg_segment_ptr 1
		.amdhsa_user_sgpr_dispatch_id 0
		.amdhsa_user_sgpr_private_segment_size 0
		.amdhsa_wavefront_size32 1
		.amdhsa_uses_dynamic_stack 0
		.amdhsa_enable_private_segment 0
		.amdhsa_system_sgpr_workgroup_id_x 1
		.amdhsa_system_sgpr_workgroup_id_y 0
		.amdhsa_system_sgpr_workgroup_id_z 0
		.amdhsa_system_sgpr_workgroup_info 0
		.amdhsa_system_vgpr_workitem_id 0
		.amdhsa_next_free_vgpr 1
		.amdhsa_next_free_sgpr 1
		.amdhsa_reserve_vcc 0
		.amdhsa_float_round_mode_32 0
		.amdhsa_float_round_mode_16_64 0
		.amdhsa_float_denorm_mode_32 3
		.amdhsa_float_denorm_mode_16_64 3
		.amdhsa_dx10_clamp 1
		.amdhsa_ieee_mode 1
		.amdhsa_fp16_overflow 0
		.amdhsa_workgroup_processor_mode 1
		.amdhsa_memory_ordered 1
		.amdhsa_forward_progress 0
		.amdhsa_shared_vgpr_count 0
		.amdhsa_exception_fp_ieee_invalid_op 0
		.amdhsa_exception_fp_denorm_src 0
		.amdhsa_exception_fp_ieee_div_zero 0
		.amdhsa_exception_fp_ieee_overflow 0
		.amdhsa_exception_fp_ieee_underflow 0
		.amdhsa_exception_fp_ieee_inexact 0
		.amdhsa_exception_int_div_zero 0
	.end_amdhsa_kernel
	.section	.text._ZN7rocprim17ROCPRIM_400000_NS6detail17trampoline_kernelINS0_14default_configENS1_35adjacent_difference_config_selectorILb1EyEEZNS1_24adjacent_difference_implIS3_Lb1ELb0EPyS7_N6thrust23THRUST_200600_302600_NS5minusIyEEEE10hipError_tPvRmT2_T3_mT4_P12ihipStream_tbEUlT_E_NS1_11comp_targetILNS1_3genE5ELNS1_11target_archE942ELNS1_3gpuE9ELNS1_3repE0EEENS1_30default_config_static_selectorELNS0_4arch9wavefront6targetE0EEEvT1_,"axG",@progbits,_ZN7rocprim17ROCPRIM_400000_NS6detail17trampoline_kernelINS0_14default_configENS1_35adjacent_difference_config_selectorILb1EyEEZNS1_24adjacent_difference_implIS3_Lb1ELb0EPyS7_N6thrust23THRUST_200600_302600_NS5minusIyEEEE10hipError_tPvRmT2_T3_mT4_P12ihipStream_tbEUlT_E_NS1_11comp_targetILNS1_3genE5ELNS1_11target_archE942ELNS1_3gpuE9ELNS1_3repE0EEENS1_30default_config_static_selectorELNS0_4arch9wavefront6targetE0EEEvT1_,comdat
.Lfunc_end123:
	.size	_ZN7rocprim17ROCPRIM_400000_NS6detail17trampoline_kernelINS0_14default_configENS1_35adjacent_difference_config_selectorILb1EyEEZNS1_24adjacent_difference_implIS3_Lb1ELb0EPyS7_N6thrust23THRUST_200600_302600_NS5minusIyEEEE10hipError_tPvRmT2_T3_mT4_P12ihipStream_tbEUlT_E_NS1_11comp_targetILNS1_3genE5ELNS1_11target_archE942ELNS1_3gpuE9ELNS1_3repE0EEENS1_30default_config_static_selectorELNS0_4arch9wavefront6targetE0EEEvT1_, .Lfunc_end123-_ZN7rocprim17ROCPRIM_400000_NS6detail17trampoline_kernelINS0_14default_configENS1_35adjacent_difference_config_selectorILb1EyEEZNS1_24adjacent_difference_implIS3_Lb1ELb0EPyS7_N6thrust23THRUST_200600_302600_NS5minusIyEEEE10hipError_tPvRmT2_T3_mT4_P12ihipStream_tbEUlT_E_NS1_11comp_targetILNS1_3genE5ELNS1_11target_archE942ELNS1_3gpuE9ELNS1_3repE0EEENS1_30default_config_static_selectorELNS0_4arch9wavefront6targetE0EEEvT1_
                                        ; -- End function
	.section	.AMDGPU.csdata,"",@progbits
; Kernel info:
; codeLenInByte = 0
; NumSgprs: 0
; NumVgprs: 0
; ScratchSize: 0
; MemoryBound: 0
; FloatMode: 240
; IeeeMode: 1
; LDSByteSize: 0 bytes/workgroup (compile time only)
; SGPRBlocks: 0
; VGPRBlocks: 0
; NumSGPRsForWavesPerEU: 1
; NumVGPRsForWavesPerEU: 1
; Occupancy: 16
; WaveLimiterHint : 0
; COMPUTE_PGM_RSRC2:SCRATCH_EN: 0
; COMPUTE_PGM_RSRC2:USER_SGPR: 15
; COMPUTE_PGM_RSRC2:TRAP_HANDLER: 0
; COMPUTE_PGM_RSRC2:TGID_X_EN: 1
; COMPUTE_PGM_RSRC2:TGID_Y_EN: 0
; COMPUTE_PGM_RSRC2:TGID_Z_EN: 0
; COMPUTE_PGM_RSRC2:TIDIG_COMP_CNT: 0
	.section	.text._ZN7rocprim17ROCPRIM_400000_NS6detail17trampoline_kernelINS0_14default_configENS1_35adjacent_difference_config_selectorILb1EyEEZNS1_24adjacent_difference_implIS3_Lb1ELb0EPyS7_N6thrust23THRUST_200600_302600_NS5minusIyEEEE10hipError_tPvRmT2_T3_mT4_P12ihipStream_tbEUlT_E_NS1_11comp_targetILNS1_3genE4ELNS1_11target_archE910ELNS1_3gpuE8ELNS1_3repE0EEENS1_30default_config_static_selectorELNS0_4arch9wavefront6targetE0EEEvT1_,"axG",@progbits,_ZN7rocprim17ROCPRIM_400000_NS6detail17trampoline_kernelINS0_14default_configENS1_35adjacent_difference_config_selectorILb1EyEEZNS1_24adjacent_difference_implIS3_Lb1ELb0EPyS7_N6thrust23THRUST_200600_302600_NS5minusIyEEEE10hipError_tPvRmT2_T3_mT4_P12ihipStream_tbEUlT_E_NS1_11comp_targetILNS1_3genE4ELNS1_11target_archE910ELNS1_3gpuE8ELNS1_3repE0EEENS1_30default_config_static_selectorELNS0_4arch9wavefront6targetE0EEEvT1_,comdat
	.protected	_ZN7rocprim17ROCPRIM_400000_NS6detail17trampoline_kernelINS0_14default_configENS1_35adjacent_difference_config_selectorILb1EyEEZNS1_24adjacent_difference_implIS3_Lb1ELb0EPyS7_N6thrust23THRUST_200600_302600_NS5minusIyEEEE10hipError_tPvRmT2_T3_mT4_P12ihipStream_tbEUlT_E_NS1_11comp_targetILNS1_3genE4ELNS1_11target_archE910ELNS1_3gpuE8ELNS1_3repE0EEENS1_30default_config_static_selectorELNS0_4arch9wavefront6targetE0EEEvT1_ ; -- Begin function _ZN7rocprim17ROCPRIM_400000_NS6detail17trampoline_kernelINS0_14default_configENS1_35adjacent_difference_config_selectorILb1EyEEZNS1_24adjacent_difference_implIS3_Lb1ELb0EPyS7_N6thrust23THRUST_200600_302600_NS5minusIyEEEE10hipError_tPvRmT2_T3_mT4_P12ihipStream_tbEUlT_E_NS1_11comp_targetILNS1_3genE4ELNS1_11target_archE910ELNS1_3gpuE8ELNS1_3repE0EEENS1_30default_config_static_selectorELNS0_4arch9wavefront6targetE0EEEvT1_
	.globl	_ZN7rocprim17ROCPRIM_400000_NS6detail17trampoline_kernelINS0_14default_configENS1_35adjacent_difference_config_selectorILb1EyEEZNS1_24adjacent_difference_implIS3_Lb1ELb0EPyS7_N6thrust23THRUST_200600_302600_NS5minusIyEEEE10hipError_tPvRmT2_T3_mT4_P12ihipStream_tbEUlT_E_NS1_11comp_targetILNS1_3genE4ELNS1_11target_archE910ELNS1_3gpuE8ELNS1_3repE0EEENS1_30default_config_static_selectorELNS0_4arch9wavefront6targetE0EEEvT1_
	.p2align	8
	.type	_ZN7rocprim17ROCPRIM_400000_NS6detail17trampoline_kernelINS0_14default_configENS1_35adjacent_difference_config_selectorILb1EyEEZNS1_24adjacent_difference_implIS3_Lb1ELb0EPyS7_N6thrust23THRUST_200600_302600_NS5minusIyEEEE10hipError_tPvRmT2_T3_mT4_P12ihipStream_tbEUlT_E_NS1_11comp_targetILNS1_3genE4ELNS1_11target_archE910ELNS1_3gpuE8ELNS1_3repE0EEENS1_30default_config_static_selectorELNS0_4arch9wavefront6targetE0EEEvT1_,@function
_ZN7rocprim17ROCPRIM_400000_NS6detail17trampoline_kernelINS0_14default_configENS1_35adjacent_difference_config_selectorILb1EyEEZNS1_24adjacent_difference_implIS3_Lb1ELb0EPyS7_N6thrust23THRUST_200600_302600_NS5minusIyEEEE10hipError_tPvRmT2_T3_mT4_P12ihipStream_tbEUlT_E_NS1_11comp_targetILNS1_3genE4ELNS1_11target_archE910ELNS1_3gpuE8ELNS1_3repE0EEENS1_30default_config_static_selectorELNS0_4arch9wavefront6targetE0EEEvT1_: ; @_ZN7rocprim17ROCPRIM_400000_NS6detail17trampoline_kernelINS0_14default_configENS1_35adjacent_difference_config_selectorILb1EyEEZNS1_24adjacent_difference_implIS3_Lb1ELb0EPyS7_N6thrust23THRUST_200600_302600_NS5minusIyEEEE10hipError_tPvRmT2_T3_mT4_P12ihipStream_tbEUlT_E_NS1_11comp_targetILNS1_3genE4ELNS1_11target_archE910ELNS1_3gpuE8ELNS1_3repE0EEENS1_30default_config_static_selectorELNS0_4arch9wavefront6targetE0EEEvT1_
; %bb.0:
	.section	.rodata,"a",@progbits
	.p2align	6, 0x0
	.amdhsa_kernel _ZN7rocprim17ROCPRIM_400000_NS6detail17trampoline_kernelINS0_14default_configENS1_35adjacent_difference_config_selectorILb1EyEEZNS1_24adjacent_difference_implIS3_Lb1ELb0EPyS7_N6thrust23THRUST_200600_302600_NS5minusIyEEEE10hipError_tPvRmT2_T3_mT4_P12ihipStream_tbEUlT_E_NS1_11comp_targetILNS1_3genE4ELNS1_11target_archE910ELNS1_3gpuE8ELNS1_3repE0EEENS1_30default_config_static_selectorELNS0_4arch9wavefront6targetE0EEEvT1_
		.amdhsa_group_segment_fixed_size 0
		.amdhsa_private_segment_fixed_size 0
		.amdhsa_kernarg_size 56
		.amdhsa_user_sgpr_count 15
		.amdhsa_user_sgpr_dispatch_ptr 0
		.amdhsa_user_sgpr_queue_ptr 0
		.amdhsa_user_sgpr_kernarg_segment_ptr 1
		.amdhsa_user_sgpr_dispatch_id 0
		.amdhsa_user_sgpr_private_segment_size 0
		.amdhsa_wavefront_size32 1
		.amdhsa_uses_dynamic_stack 0
		.amdhsa_enable_private_segment 0
		.amdhsa_system_sgpr_workgroup_id_x 1
		.amdhsa_system_sgpr_workgroup_id_y 0
		.amdhsa_system_sgpr_workgroup_id_z 0
		.amdhsa_system_sgpr_workgroup_info 0
		.amdhsa_system_vgpr_workitem_id 0
		.amdhsa_next_free_vgpr 1
		.amdhsa_next_free_sgpr 1
		.amdhsa_reserve_vcc 0
		.amdhsa_float_round_mode_32 0
		.amdhsa_float_round_mode_16_64 0
		.amdhsa_float_denorm_mode_32 3
		.amdhsa_float_denorm_mode_16_64 3
		.amdhsa_dx10_clamp 1
		.amdhsa_ieee_mode 1
		.amdhsa_fp16_overflow 0
		.amdhsa_workgroup_processor_mode 1
		.amdhsa_memory_ordered 1
		.amdhsa_forward_progress 0
		.amdhsa_shared_vgpr_count 0
		.amdhsa_exception_fp_ieee_invalid_op 0
		.amdhsa_exception_fp_denorm_src 0
		.amdhsa_exception_fp_ieee_div_zero 0
		.amdhsa_exception_fp_ieee_overflow 0
		.amdhsa_exception_fp_ieee_underflow 0
		.amdhsa_exception_fp_ieee_inexact 0
		.amdhsa_exception_int_div_zero 0
	.end_amdhsa_kernel
	.section	.text._ZN7rocprim17ROCPRIM_400000_NS6detail17trampoline_kernelINS0_14default_configENS1_35adjacent_difference_config_selectorILb1EyEEZNS1_24adjacent_difference_implIS3_Lb1ELb0EPyS7_N6thrust23THRUST_200600_302600_NS5minusIyEEEE10hipError_tPvRmT2_T3_mT4_P12ihipStream_tbEUlT_E_NS1_11comp_targetILNS1_3genE4ELNS1_11target_archE910ELNS1_3gpuE8ELNS1_3repE0EEENS1_30default_config_static_selectorELNS0_4arch9wavefront6targetE0EEEvT1_,"axG",@progbits,_ZN7rocprim17ROCPRIM_400000_NS6detail17trampoline_kernelINS0_14default_configENS1_35adjacent_difference_config_selectorILb1EyEEZNS1_24adjacent_difference_implIS3_Lb1ELb0EPyS7_N6thrust23THRUST_200600_302600_NS5minusIyEEEE10hipError_tPvRmT2_T3_mT4_P12ihipStream_tbEUlT_E_NS1_11comp_targetILNS1_3genE4ELNS1_11target_archE910ELNS1_3gpuE8ELNS1_3repE0EEENS1_30default_config_static_selectorELNS0_4arch9wavefront6targetE0EEEvT1_,comdat
.Lfunc_end124:
	.size	_ZN7rocprim17ROCPRIM_400000_NS6detail17trampoline_kernelINS0_14default_configENS1_35adjacent_difference_config_selectorILb1EyEEZNS1_24adjacent_difference_implIS3_Lb1ELb0EPyS7_N6thrust23THRUST_200600_302600_NS5minusIyEEEE10hipError_tPvRmT2_T3_mT4_P12ihipStream_tbEUlT_E_NS1_11comp_targetILNS1_3genE4ELNS1_11target_archE910ELNS1_3gpuE8ELNS1_3repE0EEENS1_30default_config_static_selectorELNS0_4arch9wavefront6targetE0EEEvT1_, .Lfunc_end124-_ZN7rocprim17ROCPRIM_400000_NS6detail17trampoline_kernelINS0_14default_configENS1_35adjacent_difference_config_selectorILb1EyEEZNS1_24adjacent_difference_implIS3_Lb1ELb0EPyS7_N6thrust23THRUST_200600_302600_NS5minusIyEEEE10hipError_tPvRmT2_T3_mT4_P12ihipStream_tbEUlT_E_NS1_11comp_targetILNS1_3genE4ELNS1_11target_archE910ELNS1_3gpuE8ELNS1_3repE0EEENS1_30default_config_static_selectorELNS0_4arch9wavefront6targetE0EEEvT1_
                                        ; -- End function
	.section	.AMDGPU.csdata,"",@progbits
; Kernel info:
; codeLenInByte = 0
; NumSgprs: 0
; NumVgprs: 0
; ScratchSize: 0
; MemoryBound: 0
; FloatMode: 240
; IeeeMode: 1
; LDSByteSize: 0 bytes/workgroup (compile time only)
; SGPRBlocks: 0
; VGPRBlocks: 0
; NumSGPRsForWavesPerEU: 1
; NumVGPRsForWavesPerEU: 1
; Occupancy: 16
; WaveLimiterHint : 0
; COMPUTE_PGM_RSRC2:SCRATCH_EN: 0
; COMPUTE_PGM_RSRC2:USER_SGPR: 15
; COMPUTE_PGM_RSRC2:TRAP_HANDLER: 0
; COMPUTE_PGM_RSRC2:TGID_X_EN: 1
; COMPUTE_PGM_RSRC2:TGID_Y_EN: 0
; COMPUTE_PGM_RSRC2:TGID_Z_EN: 0
; COMPUTE_PGM_RSRC2:TIDIG_COMP_CNT: 0
	.section	.text._ZN7rocprim17ROCPRIM_400000_NS6detail17trampoline_kernelINS0_14default_configENS1_35adjacent_difference_config_selectorILb1EyEEZNS1_24adjacent_difference_implIS3_Lb1ELb0EPyS7_N6thrust23THRUST_200600_302600_NS5minusIyEEEE10hipError_tPvRmT2_T3_mT4_P12ihipStream_tbEUlT_E_NS1_11comp_targetILNS1_3genE3ELNS1_11target_archE908ELNS1_3gpuE7ELNS1_3repE0EEENS1_30default_config_static_selectorELNS0_4arch9wavefront6targetE0EEEvT1_,"axG",@progbits,_ZN7rocprim17ROCPRIM_400000_NS6detail17trampoline_kernelINS0_14default_configENS1_35adjacent_difference_config_selectorILb1EyEEZNS1_24adjacent_difference_implIS3_Lb1ELb0EPyS7_N6thrust23THRUST_200600_302600_NS5minusIyEEEE10hipError_tPvRmT2_T3_mT4_P12ihipStream_tbEUlT_E_NS1_11comp_targetILNS1_3genE3ELNS1_11target_archE908ELNS1_3gpuE7ELNS1_3repE0EEENS1_30default_config_static_selectorELNS0_4arch9wavefront6targetE0EEEvT1_,comdat
	.protected	_ZN7rocprim17ROCPRIM_400000_NS6detail17trampoline_kernelINS0_14default_configENS1_35adjacent_difference_config_selectorILb1EyEEZNS1_24adjacent_difference_implIS3_Lb1ELb0EPyS7_N6thrust23THRUST_200600_302600_NS5minusIyEEEE10hipError_tPvRmT2_T3_mT4_P12ihipStream_tbEUlT_E_NS1_11comp_targetILNS1_3genE3ELNS1_11target_archE908ELNS1_3gpuE7ELNS1_3repE0EEENS1_30default_config_static_selectorELNS0_4arch9wavefront6targetE0EEEvT1_ ; -- Begin function _ZN7rocprim17ROCPRIM_400000_NS6detail17trampoline_kernelINS0_14default_configENS1_35adjacent_difference_config_selectorILb1EyEEZNS1_24adjacent_difference_implIS3_Lb1ELb0EPyS7_N6thrust23THRUST_200600_302600_NS5minusIyEEEE10hipError_tPvRmT2_T3_mT4_P12ihipStream_tbEUlT_E_NS1_11comp_targetILNS1_3genE3ELNS1_11target_archE908ELNS1_3gpuE7ELNS1_3repE0EEENS1_30default_config_static_selectorELNS0_4arch9wavefront6targetE0EEEvT1_
	.globl	_ZN7rocprim17ROCPRIM_400000_NS6detail17trampoline_kernelINS0_14default_configENS1_35adjacent_difference_config_selectorILb1EyEEZNS1_24adjacent_difference_implIS3_Lb1ELb0EPyS7_N6thrust23THRUST_200600_302600_NS5minusIyEEEE10hipError_tPvRmT2_T3_mT4_P12ihipStream_tbEUlT_E_NS1_11comp_targetILNS1_3genE3ELNS1_11target_archE908ELNS1_3gpuE7ELNS1_3repE0EEENS1_30default_config_static_selectorELNS0_4arch9wavefront6targetE0EEEvT1_
	.p2align	8
	.type	_ZN7rocprim17ROCPRIM_400000_NS6detail17trampoline_kernelINS0_14default_configENS1_35adjacent_difference_config_selectorILb1EyEEZNS1_24adjacent_difference_implIS3_Lb1ELb0EPyS7_N6thrust23THRUST_200600_302600_NS5minusIyEEEE10hipError_tPvRmT2_T3_mT4_P12ihipStream_tbEUlT_E_NS1_11comp_targetILNS1_3genE3ELNS1_11target_archE908ELNS1_3gpuE7ELNS1_3repE0EEENS1_30default_config_static_selectorELNS0_4arch9wavefront6targetE0EEEvT1_,@function
_ZN7rocprim17ROCPRIM_400000_NS6detail17trampoline_kernelINS0_14default_configENS1_35adjacent_difference_config_selectorILb1EyEEZNS1_24adjacent_difference_implIS3_Lb1ELb0EPyS7_N6thrust23THRUST_200600_302600_NS5minusIyEEEE10hipError_tPvRmT2_T3_mT4_P12ihipStream_tbEUlT_E_NS1_11comp_targetILNS1_3genE3ELNS1_11target_archE908ELNS1_3gpuE7ELNS1_3repE0EEENS1_30default_config_static_selectorELNS0_4arch9wavefront6targetE0EEEvT1_: ; @_ZN7rocprim17ROCPRIM_400000_NS6detail17trampoline_kernelINS0_14default_configENS1_35adjacent_difference_config_selectorILb1EyEEZNS1_24adjacent_difference_implIS3_Lb1ELb0EPyS7_N6thrust23THRUST_200600_302600_NS5minusIyEEEE10hipError_tPvRmT2_T3_mT4_P12ihipStream_tbEUlT_E_NS1_11comp_targetILNS1_3genE3ELNS1_11target_archE908ELNS1_3gpuE7ELNS1_3repE0EEENS1_30default_config_static_selectorELNS0_4arch9wavefront6targetE0EEEvT1_
; %bb.0:
	.section	.rodata,"a",@progbits
	.p2align	6, 0x0
	.amdhsa_kernel _ZN7rocprim17ROCPRIM_400000_NS6detail17trampoline_kernelINS0_14default_configENS1_35adjacent_difference_config_selectorILb1EyEEZNS1_24adjacent_difference_implIS3_Lb1ELb0EPyS7_N6thrust23THRUST_200600_302600_NS5minusIyEEEE10hipError_tPvRmT2_T3_mT4_P12ihipStream_tbEUlT_E_NS1_11comp_targetILNS1_3genE3ELNS1_11target_archE908ELNS1_3gpuE7ELNS1_3repE0EEENS1_30default_config_static_selectorELNS0_4arch9wavefront6targetE0EEEvT1_
		.amdhsa_group_segment_fixed_size 0
		.amdhsa_private_segment_fixed_size 0
		.amdhsa_kernarg_size 56
		.amdhsa_user_sgpr_count 15
		.amdhsa_user_sgpr_dispatch_ptr 0
		.amdhsa_user_sgpr_queue_ptr 0
		.amdhsa_user_sgpr_kernarg_segment_ptr 1
		.amdhsa_user_sgpr_dispatch_id 0
		.amdhsa_user_sgpr_private_segment_size 0
		.amdhsa_wavefront_size32 1
		.amdhsa_uses_dynamic_stack 0
		.amdhsa_enable_private_segment 0
		.amdhsa_system_sgpr_workgroup_id_x 1
		.amdhsa_system_sgpr_workgroup_id_y 0
		.amdhsa_system_sgpr_workgroup_id_z 0
		.amdhsa_system_sgpr_workgroup_info 0
		.amdhsa_system_vgpr_workitem_id 0
		.amdhsa_next_free_vgpr 1
		.amdhsa_next_free_sgpr 1
		.amdhsa_reserve_vcc 0
		.amdhsa_float_round_mode_32 0
		.amdhsa_float_round_mode_16_64 0
		.amdhsa_float_denorm_mode_32 3
		.amdhsa_float_denorm_mode_16_64 3
		.amdhsa_dx10_clamp 1
		.amdhsa_ieee_mode 1
		.amdhsa_fp16_overflow 0
		.amdhsa_workgroup_processor_mode 1
		.amdhsa_memory_ordered 1
		.amdhsa_forward_progress 0
		.amdhsa_shared_vgpr_count 0
		.amdhsa_exception_fp_ieee_invalid_op 0
		.amdhsa_exception_fp_denorm_src 0
		.amdhsa_exception_fp_ieee_div_zero 0
		.amdhsa_exception_fp_ieee_overflow 0
		.amdhsa_exception_fp_ieee_underflow 0
		.amdhsa_exception_fp_ieee_inexact 0
		.amdhsa_exception_int_div_zero 0
	.end_amdhsa_kernel
	.section	.text._ZN7rocprim17ROCPRIM_400000_NS6detail17trampoline_kernelINS0_14default_configENS1_35adjacent_difference_config_selectorILb1EyEEZNS1_24adjacent_difference_implIS3_Lb1ELb0EPyS7_N6thrust23THRUST_200600_302600_NS5minusIyEEEE10hipError_tPvRmT2_T3_mT4_P12ihipStream_tbEUlT_E_NS1_11comp_targetILNS1_3genE3ELNS1_11target_archE908ELNS1_3gpuE7ELNS1_3repE0EEENS1_30default_config_static_selectorELNS0_4arch9wavefront6targetE0EEEvT1_,"axG",@progbits,_ZN7rocprim17ROCPRIM_400000_NS6detail17trampoline_kernelINS0_14default_configENS1_35adjacent_difference_config_selectorILb1EyEEZNS1_24adjacent_difference_implIS3_Lb1ELb0EPyS7_N6thrust23THRUST_200600_302600_NS5minusIyEEEE10hipError_tPvRmT2_T3_mT4_P12ihipStream_tbEUlT_E_NS1_11comp_targetILNS1_3genE3ELNS1_11target_archE908ELNS1_3gpuE7ELNS1_3repE0EEENS1_30default_config_static_selectorELNS0_4arch9wavefront6targetE0EEEvT1_,comdat
.Lfunc_end125:
	.size	_ZN7rocprim17ROCPRIM_400000_NS6detail17trampoline_kernelINS0_14default_configENS1_35adjacent_difference_config_selectorILb1EyEEZNS1_24adjacent_difference_implIS3_Lb1ELb0EPyS7_N6thrust23THRUST_200600_302600_NS5minusIyEEEE10hipError_tPvRmT2_T3_mT4_P12ihipStream_tbEUlT_E_NS1_11comp_targetILNS1_3genE3ELNS1_11target_archE908ELNS1_3gpuE7ELNS1_3repE0EEENS1_30default_config_static_selectorELNS0_4arch9wavefront6targetE0EEEvT1_, .Lfunc_end125-_ZN7rocprim17ROCPRIM_400000_NS6detail17trampoline_kernelINS0_14default_configENS1_35adjacent_difference_config_selectorILb1EyEEZNS1_24adjacent_difference_implIS3_Lb1ELb0EPyS7_N6thrust23THRUST_200600_302600_NS5minusIyEEEE10hipError_tPvRmT2_T3_mT4_P12ihipStream_tbEUlT_E_NS1_11comp_targetILNS1_3genE3ELNS1_11target_archE908ELNS1_3gpuE7ELNS1_3repE0EEENS1_30default_config_static_selectorELNS0_4arch9wavefront6targetE0EEEvT1_
                                        ; -- End function
	.section	.AMDGPU.csdata,"",@progbits
; Kernel info:
; codeLenInByte = 0
; NumSgprs: 0
; NumVgprs: 0
; ScratchSize: 0
; MemoryBound: 0
; FloatMode: 240
; IeeeMode: 1
; LDSByteSize: 0 bytes/workgroup (compile time only)
; SGPRBlocks: 0
; VGPRBlocks: 0
; NumSGPRsForWavesPerEU: 1
; NumVGPRsForWavesPerEU: 1
; Occupancy: 16
; WaveLimiterHint : 0
; COMPUTE_PGM_RSRC2:SCRATCH_EN: 0
; COMPUTE_PGM_RSRC2:USER_SGPR: 15
; COMPUTE_PGM_RSRC2:TRAP_HANDLER: 0
; COMPUTE_PGM_RSRC2:TGID_X_EN: 1
; COMPUTE_PGM_RSRC2:TGID_Y_EN: 0
; COMPUTE_PGM_RSRC2:TGID_Z_EN: 0
; COMPUTE_PGM_RSRC2:TIDIG_COMP_CNT: 0
	.section	.text._ZN7rocprim17ROCPRIM_400000_NS6detail17trampoline_kernelINS0_14default_configENS1_35adjacent_difference_config_selectorILb1EyEEZNS1_24adjacent_difference_implIS3_Lb1ELb0EPyS7_N6thrust23THRUST_200600_302600_NS5minusIyEEEE10hipError_tPvRmT2_T3_mT4_P12ihipStream_tbEUlT_E_NS1_11comp_targetILNS1_3genE2ELNS1_11target_archE906ELNS1_3gpuE6ELNS1_3repE0EEENS1_30default_config_static_selectorELNS0_4arch9wavefront6targetE0EEEvT1_,"axG",@progbits,_ZN7rocprim17ROCPRIM_400000_NS6detail17trampoline_kernelINS0_14default_configENS1_35adjacent_difference_config_selectorILb1EyEEZNS1_24adjacent_difference_implIS3_Lb1ELb0EPyS7_N6thrust23THRUST_200600_302600_NS5minusIyEEEE10hipError_tPvRmT2_T3_mT4_P12ihipStream_tbEUlT_E_NS1_11comp_targetILNS1_3genE2ELNS1_11target_archE906ELNS1_3gpuE6ELNS1_3repE0EEENS1_30default_config_static_selectorELNS0_4arch9wavefront6targetE0EEEvT1_,comdat
	.protected	_ZN7rocprim17ROCPRIM_400000_NS6detail17trampoline_kernelINS0_14default_configENS1_35adjacent_difference_config_selectorILb1EyEEZNS1_24adjacent_difference_implIS3_Lb1ELb0EPyS7_N6thrust23THRUST_200600_302600_NS5minusIyEEEE10hipError_tPvRmT2_T3_mT4_P12ihipStream_tbEUlT_E_NS1_11comp_targetILNS1_3genE2ELNS1_11target_archE906ELNS1_3gpuE6ELNS1_3repE0EEENS1_30default_config_static_selectorELNS0_4arch9wavefront6targetE0EEEvT1_ ; -- Begin function _ZN7rocprim17ROCPRIM_400000_NS6detail17trampoline_kernelINS0_14default_configENS1_35adjacent_difference_config_selectorILb1EyEEZNS1_24adjacent_difference_implIS3_Lb1ELb0EPyS7_N6thrust23THRUST_200600_302600_NS5minusIyEEEE10hipError_tPvRmT2_T3_mT4_P12ihipStream_tbEUlT_E_NS1_11comp_targetILNS1_3genE2ELNS1_11target_archE906ELNS1_3gpuE6ELNS1_3repE0EEENS1_30default_config_static_selectorELNS0_4arch9wavefront6targetE0EEEvT1_
	.globl	_ZN7rocprim17ROCPRIM_400000_NS6detail17trampoline_kernelINS0_14default_configENS1_35adjacent_difference_config_selectorILb1EyEEZNS1_24adjacent_difference_implIS3_Lb1ELb0EPyS7_N6thrust23THRUST_200600_302600_NS5minusIyEEEE10hipError_tPvRmT2_T3_mT4_P12ihipStream_tbEUlT_E_NS1_11comp_targetILNS1_3genE2ELNS1_11target_archE906ELNS1_3gpuE6ELNS1_3repE0EEENS1_30default_config_static_selectorELNS0_4arch9wavefront6targetE0EEEvT1_
	.p2align	8
	.type	_ZN7rocprim17ROCPRIM_400000_NS6detail17trampoline_kernelINS0_14default_configENS1_35adjacent_difference_config_selectorILb1EyEEZNS1_24adjacent_difference_implIS3_Lb1ELb0EPyS7_N6thrust23THRUST_200600_302600_NS5minusIyEEEE10hipError_tPvRmT2_T3_mT4_P12ihipStream_tbEUlT_E_NS1_11comp_targetILNS1_3genE2ELNS1_11target_archE906ELNS1_3gpuE6ELNS1_3repE0EEENS1_30default_config_static_selectorELNS0_4arch9wavefront6targetE0EEEvT1_,@function
_ZN7rocprim17ROCPRIM_400000_NS6detail17trampoline_kernelINS0_14default_configENS1_35adjacent_difference_config_selectorILb1EyEEZNS1_24adjacent_difference_implIS3_Lb1ELb0EPyS7_N6thrust23THRUST_200600_302600_NS5minusIyEEEE10hipError_tPvRmT2_T3_mT4_P12ihipStream_tbEUlT_E_NS1_11comp_targetILNS1_3genE2ELNS1_11target_archE906ELNS1_3gpuE6ELNS1_3repE0EEENS1_30default_config_static_selectorELNS0_4arch9wavefront6targetE0EEEvT1_: ; @_ZN7rocprim17ROCPRIM_400000_NS6detail17trampoline_kernelINS0_14default_configENS1_35adjacent_difference_config_selectorILb1EyEEZNS1_24adjacent_difference_implIS3_Lb1ELb0EPyS7_N6thrust23THRUST_200600_302600_NS5minusIyEEEE10hipError_tPvRmT2_T3_mT4_P12ihipStream_tbEUlT_E_NS1_11comp_targetILNS1_3genE2ELNS1_11target_archE906ELNS1_3gpuE6ELNS1_3repE0EEENS1_30default_config_static_selectorELNS0_4arch9wavefront6targetE0EEEvT1_
; %bb.0:
	.section	.rodata,"a",@progbits
	.p2align	6, 0x0
	.amdhsa_kernel _ZN7rocprim17ROCPRIM_400000_NS6detail17trampoline_kernelINS0_14default_configENS1_35adjacent_difference_config_selectorILb1EyEEZNS1_24adjacent_difference_implIS3_Lb1ELb0EPyS7_N6thrust23THRUST_200600_302600_NS5minusIyEEEE10hipError_tPvRmT2_T3_mT4_P12ihipStream_tbEUlT_E_NS1_11comp_targetILNS1_3genE2ELNS1_11target_archE906ELNS1_3gpuE6ELNS1_3repE0EEENS1_30default_config_static_selectorELNS0_4arch9wavefront6targetE0EEEvT1_
		.amdhsa_group_segment_fixed_size 0
		.amdhsa_private_segment_fixed_size 0
		.amdhsa_kernarg_size 56
		.amdhsa_user_sgpr_count 15
		.amdhsa_user_sgpr_dispatch_ptr 0
		.amdhsa_user_sgpr_queue_ptr 0
		.amdhsa_user_sgpr_kernarg_segment_ptr 1
		.amdhsa_user_sgpr_dispatch_id 0
		.amdhsa_user_sgpr_private_segment_size 0
		.amdhsa_wavefront_size32 1
		.amdhsa_uses_dynamic_stack 0
		.amdhsa_enable_private_segment 0
		.amdhsa_system_sgpr_workgroup_id_x 1
		.amdhsa_system_sgpr_workgroup_id_y 0
		.amdhsa_system_sgpr_workgroup_id_z 0
		.amdhsa_system_sgpr_workgroup_info 0
		.amdhsa_system_vgpr_workitem_id 0
		.amdhsa_next_free_vgpr 1
		.amdhsa_next_free_sgpr 1
		.amdhsa_reserve_vcc 0
		.amdhsa_float_round_mode_32 0
		.amdhsa_float_round_mode_16_64 0
		.amdhsa_float_denorm_mode_32 3
		.amdhsa_float_denorm_mode_16_64 3
		.amdhsa_dx10_clamp 1
		.amdhsa_ieee_mode 1
		.amdhsa_fp16_overflow 0
		.amdhsa_workgroup_processor_mode 1
		.amdhsa_memory_ordered 1
		.amdhsa_forward_progress 0
		.amdhsa_shared_vgpr_count 0
		.amdhsa_exception_fp_ieee_invalid_op 0
		.amdhsa_exception_fp_denorm_src 0
		.amdhsa_exception_fp_ieee_div_zero 0
		.amdhsa_exception_fp_ieee_overflow 0
		.amdhsa_exception_fp_ieee_underflow 0
		.amdhsa_exception_fp_ieee_inexact 0
		.amdhsa_exception_int_div_zero 0
	.end_amdhsa_kernel
	.section	.text._ZN7rocprim17ROCPRIM_400000_NS6detail17trampoline_kernelINS0_14default_configENS1_35adjacent_difference_config_selectorILb1EyEEZNS1_24adjacent_difference_implIS3_Lb1ELb0EPyS7_N6thrust23THRUST_200600_302600_NS5minusIyEEEE10hipError_tPvRmT2_T3_mT4_P12ihipStream_tbEUlT_E_NS1_11comp_targetILNS1_3genE2ELNS1_11target_archE906ELNS1_3gpuE6ELNS1_3repE0EEENS1_30default_config_static_selectorELNS0_4arch9wavefront6targetE0EEEvT1_,"axG",@progbits,_ZN7rocprim17ROCPRIM_400000_NS6detail17trampoline_kernelINS0_14default_configENS1_35adjacent_difference_config_selectorILb1EyEEZNS1_24adjacent_difference_implIS3_Lb1ELb0EPyS7_N6thrust23THRUST_200600_302600_NS5minusIyEEEE10hipError_tPvRmT2_T3_mT4_P12ihipStream_tbEUlT_E_NS1_11comp_targetILNS1_3genE2ELNS1_11target_archE906ELNS1_3gpuE6ELNS1_3repE0EEENS1_30default_config_static_selectorELNS0_4arch9wavefront6targetE0EEEvT1_,comdat
.Lfunc_end126:
	.size	_ZN7rocprim17ROCPRIM_400000_NS6detail17trampoline_kernelINS0_14default_configENS1_35adjacent_difference_config_selectorILb1EyEEZNS1_24adjacent_difference_implIS3_Lb1ELb0EPyS7_N6thrust23THRUST_200600_302600_NS5minusIyEEEE10hipError_tPvRmT2_T3_mT4_P12ihipStream_tbEUlT_E_NS1_11comp_targetILNS1_3genE2ELNS1_11target_archE906ELNS1_3gpuE6ELNS1_3repE0EEENS1_30default_config_static_selectorELNS0_4arch9wavefront6targetE0EEEvT1_, .Lfunc_end126-_ZN7rocprim17ROCPRIM_400000_NS6detail17trampoline_kernelINS0_14default_configENS1_35adjacent_difference_config_selectorILb1EyEEZNS1_24adjacent_difference_implIS3_Lb1ELb0EPyS7_N6thrust23THRUST_200600_302600_NS5minusIyEEEE10hipError_tPvRmT2_T3_mT4_P12ihipStream_tbEUlT_E_NS1_11comp_targetILNS1_3genE2ELNS1_11target_archE906ELNS1_3gpuE6ELNS1_3repE0EEENS1_30default_config_static_selectorELNS0_4arch9wavefront6targetE0EEEvT1_
                                        ; -- End function
	.section	.AMDGPU.csdata,"",@progbits
; Kernel info:
; codeLenInByte = 0
; NumSgprs: 0
; NumVgprs: 0
; ScratchSize: 0
; MemoryBound: 0
; FloatMode: 240
; IeeeMode: 1
; LDSByteSize: 0 bytes/workgroup (compile time only)
; SGPRBlocks: 0
; VGPRBlocks: 0
; NumSGPRsForWavesPerEU: 1
; NumVGPRsForWavesPerEU: 1
; Occupancy: 16
; WaveLimiterHint : 0
; COMPUTE_PGM_RSRC2:SCRATCH_EN: 0
; COMPUTE_PGM_RSRC2:USER_SGPR: 15
; COMPUTE_PGM_RSRC2:TRAP_HANDLER: 0
; COMPUTE_PGM_RSRC2:TGID_X_EN: 1
; COMPUTE_PGM_RSRC2:TGID_Y_EN: 0
; COMPUTE_PGM_RSRC2:TGID_Z_EN: 0
; COMPUTE_PGM_RSRC2:TIDIG_COMP_CNT: 0
	.section	.text._ZN7rocprim17ROCPRIM_400000_NS6detail17trampoline_kernelINS0_14default_configENS1_35adjacent_difference_config_selectorILb1EyEEZNS1_24adjacent_difference_implIS3_Lb1ELb0EPyS7_N6thrust23THRUST_200600_302600_NS5minusIyEEEE10hipError_tPvRmT2_T3_mT4_P12ihipStream_tbEUlT_E_NS1_11comp_targetILNS1_3genE9ELNS1_11target_archE1100ELNS1_3gpuE3ELNS1_3repE0EEENS1_30default_config_static_selectorELNS0_4arch9wavefront6targetE0EEEvT1_,"axG",@progbits,_ZN7rocprim17ROCPRIM_400000_NS6detail17trampoline_kernelINS0_14default_configENS1_35adjacent_difference_config_selectorILb1EyEEZNS1_24adjacent_difference_implIS3_Lb1ELb0EPyS7_N6thrust23THRUST_200600_302600_NS5minusIyEEEE10hipError_tPvRmT2_T3_mT4_P12ihipStream_tbEUlT_E_NS1_11comp_targetILNS1_3genE9ELNS1_11target_archE1100ELNS1_3gpuE3ELNS1_3repE0EEENS1_30default_config_static_selectorELNS0_4arch9wavefront6targetE0EEEvT1_,comdat
	.protected	_ZN7rocprim17ROCPRIM_400000_NS6detail17trampoline_kernelINS0_14default_configENS1_35adjacent_difference_config_selectorILb1EyEEZNS1_24adjacent_difference_implIS3_Lb1ELb0EPyS7_N6thrust23THRUST_200600_302600_NS5minusIyEEEE10hipError_tPvRmT2_T3_mT4_P12ihipStream_tbEUlT_E_NS1_11comp_targetILNS1_3genE9ELNS1_11target_archE1100ELNS1_3gpuE3ELNS1_3repE0EEENS1_30default_config_static_selectorELNS0_4arch9wavefront6targetE0EEEvT1_ ; -- Begin function _ZN7rocprim17ROCPRIM_400000_NS6detail17trampoline_kernelINS0_14default_configENS1_35adjacent_difference_config_selectorILb1EyEEZNS1_24adjacent_difference_implIS3_Lb1ELb0EPyS7_N6thrust23THRUST_200600_302600_NS5minusIyEEEE10hipError_tPvRmT2_T3_mT4_P12ihipStream_tbEUlT_E_NS1_11comp_targetILNS1_3genE9ELNS1_11target_archE1100ELNS1_3gpuE3ELNS1_3repE0EEENS1_30default_config_static_selectorELNS0_4arch9wavefront6targetE0EEEvT1_
	.globl	_ZN7rocprim17ROCPRIM_400000_NS6detail17trampoline_kernelINS0_14default_configENS1_35adjacent_difference_config_selectorILb1EyEEZNS1_24adjacent_difference_implIS3_Lb1ELb0EPyS7_N6thrust23THRUST_200600_302600_NS5minusIyEEEE10hipError_tPvRmT2_T3_mT4_P12ihipStream_tbEUlT_E_NS1_11comp_targetILNS1_3genE9ELNS1_11target_archE1100ELNS1_3gpuE3ELNS1_3repE0EEENS1_30default_config_static_selectorELNS0_4arch9wavefront6targetE0EEEvT1_
	.p2align	8
	.type	_ZN7rocprim17ROCPRIM_400000_NS6detail17trampoline_kernelINS0_14default_configENS1_35adjacent_difference_config_selectorILb1EyEEZNS1_24adjacent_difference_implIS3_Lb1ELb0EPyS7_N6thrust23THRUST_200600_302600_NS5minusIyEEEE10hipError_tPvRmT2_T3_mT4_P12ihipStream_tbEUlT_E_NS1_11comp_targetILNS1_3genE9ELNS1_11target_archE1100ELNS1_3gpuE3ELNS1_3repE0EEENS1_30default_config_static_selectorELNS0_4arch9wavefront6targetE0EEEvT1_,@function
_ZN7rocprim17ROCPRIM_400000_NS6detail17trampoline_kernelINS0_14default_configENS1_35adjacent_difference_config_selectorILb1EyEEZNS1_24adjacent_difference_implIS3_Lb1ELb0EPyS7_N6thrust23THRUST_200600_302600_NS5minusIyEEEE10hipError_tPvRmT2_T3_mT4_P12ihipStream_tbEUlT_E_NS1_11comp_targetILNS1_3genE9ELNS1_11target_archE1100ELNS1_3gpuE3ELNS1_3repE0EEENS1_30default_config_static_selectorELNS0_4arch9wavefront6targetE0EEEvT1_: ; @_ZN7rocprim17ROCPRIM_400000_NS6detail17trampoline_kernelINS0_14default_configENS1_35adjacent_difference_config_selectorILb1EyEEZNS1_24adjacent_difference_implIS3_Lb1ELb0EPyS7_N6thrust23THRUST_200600_302600_NS5minusIyEEEE10hipError_tPvRmT2_T3_mT4_P12ihipStream_tbEUlT_E_NS1_11comp_targetILNS1_3genE9ELNS1_11target_archE1100ELNS1_3gpuE3ELNS1_3repE0EEENS1_30default_config_static_selectorELNS0_4arch9wavefront6targetE0EEEvT1_
; %bb.0:
	s_load_b256 s[4:11], s[0:1], 0x0
	s_mov_b32 s2, 0x411a7a30
	s_mov_b32 s16, s15
	s_waitcnt lgkmcnt(0)
	s_lshl_b64 s[6:7], s[6:7], 3
	s_delay_alu instid0(SALU_CYCLE_1) | instskip(SKIP_4) | instid1(VALU_DEP_1)
	s_add_u32 s23, s4, s6
	s_addc_u32 s24, s5, s7
	s_add_u32 s2, 0x76, s2
	s_addc_u32 s3, 0, 0
	v_add_co_u32 v1, s2, 0x20000000, s2
	s_cmp_lg_u32 s2, 0
	s_addc_u32 s3, s3, 0x11a7b9
	s_delay_alu instid0(VALU_DEP_1) | instskip(SKIP_1) | instid1(VALU_DEP_1)
	v_readfirstlane_b32 s2, v1
	s_mul_i32 s4, s3, 0xfffff180
	s_mul_hi_u32 s5, s2, 0xfffff180
	s_mul_i32 s12, s2, 0xfffff180
	s_sub_i32 s5, s5, s2
	s_mul_hi_u32 s13, s2, s12
	s_add_i32 s5, s5, s4
	s_mul_hi_u32 s14, s3, s12
	s_mul_i32 s4, s3, s12
	s_mul_hi_u32 s12, s2, s5
	s_mul_i32 s2, s2, s5
	s_mul_hi_u32 s15, s3, s5
	s_add_u32 s2, s13, s2
	s_addc_u32 s12, 0, s12
	s_add_u32 s2, s2, s4
	s_mul_i32 s5, s3, s5
	s_addc_u32 s2, s12, s14
	s_addc_u32 s4, s15, 0
	s_add_u32 s2, s2, s5
	s_addc_u32 s4, 0, s4
	v_add_co_u32 v1, s2, v1, s2
	s_delay_alu instid0(VALU_DEP_1) | instskip(SKIP_1) | instid1(VALU_DEP_1)
	s_cmp_lg_u32 s2, 0
	s_addc_u32 s2, s3, s4
	v_readfirstlane_b32 s3, v1
	s_mul_i32 s5, s10, s2
	s_mul_hi_u32 s4, s10, s2
	s_mul_hi_u32 s12, s11, s2
	s_mul_i32 s2, s11, s2
	s_mul_hi_u32 s13, s10, s3
	s_mul_hi_u32 s14, s11, s3
	s_mul_i32 s3, s11, s3
	s_add_u32 s5, s13, s5
	s_addc_u32 s4, 0, s4
	s_add_u32 s3, s5, s3
	s_addc_u32 s3, s4, s14
	s_addc_u32 s4, s12, 0
	s_add_u32 s5, s3, s2
	s_addc_u32 s4, 0, s4
	s_mul_i32 s3, s5, 0xe80
	s_add_u32 s2, s5, 1
	v_sub_co_u32 v1, s3, s10, s3
	s_mul_hi_u32 s12, s5, 0xe80
	s_addc_u32 s13, s4, 0
	s_mul_i32 s14, s4, 0xe80
	s_delay_alu instid0(VALU_DEP_1)
	v_subrev_co_u32 v2, s15, 0xe80, v1
	s_add_u32 s17, s5, 2
	s_addc_u32 s18, s4, 0
	s_add_i32 s12, s12, s14
	s_cmp_lg_u32 s3, 0
	v_readfirstlane_b32 s3, v2
	s_subb_u32 s12, s11, s12
	s_cmp_lg_u32 s15, 0
	s_subb_u32 s14, s12, 0
	s_delay_alu instid0(VALU_DEP_1) | instskip(SKIP_4) | instid1(SALU_CYCLE_1)
	s_cmpk_gt_u32 s3, 0xe7f
	s_cselect_b32 s3, -1, 0
	s_cmp_eq_u32 s14, 0
	v_readfirstlane_b32 s14, v1
	s_cselect_b32 s3, s3, -1
	s_cmp_lg_u32 s3, 0
	s_cselect_b32 s15, s17, s2
	s_cselect_b32 s13, s18, s13
	s_cmpk_gt_u32 s14, 0xe7f
	s_mov_b32 s17, 0
	s_cselect_b32 s2, -1, 0
	s_cmp_eq_u32 s12, 0
	s_cselect_b32 s2, s2, -1
	s_delay_alu instid0(SALU_CYCLE_1)
	s_cmp_lg_u32 s2, 0
	s_load_b128 s[0:3], s[0:1], 0x28
	s_cselect_b32 s13, s13, s4
	s_cselect_b32 s12, s15, s5
	s_mul_i32 s4, s13, 0xe80
	s_mul_hi_u32 s5, s12, 0xe80
	s_mul_i32 s14, s12, 0xe80
	s_add_i32 s5, s5, s4
	s_sub_u32 s4, s10, s14
	s_subb_u32 s5, s11, s5
	s_delay_alu instid0(SALU_CYCLE_1) | instskip(SKIP_2) | instid1(SALU_CYCLE_1)
	s_cmp_lg_u64 s[4:5], 0
	s_mov_b32 s5, -1
	s_cselect_b32 s4, -1, 0
	v_cndmask_b32_e64 v1, 0, 1, s4
	s_delay_alu instid0(VALU_DEP_1) | instskip(NEXT) | instid1(VALU_DEP_1)
	v_readfirstlane_b32 s4, v1
	s_add_u32 s12, s12, s4
	s_addc_u32 s13, s13, 0
	s_waitcnt lgkmcnt(0)
	s_add_u32 s14, s2, s16
	s_addc_u32 s15, s3, 0
	s_add_u32 s18, s12, -1
	s_addc_u32 s19, s13, -1
	s_mul_i32 s4, s16, 0xe80
	v_cmp_ge_u64_e64 s22, s[14:15], s[18:19]
	s_mul_i32 s11, s18, 0xfffff180
	s_delay_alu instid0(VALU_DEP_1)
	s_and_b32 vcc_lo, exec_lo, s22
	s_cbranch_vccz .LBB127_60
; %bb.1:
	s_mov_b32 s5, s17
	s_add_i32 s25, s11, s10
	s_lshl_b64 s[20:21], s[4:5], 3
	s_mov_b32 s5, exec_lo
	s_add_u32 s20, s23, s20
	s_addc_u32 s21, s24, s21
                                        ; implicit-def: $vgpr1_vgpr2
	v_cmpx_gt_u32_e64 s25, v0
	s_cbranch_execz .LBB127_3
; %bb.2:
	v_lshlrev_b32_e32 v1, 3, v0
	global_load_b64 v[1:2], v1, s[20:21]
.LBB127_3:
	s_or_b32 exec_lo, exec_lo, s5
	v_or_b32_e32 v3, 0x80, v0
	s_delay_alu instid0(VALU_DEP_1)
	v_cmp_gt_u32_e32 vcc_lo, s25, v3
                                        ; implicit-def: $vgpr3_vgpr4
	s_and_saveexec_b32 s5, vcc_lo
	s_cbranch_execz .LBB127_5
; %bb.4:
	v_lshlrev_b32_e32 v3, 3, v0
	global_load_b64 v[3:4], v3, s[20:21] offset:1024
.LBB127_5:
	s_or_b32 exec_lo, exec_lo, s5
	v_or_b32_e32 v5, 0x100, v0
	s_delay_alu instid0(VALU_DEP_1)
	v_cmp_gt_u32_e32 vcc_lo, s25, v5
                                        ; implicit-def: $vgpr5_vgpr6
	s_and_saveexec_b32 s5, vcc_lo
	s_cbranch_execz .LBB127_7
; %bb.6:
	v_lshlrev_b32_e32 v5, 3, v0
	global_load_b64 v[5:6], v5, s[20:21] offset:2048
.LBB127_7:
	s_or_b32 exec_lo, exec_lo, s5
	v_or_b32_e32 v7, 0x180, v0
	s_delay_alu instid0(VALU_DEP_1)
	v_cmp_gt_u32_e32 vcc_lo, s25, v7
                                        ; implicit-def: $vgpr7_vgpr8
	s_and_saveexec_b32 s5, vcc_lo
	s_cbranch_execz .LBB127_9
; %bb.8:
	v_lshlrev_b32_e32 v7, 3, v0
	global_load_b64 v[7:8], v7, s[20:21] offset:3072
.LBB127_9:
	s_or_b32 exec_lo, exec_lo, s5
	v_or_b32_e32 v11, 0x200, v0
	s_mov_b32 s5, exec_lo
                                        ; implicit-def: $vgpr9_vgpr10
	s_delay_alu instid0(VALU_DEP_1)
	v_cmpx_gt_u32_e64 s25, v11
	s_cbranch_execz .LBB127_11
; %bb.10:
	v_lshlrev_b32_e32 v9, 3, v11
	global_load_b64 v[9:10], v9, s[20:21]
.LBB127_11:
	s_or_b32 exec_lo, exec_lo, s5
	v_or_b32_e32 v13, 0x280, v0
	s_mov_b32 s5, exec_lo
                                        ; implicit-def: $vgpr11_vgpr12
	s_delay_alu instid0(VALU_DEP_1)
	v_cmpx_gt_u32_e64 s25, v13
	s_cbranch_execz .LBB127_13
; %bb.12:
	v_lshlrev_b32_e32 v11, 3, v13
	global_load_b64 v[11:12], v11, s[20:21]
.LBB127_13:
	s_or_b32 exec_lo, exec_lo, s5
	v_or_b32_e32 v15, 0x300, v0
	s_mov_b32 s5, exec_lo
                                        ; implicit-def: $vgpr13_vgpr14
	s_delay_alu instid0(VALU_DEP_1)
	v_cmpx_gt_u32_e64 s25, v15
	s_cbranch_execz .LBB127_15
; %bb.14:
	v_lshlrev_b32_e32 v13, 3, v15
	global_load_b64 v[13:14], v13, s[20:21]
.LBB127_15:
	s_or_b32 exec_lo, exec_lo, s5
	v_or_b32_e32 v17, 0x380, v0
	s_mov_b32 s5, exec_lo
                                        ; implicit-def: $vgpr15_vgpr16
	s_delay_alu instid0(VALU_DEP_1)
	v_cmpx_gt_u32_e64 s25, v17
	s_cbranch_execz .LBB127_17
; %bb.16:
	v_lshlrev_b32_e32 v15, 3, v17
	global_load_b64 v[15:16], v15, s[20:21]
.LBB127_17:
	s_or_b32 exec_lo, exec_lo, s5
	v_or_b32_e32 v19, 0x400, v0
	s_mov_b32 s5, exec_lo
                                        ; implicit-def: $vgpr17_vgpr18
	s_delay_alu instid0(VALU_DEP_1)
	v_cmpx_gt_u32_e64 s25, v19
	s_cbranch_execz .LBB127_19
; %bb.18:
	v_lshlrev_b32_e32 v17, 3, v19
	global_load_b64 v[17:18], v17, s[20:21]
.LBB127_19:
	s_or_b32 exec_lo, exec_lo, s5
	v_or_b32_e32 v21, 0x480, v0
	s_mov_b32 s5, exec_lo
                                        ; implicit-def: $vgpr19_vgpr20
	s_delay_alu instid0(VALU_DEP_1)
	v_cmpx_gt_u32_e64 s25, v21
	s_cbranch_execz .LBB127_21
; %bb.20:
	v_lshlrev_b32_e32 v19, 3, v21
	global_load_b64 v[19:20], v19, s[20:21]
.LBB127_21:
	s_or_b32 exec_lo, exec_lo, s5
	v_or_b32_e32 v23, 0x500, v0
	s_mov_b32 s5, exec_lo
                                        ; implicit-def: $vgpr21_vgpr22
	s_delay_alu instid0(VALU_DEP_1)
	v_cmpx_gt_u32_e64 s25, v23
	s_cbranch_execz .LBB127_23
; %bb.22:
	v_lshlrev_b32_e32 v21, 3, v23
	global_load_b64 v[21:22], v21, s[20:21]
.LBB127_23:
	s_or_b32 exec_lo, exec_lo, s5
	v_or_b32_e32 v25, 0x580, v0
	s_mov_b32 s5, exec_lo
                                        ; implicit-def: $vgpr23_vgpr24
	s_delay_alu instid0(VALU_DEP_1)
	v_cmpx_gt_u32_e64 s25, v25
	s_cbranch_execz .LBB127_25
; %bb.24:
	v_lshlrev_b32_e32 v23, 3, v25
	global_load_b64 v[23:24], v23, s[20:21]
.LBB127_25:
	s_or_b32 exec_lo, exec_lo, s5
	v_or_b32_e32 v27, 0x600, v0
	s_mov_b32 s5, exec_lo
                                        ; implicit-def: $vgpr25_vgpr26
	s_delay_alu instid0(VALU_DEP_1)
	v_cmpx_gt_u32_e64 s25, v27
	s_cbranch_execz .LBB127_27
; %bb.26:
	v_lshlrev_b32_e32 v25, 3, v27
	global_load_b64 v[25:26], v25, s[20:21]
.LBB127_27:
	s_or_b32 exec_lo, exec_lo, s5
	v_or_b32_e32 v29, 0x680, v0
	s_mov_b32 s5, exec_lo
                                        ; implicit-def: $vgpr27_vgpr28
	s_delay_alu instid0(VALU_DEP_1)
	v_cmpx_gt_u32_e64 s25, v29
	s_cbranch_execz .LBB127_29
; %bb.28:
	v_lshlrev_b32_e32 v27, 3, v29
	global_load_b64 v[27:28], v27, s[20:21]
.LBB127_29:
	s_or_b32 exec_lo, exec_lo, s5
	v_or_b32_e32 v31, 0x700, v0
	s_mov_b32 s5, exec_lo
                                        ; implicit-def: $vgpr29_vgpr30
	s_delay_alu instid0(VALU_DEP_1)
	v_cmpx_gt_u32_e64 s25, v31
	s_cbranch_execz .LBB127_31
; %bb.30:
	v_lshlrev_b32_e32 v29, 3, v31
	global_load_b64 v[29:30], v29, s[20:21]
.LBB127_31:
	s_or_b32 exec_lo, exec_lo, s5
	v_or_b32_e32 v33, 0x780, v0
	s_mov_b32 s5, exec_lo
                                        ; implicit-def: $vgpr31_vgpr32
	s_delay_alu instid0(VALU_DEP_1)
	v_cmpx_gt_u32_e64 s25, v33
	s_cbranch_execz .LBB127_33
; %bb.32:
	v_lshlrev_b32_e32 v31, 3, v33
	global_load_b64 v[31:32], v31, s[20:21]
.LBB127_33:
	s_or_b32 exec_lo, exec_lo, s5
	v_or_b32_e32 v35, 0x800, v0
	s_mov_b32 s5, exec_lo
                                        ; implicit-def: $vgpr33_vgpr34
	s_delay_alu instid0(VALU_DEP_1)
	v_cmpx_gt_u32_e64 s25, v35
	s_cbranch_execz .LBB127_35
; %bb.34:
	v_lshlrev_b32_e32 v33, 3, v35
	global_load_b64 v[33:34], v33, s[20:21]
.LBB127_35:
	s_or_b32 exec_lo, exec_lo, s5
	v_or_b32_e32 v37, 0x880, v0
	s_mov_b32 s5, exec_lo
                                        ; implicit-def: $vgpr35_vgpr36
	s_delay_alu instid0(VALU_DEP_1)
	v_cmpx_gt_u32_e64 s25, v37
	s_cbranch_execz .LBB127_37
; %bb.36:
	v_lshlrev_b32_e32 v35, 3, v37
	global_load_b64 v[35:36], v35, s[20:21]
.LBB127_37:
	s_or_b32 exec_lo, exec_lo, s5
	v_or_b32_e32 v39, 0x900, v0
	s_mov_b32 s5, exec_lo
                                        ; implicit-def: $vgpr37_vgpr38
	s_delay_alu instid0(VALU_DEP_1)
	v_cmpx_gt_u32_e64 s25, v39
	s_cbranch_execz .LBB127_39
; %bb.38:
	v_lshlrev_b32_e32 v37, 3, v39
	global_load_b64 v[37:38], v37, s[20:21]
.LBB127_39:
	s_or_b32 exec_lo, exec_lo, s5
	v_or_b32_e32 v41, 0x980, v0
	s_mov_b32 s5, exec_lo
                                        ; implicit-def: $vgpr39_vgpr40
	s_delay_alu instid0(VALU_DEP_1)
	v_cmpx_gt_u32_e64 s25, v41
	s_cbranch_execz .LBB127_41
; %bb.40:
	v_lshlrev_b32_e32 v39, 3, v41
	global_load_b64 v[39:40], v39, s[20:21]
.LBB127_41:
	s_or_b32 exec_lo, exec_lo, s5
	v_or_b32_e32 v43, 0xa00, v0
	s_mov_b32 s5, exec_lo
                                        ; implicit-def: $vgpr41_vgpr42
	s_delay_alu instid0(VALU_DEP_1)
	v_cmpx_gt_u32_e64 s25, v43
	s_cbranch_execz .LBB127_43
; %bb.42:
	v_lshlrev_b32_e32 v41, 3, v43
	global_load_b64 v[41:42], v41, s[20:21]
.LBB127_43:
	s_or_b32 exec_lo, exec_lo, s5
	v_or_b32_e32 v45, 0xa80, v0
	s_mov_b32 s5, exec_lo
                                        ; implicit-def: $vgpr43_vgpr44
	s_delay_alu instid0(VALU_DEP_1)
	v_cmpx_gt_u32_e64 s25, v45
	s_cbranch_execz .LBB127_45
; %bb.44:
	v_lshlrev_b32_e32 v43, 3, v45
	global_load_b64 v[43:44], v43, s[20:21]
.LBB127_45:
	s_or_b32 exec_lo, exec_lo, s5
	v_or_b32_e32 v47, 0xb00, v0
	s_mov_b32 s5, exec_lo
                                        ; implicit-def: $vgpr45_vgpr46
	s_delay_alu instid0(VALU_DEP_1)
	v_cmpx_gt_u32_e64 s25, v47
	s_cbranch_execz .LBB127_47
; %bb.46:
	v_lshlrev_b32_e32 v45, 3, v47
	global_load_b64 v[45:46], v45, s[20:21]
.LBB127_47:
	s_or_b32 exec_lo, exec_lo, s5
	v_or_b32_e32 v49, 0xb80, v0
	s_mov_b32 s5, exec_lo
                                        ; implicit-def: $vgpr47_vgpr48
	s_delay_alu instid0(VALU_DEP_1)
	v_cmpx_gt_u32_e64 s25, v49
	s_cbranch_execz .LBB127_49
; %bb.48:
	v_lshlrev_b32_e32 v47, 3, v49
	global_load_b64 v[47:48], v47, s[20:21]
.LBB127_49:
	s_or_b32 exec_lo, exec_lo, s5
	v_or_b32_e32 v51, 0xc00, v0
	s_mov_b32 s5, exec_lo
                                        ; implicit-def: $vgpr49_vgpr50
	s_delay_alu instid0(VALU_DEP_1)
	v_cmpx_gt_u32_e64 s25, v51
	s_cbranch_execz .LBB127_51
; %bb.50:
	v_lshlrev_b32_e32 v49, 3, v51
	global_load_b64 v[49:50], v49, s[20:21]
.LBB127_51:
	s_or_b32 exec_lo, exec_lo, s5
	v_or_b32_e32 v53, 0xc80, v0
	s_mov_b32 s5, exec_lo
                                        ; implicit-def: $vgpr51_vgpr52
	s_delay_alu instid0(VALU_DEP_1)
	v_cmpx_gt_u32_e64 s25, v53
	s_cbranch_execz .LBB127_53
; %bb.52:
	v_lshlrev_b32_e32 v51, 3, v53
	global_load_b64 v[51:52], v51, s[20:21]
.LBB127_53:
	s_or_b32 exec_lo, exec_lo, s5
	v_or_b32_e32 v55, 0xd00, v0
	s_mov_b32 s5, exec_lo
                                        ; implicit-def: $vgpr53_vgpr54
	s_delay_alu instid0(VALU_DEP_1)
	v_cmpx_gt_u32_e64 s25, v55
	s_cbranch_execz .LBB127_55
; %bb.54:
	v_lshlrev_b32_e32 v53, 3, v55
	global_load_b64 v[53:54], v53, s[20:21]
.LBB127_55:
	s_or_b32 exec_lo, exec_lo, s5
	v_or_b32_e32 v57, 0xd80, v0
	s_mov_b32 s5, exec_lo
                                        ; implicit-def: $vgpr55_vgpr56
	s_delay_alu instid0(VALU_DEP_1)
	v_cmpx_gt_u32_e64 s25, v57
	s_cbranch_execz .LBB127_57
; %bb.56:
	v_lshlrev_b32_e32 v55, 3, v57
	global_load_b64 v[55:56], v55, s[20:21]
.LBB127_57:
	s_or_b32 exec_lo, exec_lo, s5
	v_or_b32_e32 v59, 0xe00, v0
	s_mov_b32 s5, exec_lo
                                        ; implicit-def: $vgpr57_vgpr58
	s_delay_alu instid0(VALU_DEP_1)
	v_cmpx_gt_u32_e64 s25, v59
	s_cbranch_execz .LBB127_59
; %bb.58:
	v_lshlrev_b32_e32 v57, 3, v59
	global_load_b64 v[57:58], v57, s[20:21]
.LBB127_59:
	s_or_b32 exec_lo, exec_lo, s5
	v_lshlrev_b32_e32 v59, 3, v0
	s_mov_b32 s5, 0
	s_waitcnt vmcnt(0)
	ds_store_2addr_stride64_b64 v59, v[1:2], v[3:4] offset1:2
	ds_store_2addr_stride64_b64 v59, v[5:6], v[7:8] offset0:4 offset1:6
	ds_store_2addr_stride64_b64 v59, v[9:10], v[11:12] offset0:8 offset1:10
	;; [unrolled: 1-line block ×13, first 2 shown]
	ds_store_b64 v59, v[57:58] offset:28672
	s_waitcnt lgkmcnt(0)
	s_barrier
.LBB127_60:
	v_lshlrev_b32_e32 v117, 3, v0
	s_and_b32 vcc_lo, exec_lo, s5
	s_cbranch_vccz .LBB127_62
; %bb.61:
	s_mov_b32 s5, 0
	s_delay_alu instid0(SALU_CYCLE_1) | instskip(NEXT) | instid1(SALU_CYCLE_1)
	s_lshl_b64 s[20:21], s[4:5], 3
	s_add_u32 s20, s23, s20
	s_addc_u32 s21, s24, s21
	v_add_co_u32 v49, s5, s20, v117
	s_delay_alu instid0(VALU_DEP_1)
	v_add_co_ci_u32_e64 v50, null, s21, 0, s5
	s_clause 0x3
	global_load_b64 v[1:2], v117, s[20:21]
	global_load_b64 v[3:4], v117, s[20:21] offset:1024
	global_load_b64 v[5:6], v117, s[20:21] offset:2048
	;; [unrolled: 1-line block ×3, first 2 shown]
	v_add_co_u32 v9, vcc_lo, 0x1000, v49
	v_add_co_ci_u32_e32 v10, vcc_lo, 0, v50, vcc_lo
	v_add_co_u32 v11, vcc_lo, v49, 0x2000
	v_add_co_ci_u32_e32 v12, vcc_lo, 0, v50, vcc_lo
	;; [unrolled: 2-line block ×10, first 2 shown]
	s_clause 0x18
	global_load_b64 v[15:16], v[11:12], off offset:-4096
	global_load_b64 v[17:18], v[9:10], off offset:1024
	global_load_b64 v[19:20], v[9:10], off offset:2048
	;; [unrolled: 1-line block ×12, first 2 shown]
	global_load_b64 v[11:12], v[11:12], off
	global_load_b64 v[43:44], v[25:26], off offset:-4096
	global_load_b64 v[25:26], v[25:26], off
	global_load_b64 v[45:46], v[39:40], off offset:-4096
	global_load_b64 v[39:40], v[39:40], off
	global_load_b64 v[51:52], v[41:42], off offset:1024
	global_load_b64 v[53:54], v[41:42], off offset:2048
	;; [unrolled: 1-line block ×6, first 2 shown]
	global_load_b64 v[49:50], v[49:50], off
	s_waitcnt vmcnt(27)
	ds_store_2addr_stride64_b64 v117, v[1:2], v[3:4] offset1:2
	s_waitcnt vmcnt(25)
	ds_store_2addr_stride64_b64 v117, v[5:6], v[7:8] offset0:4 offset1:6
	s_waitcnt vmcnt(23)
	ds_store_2addr_stride64_b64 v117, v[15:16], v[17:18] offset0:8 offset1:10
	;; [unrolled: 2-line block ×4, first 2 shown]
	ds_store_2addr_stride64_b64 v117, v[29:30], v[13:14] offset0:20 offset1:22
	s_waitcnt vmcnt(10)
	ds_store_2addr_stride64_b64 v117, v[43:44], v[31:32] offset0:24 offset1:26
	ds_store_2addr_stride64_b64 v117, v[33:34], v[23:24] offset0:28 offset1:30
	s_waitcnt vmcnt(9)
	ds_store_2addr_stride64_b64 v117, v[25:26], v[35:36] offset0:32 offset1:34
	ds_store_2addr_stride64_b64 v117, v[37:38], v[27:28] offset0:36 offset1:38
	s_waitcnt vmcnt(6)
	ds_store_2addr_stride64_b64 v117, v[45:46], v[51:52] offset0:40 offset1:42
	s_waitcnt vmcnt(4)
	ds_store_2addr_stride64_b64 v117, v[53:54], v[41:42] offset0:44 offset1:46
	s_waitcnt vmcnt(3)
	ds_store_2addr_stride64_b64 v117, v[39:40], v[55:56] offset0:48 offset1:50
	s_waitcnt vmcnt(1)
	ds_store_2addr_stride64_b64 v117, v[57:58], v[47:48] offset0:52 offset1:54
	s_waitcnt vmcnt(0)
	ds_store_b64 v117, v[49:50] offset:28672
	s_waitcnt lgkmcnt(0)
	s_barrier
.LBB127_62:
	v_mul_u32_u24_e32 v1, 29, v0
	buffer_gl0_inv
	s_cmp_eq_u64 s[14:15], 0
	v_lshlrev_b32_e32 v53, 3, v1
	ds_load_b64 v[57:58], v53 offset:224
	ds_load_2addr_b64 v[1:4], v53 offset0:26 offset1:27
	ds_load_2addr_b64 v[5:8], v53 offset0:24 offset1:25
	ds_load_2addr_b64 v[9:12], v53 offset1:1
	ds_load_2addr_b64 v[13:16], v53 offset0:2 offset1:3
	ds_load_2addr_b64 v[17:20], v53 offset0:4 offset1:5
	ds_load_2addr_b64 v[21:24], v53 offset0:6 offset1:7
	ds_load_2addr_b64 v[25:28], v53 offset0:8 offset1:9
	ds_load_2addr_b64 v[29:32], v53 offset0:10 offset1:11
	ds_load_2addr_b64 v[33:36], v53 offset0:12 offset1:13
	ds_load_2addr_b64 v[37:40], v53 offset0:14 offset1:15
	ds_load_2addr_b64 v[41:44], v53 offset0:16 offset1:17
	ds_load_2addr_b64 v[45:48], v53 offset0:18 offset1:19
	ds_load_2addr_b64 v[49:52], v53 offset0:20 offset1:21
	ds_load_2addr_b64 v[53:56], v53 offset0:22 offset1:23
	s_waitcnt lgkmcnt(0)
	s_barrier
	buffer_gl0_inv
	s_cbranch_scc1 .LBB127_67
; %bb.63:
	s_lshl_b64 s[2:3], s[2:3], 3
	s_delay_alu instid0(SALU_CYCLE_1) | instskip(SKIP_2) | instid1(SALU_CYCLE_1)
	s_add_u32 s2, s0, s2
	s_addc_u32 s3, s1, s3
	s_lshl_b64 s[0:1], s[16:17], 3
	s_add_u32 s0, s2, s0
	s_addc_u32 s1, s3, s1
	s_add_u32 s0, s0, -8
	s_addc_u32 s1, s1, -1
	s_cmp_eq_u64 s[14:15], s[18:19]
	s_load_b64 s[0:1], s[0:1], 0x0
	s_cbranch_scc1 .LBB127_68
; %bb.64:
	s_waitcnt lgkmcnt(0)
	v_dual_mov_b32 v60, s1 :: v_dual_mov_b32 v59, s0
	s_mov_b32 s2, 0
	s_mov_b32 s3, exec_lo
	ds_store_b64 v117, v[57:58]
	s_waitcnt lgkmcnt(0)
	s_barrier
	buffer_gl0_inv
	v_cmpx_ne_u32_e32 0, v0
	s_cbranch_execz .LBB127_66
; %bb.65:
	v_add_nc_u32_e32 v59, -8, v117
	ds_load_b64 v[59:60], v59
.LBB127_66:
	s_or_b32 exec_lo, exec_lo, s3
	s_waitcnt lgkmcnt(0)
	v_sub_co_u32 v59, vcc_lo, v9, v59
	v_sub_co_ci_u32_e32 v60, vcc_lo, v10, v60, vcc_lo
	s_branch .LBB127_69
.LBB127_67:
                                        ; implicit-def: $vgpr59_vgpr60
                                        ; implicit-def: $vgpr115_vgpr116
                                        ; implicit-def: $vgpr109_vgpr110
                                        ; implicit-def: $vgpr113_vgpr114
                                        ; implicit-def: $vgpr103_vgpr104
                                        ; implicit-def: $vgpr111_vgpr112
                                        ; implicit-def: $vgpr99_vgpr100
                                        ; implicit-def: $vgpr107_vgpr108
                                        ; implicit-def: $vgpr97_vgpr98
                                        ; implicit-def: $vgpr105_vgpr106
                                        ; implicit-def: $vgpr95_vgpr96
                                        ; implicit-def: $vgpr101_vgpr102
                                        ; implicit-def: $vgpr93_vgpr94
                                        ; implicit-def: $vgpr91_vgpr92
                                        ; implicit-def: $vgpr89_vgpr90
                                        ; implicit-def: $vgpr87_vgpr88
                                        ; implicit-def: $vgpr85_vgpr86
                                        ; implicit-def: $vgpr83_vgpr84
                                        ; implicit-def: $vgpr81_vgpr82
                                        ; implicit-def: $vgpr79_vgpr80
                                        ; implicit-def: $vgpr77_vgpr78
                                        ; implicit-def: $vgpr75_vgpr76
                                        ; implicit-def: $vgpr73_vgpr74
                                        ; implicit-def: $vgpr71_vgpr72
                                        ; implicit-def: $vgpr69_vgpr70
                                        ; implicit-def: $vgpr67_vgpr68
                                        ; implicit-def: $vgpr65_vgpr66
                                        ; implicit-def: $vgpr63_vgpr64
                                        ; implicit-def: $vgpr61_vgpr62
	s_branch .LBB127_74
.LBB127_68:
	s_mov_b32 s2, -1
                                        ; implicit-def: $vgpr59_vgpr60
.LBB127_69:
	v_dual_mov_b32 v116, v10 :: v_dual_mov_b32 v115, v9
	v_dual_mov_b32 v110, v12 :: v_dual_mov_b32 v109, v11
	;; [unrolled: 1-line block ×28, first 2 shown]
	s_and_b32 vcc_lo, exec_lo, s2
	s_cbranch_vccz .LBB127_73
; %bb.70:
	v_mul_u32_u24_e32 v109, 29, v0
	s_waitcnt lgkmcnt(0)
	v_dual_mov_b32 v60, s1 :: v_dual_mov_b32 v59, s0
	s_mov_b32 s0, exec_lo
	ds_store_b64 v117, v[57:58]
	s_waitcnt lgkmcnt(0)
	s_barrier
	buffer_gl0_inv
	v_cmpx_ne_u32_e32 0, v0
	s_cbranch_execz .LBB127_72
; %bb.71:
	v_add_nc_u32_e32 v59, -8, v117
	ds_load_b64 v[59:60], v59
.LBB127_72:
	s_or_b32 exec_lo, exec_lo, s0
	v_add_nc_u32_e32 v61, 28, v109
	s_mul_i32 s1, s14, 0xfffff180
	v_add_nc_u32_e32 v63, 26, v109
	s_add_i32 s1, s1, s10
	v_add_nc_u32_e32 v65, 25, v109
	v_cmp_gt_u32_e32 vcc_lo, s1, v61
	v_add_nc_u32_e32 v62, 27, v109
	v_add_nc_u32_e32 v67, 24, v109
	;; [unrolled: 1-line block ×4, first 2 shown]
	v_cndmask_b32_e32 v61, 0, v3, vcc_lo
	v_cmp_gt_u32_e64 s0, s1, v62
	v_cndmask_b32_e32 v62, 0, v4, vcc_lo
	v_cmp_gt_u32_e32 vcc_lo, s1, v63
	v_add_nc_u32_e32 v73, 21, v109
	v_add_nc_u32_e32 v75, 20, v109
	v_cndmask_b32_e64 v64, 0, v2, s0
	v_cndmask_b32_e64 v63, 0, v1, s0
	v_cndmask_b32_e32 v66, 0, v8, vcc_lo
	v_cmp_gt_u32_e64 s0, s1, v65
	v_cndmask_b32_e32 v65, 0, v7, vcc_lo
	v_cmp_gt_u32_e32 vcc_lo, s1, v67
	v_add_nc_u32_e32 v77, 19, v109
	v_add_nc_u32_e32 v79, 18, v109
	v_cndmask_b32_e64 v68, 0, v6, s0
	v_cndmask_b32_e64 v67, 0, v5, s0
	;; [unrolled: 8-line block ×3, first 2 shown]
	v_cndmask_b32_e32 v74, 0, v52, vcc_lo
	v_cmp_gt_u32_e64 s0, s1, v73
	v_dual_cndmask_b32 v73, 0, v51 :: v_dual_add_nc_u32 v98, 8, v109
	v_cmp_gt_u32_e32 vcc_lo, s1, v75
	v_add_nc_u32_e32 v85, 15, v109
	s_delay_alu instid0(VALU_DEP_4)
	v_cndmask_b32_e64 v76, 0, v50, s0
	v_cndmask_b32_e64 v75, 0, v49, s0
	v_cmp_gt_u32_e64 s0, s1, v77
	v_dual_cndmask_b32 v78, 0, v48 :: v_dual_cndmask_b32 v77, 0, v47
	v_add_nc_u32_e32 v104, 4, v109
	v_cmp_gt_u32_e32 vcc_lo, s1, v79
	s_delay_alu instid0(VALU_DEP_4)
	v_cndmask_b32_e64 v80, 0, v46, s0
	v_cndmask_b32_e64 v79, 0, v45, s0
	v_cmp_gt_u32_e64 s0, s1, v81
	v_dual_cndmask_b32 v82, 0, v44 :: v_dual_add_nc_u32 v87, 14, v109
	v_dual_cndmask_b32 v81, 0, v43 :: v_dual_add_nc_u32 v110, 2, v109
	v_cmp_gt_u32_e32 vcc_lo, s1, v83
	s_delay_alu instid0(VALU_DEP_4)
	v_cndmask_b32_e64 v84, 0, v42, s0
	v_cndmask_b32_e64 v83, 0, v41, s0
	v_cmp_gt_u32_e64 s0, s1, v85
	v_dual_cndmask_b32 v86, 0, v40 :: v_dual_add_nc_u32 v89, 13, v109
	v_cndmask_b32_e32 v85, 0, v39, vcc_lo
	v_cmp_gt_u32_e32 vcc_lo, s1, v87
	v_add_nc_u32_e32 v91, 12, v109
	v_cndmask_b32_e64 v88, 0, v38, s0
	v_cndmask_b32_e64 v87, 0, v37, s0
	v_cmp_gt_u32_e64 s0, s1, v89
	v_dual_cndmask_b32 v90, 0, v36 :: v_dual_cndmask_b32 v89, 0, v35
	v_add_nc_u32_e32 v93, 11, v109
	v_cmp_gt_u32_e32 vcc_lo, s1, v91
	v_add_nc_u32_e32 v95, 10, v109
	v_cndmask_b32_e64 v92, 0, v34, s0
	v_cndmask_b32_e64 v91, 0, v33, s0
	v_cmp_gt_u32_e64 s0, s1, v93
	v_dual_cndmask_b32 v94, 0, v32 :: v_dual_cndmask_b32 v93, 0, v31
	v_add_nc_u32_e32 v97, 9, v109
	v_cmp_gt_u32_e32 vcc_lo, s1, v95
	s_delay_alu instid0(VALU_DEP_4)
	v_cndmask_b32_e64 v102, 0, v30, s0
	v_cndmask_b32_e64 v101, 0, v29, s0
	v_add_nc_u32_e32 v99, 6, v109
	v_cmp_gt_u32_e64 s0, s1, v97
	v_dual_cndmask_b32 v96, 0, v28 :: v_dual_cndmask_b32 v95, 0, v27
	v_add_nc_u32_e32 v97, 7, v109
	v_cmp_gt_u32_e32 vcc_lo, s1, v98
	s_delay_alu instid0(VALU_DEP_4)
	v_cndmask_b32_e64 v106, 0, v26, s0
	v_cndmask_b32_e64 v105, 0, v25, s0
	v_add_nc_u32_e32 v103, 5, v109
	v_cmp_gt_u32_e64 s0, s1, v97
	v_dual_cndmask_b32 v98, 0, v24 :: v_dual_cndmask_b32 v97, 0, v23
	v_cmp_gt_u32_e32 vcc_lo, s1, v99
	v_add_nc_u32_e32 v115, 1, v109
	s_delay_alu instid0(VALU_DEP_4)
	v_cndmask_b32_e64 v108, 0, v22, s0
	v_cndmask_b32_e64 v107, 0, v21, s0
	v_cmp_gt_u32_e64 s0, s1, v103
	v_dual_cndmask_b32 v100, 0, v20 :: v_dual_cndmask_b32 v99, 0, v19
	v_add_nc_u32_e32 v103, 3, v109
	v_cmp_gt_u32_e32 vcc_lo, s1, v104
	s_delay_alu instid0(VALU_DEP_4) | instskip(SKIP_1) | instid1(VALU_DEP_4)
	v_cndmask_b32_e64 v112, 0, v18, s0
	v_cndmask_b32_e64 v111, 0, v17, s0
	v_cmp_gt_u32_e64 s0, s1, v103
	v_dual_cndmask_b32 v104, 0, v16 :: v_dual_cndmask_b32 v103, 0, v15
	v_cmp_gt_u32_e32 vcc_lo, s1, v109
	s_delay_alu instid0(VALU_DEP_3)
	v_cndmask_b32_e64 v114, 0, v14, s0
	v_cndmask_b32_e64 v113, 0, v13, s0
	v_cmp_gt_u32_e64 s0, s1, v110
	s_waitcnt lgkmcnt(0)
	v_cndmask_b32_e32 v59, 0, v59, vcc_lo
	v_cmp_gt_u32_e64 s1, s1, v115
	v_cndmask_b32_e32 v60, 0, v60, vcc_lo
	v_cndmask_b32_e64 v110, 0, v12, s0
	s_delay_alu instid0(VALU_DEP_4)
	v_sub_co_u32 v59, vcc_lo, v9, v59
	v_cndmask_b32_e64 v109, 0, v11, s0
	v_cndmask_b32_e64 v116, 0, v10, s1
	;; [unrolled: 1-line block ×3, first 2 shown]
	v_sub_co_ci_u32_e32 v60, vcc_lo, v10, v60, vcc_lo
.LBB127_73:
	s_waitcnt lgkmcnt(0)
	s_cbranch_execnz .LBB127_84
.LBB127_74:
	v_cmp_ne_u32_e32 vcc_lo, 0, v0
	s_cmp_eq_u64 s[12:13], 1
	s_cbranch_scc1 .LBB127_78
; %bb.75:
	v_dual_mov_b32 v60, v10 :: v_dual_mov_b32 v59, v9
	s_mov_b32 s0, 0
	ds_store_b64 v117, v[57:58]
	s_waitcnt lgkmcnt(0)
	s_barrier
	buffer_gl0_inv
	s_and_saveexec_b32 s1, vcc_lo
	s_cbranch_execz .LBB127_77
; %bb.76:
	v_add_nc_u32_e32 v59, -8, v117
	ds_load_b64 v[59:60], v59
	s_waitcnt lgkmcnt(0)
	v_sub_co_u32 v59, vcc_lo, v9, v59
	v_sub_co_ci_u32_e32 v60, vcc_lo, v10, v60, vcc_lo
.LBB127_77:
	s_or_b32 exec_lo, exec_lo, s1
	s_branch .LBB127_79
.LBB127_78:
	s_mov_b32 s0, -1
                                        ; implicit-def: $vgpr59_vgpr60
.LBB127_79:
	v_dual_mov_b32 v110, v12 :: v_dual_mov_b32 v109, v11
	v_dual_mov_b32 v114, v14 :: v_dual_mov_b32 v113, v13
	;; [unrolled: 1-line block ×27, first 2 shown]
	s_and_not1_b32 vcc_lo, exec_lo, s0
	s_cbranch_vccnz .LBB127_83
; %bb.80:
	v_mad_u32_u24 v59, v0, 29, 28
	v_mad_u32_u24 v60, v0, 29, 27
	;; [unrolled: 1-line block ×3, first 2 shown]
	v_mul_u32_u24_e32 v115, 29, v0
	ds_store_b64 v117, v[57:58]
	v_cmp_gt_u32_e32 vcc_lo, s10, v59
	v_mad_u32_u24 v59, v0, 29, 25
	v_cmp_gt_u32_e64 s0, s10, v60
	v_mad_u32_u24 v60, v0, 29, 24
	v_cmp_gt_u32_e64 s1, s10, v115
	v_dual_cndmask_b32 v62, 0, v4 :: v_dual_cndmask_b32 v61, 0, v3
	v_cmp_gt_u32_e32 vcc_lo, s10, v63
	v_cndmask_b32_e64 v64, 0, v2, s0
	v_cndmask_b32_e64 v63, 0, v1, s0
	v_cmp_gt_u32_e64 s0, s10, v59
	v_mad_u32_u24 v59, v0, 29, 23
	v_dual_cndmask_b32 v66, 0, v8 :: v_dual_cndmask_b32 v65, 0, v7
	v_cmp_gt_u32_e32 vcc_lo, s10, v60
	v_mad_u32_u24 v60, v0, 29, 22
	v_cndmask_b32_e64 v68, 0, v6, s0
	v_cndmask_b32_e64 v67, 0, v5, s0
	v_cmp_gt_u32_e64 s0, s10, v59
	v_mad_u32_u24 v59, v0, 29, 21
	v_dual_cndmask_b32 v70, 0, v56 :: v_dual_cndmask_b32 v69, 0, v55
	v_cmp_gt_u32_e32 vcc_lo, s10, v60
	v_mad_u32_u24 v60, v0, 29, 20
	;; [unrolled: 7-line block ×11, first 2 shown]
	v_cndmask_b32_e64 v112, 0, v18, s0
	v_cndmask_b32_e64 v111, 0, v17, s0
	v_cmp_gt_u32_e64 s0, s10, v59
	v_mad_u32_u24 v59, v0, 29, 1
	v_dual_cndmask_b32 v104, 0, v16 :: v_dual_cndmask_b32 v103, 0, v15
	v_cmp_gt_u32_e32 vcc_lo, s10, v60
	s_delay_alu instid0(VALU_DEP_4)
	v_cndmask_b32_e64 v114, 0, v14, s0
	v_cndmask_b32_e64 v113, 0, v13, s0
	v_cmp_gt_u32_e64 s0, s10, v59
	s_waitcnt lgkmcnt(0)
	v_dual_cndmask_b32 v110, 0, v12 :: v_dual_cndmask_b32 v109, 0, v11
	v_cmp_ne_u32_e32 vcc_lo, 0, v0
	s_delay_alu instid0(VALU_DEP_3) | instskip(SKIP_4) | instid1(SALU_CYCLE_1)
	v_cndmask_b32_e64 v116, 0, v10, s0
	v_cndmask_b32_e64 v115, 0, v9, s0
	s_barrier
	buffer_gl0_inv
	s_and_b32 s1, vcc_lo, s1
	s_and_saveexec_b32 s0, s1
	s_cbranch_execz .LBB127_82
; %bb.81:
	v_add_nc_u32_e32 v59, -8, v117
	ds_load_b64 v[59:60], v59
	s_waitcnt lgkmcnt(0)
	v_sub_co_u32 v9, vcc_lo, v9, v59
	v_sub_co_ci_u32_e32 v10, vcc_lo, v10, v60, vcc_lo
.LBB127_82:
	s_or_b32 exec_lo, exec_lo, s0
	s_delay_alu instid0(VALU_DEP_1)
	v_dual_mov_b32 v60, v10 :: v_dual_mov_b32 v59, v9
	v_dual_mov_b32 v9, v115 :: v_dual_mov_b32 v10, v116
.LBB127_83:
	s_delay_alu instid0(VALU_DEP_1)
	v_dual_mov_b32 v116, v10 :: v_dual_mov_b32 v115, v9
.LBB127_84:
	s_delay_alu instid0(VALU_DEP_1) | instskip(NEXT) | instid1(VALU_DEP_2)
	v_sub_co_u32 v115, vcc_lo, v11, v115
	v_sub_co_ci_u32_e32 v116, vcc_lo, v12, v116, vcc_lo
	v_sub_co_u32 v109, vcc_lo, v13, v109
	v_sub_co_ci_u32_e32 v110, vcc_lo, v14, v110, vcc_lo
	;; [unrolled: 2-line block ×28, first 2 shown]
	v_mul_u32_u24_e32 v118, 0xe8, v0
	v_mul_i32_i24_e32 v119, 0xffffff20, v0
	s_add_u32 s1, s8, s6
	s_addc_u32 s0, s9, s7
	s_and_b32 vcc_lo, exec_lo, s22
	s_barrier
	buffer_gl0_inv
	s_cbranch_vccz .LBB127_142
; %bb.85:
	v_mad_u32_u24 v1, 0xe8, v0, v119
	ds_store_2addr_b64 v118, v[59:60], v[115:116] offset1:1
	ds_store_2addr_b64 v118, v[109:110], v[113:114] offset0:2 offset1:3
	ds_store_2addr_b64 v118, v[103:104], v[111:112] offset0:4 offset1:5
	ds_store_2addr_b64 v118, v[99:100], v[107:108] offset0:6 offset1:7
	ds_store_2addr_b64 v118, v[97:98], v[105:106] offset0:8 offset1:9
	ds_store_2addr_b64 v118, v[95:96], v[101:102] offset0:10 offset1:11
	ds_store_2addr_b64 v118, v[93:94], v[91:92] offset0:12 offset1:13
	ds_store_2addr_b64 v118, v[89:90], v[87:88] offset0:14 offset1:15
	ds_store_2addr_b64 v118, v[85:86], v[83:84] offset0:16 offset1:17
	ds_store_2addr_b64 v118, v[81:82], v[79:80] offset0:18 offset1:19
	ds_store_2addr_b64 v118, v[77:78], v[75:76] offset0:20 offset1:21
	ds_store_2addr_b64 v118, v[73:74], v[71:72] offset0:22 offset1:23
	ds_store_2addr_b64 v118, v[69:70], v[67:68] offset0:24 offset1:25
	ds_store_2addr_b64 v118, v[65:66], v[63:64] offset0:26 offset1:27
	ds_store_b64 v118, v[57:58] offset:224
	s_waitcnt lgkmcnt(0)
	s_barrier
	buffer_gl0_inv
	ds_load_2addr_stride64_b64 v[53:56], v1 offset0:2 offset1:4
	ds_load_2addr_stride64_b64 v[49:52], v1 offset0:6 offset1:8
	;; [unrolled: 1-line block ×14, first 2 shown]
	s_mov_b32 s5, 0
	s_add_i32 s11, s11, s10
	s_lshl_b64 s[2:3], s[4:5], 3
	s_delay_alu instid0(SALU_CYCLE_1) | instskip(SKIP_2) | instid1(VALU_DEP_1)
	s_add_u32 s2, s1, s2
	s_addc_u32 s3, s0, s3
	v_add_co_u32 v61, s2, s2, v117
	v_add_co_ci_u32_e64 v62, null, s3, 0, s2
	s_mov_b32 s2, exec_lo
	v_cmpx_gt_u32_e64 s11, v0
	s_cbranch_execz .LBB127_87
; %bb.86:
	v_add_nc_u32_e32 v120, v118, v119
	ds_load_b64 v[120:121], v120
	s_waitcnt lgkmcnt(0)
	global_store_b64 v[61:62], v[120:121], off
.LBB127_87:
	s_or_b32 exec_lo, exec_lo, s2
	v_or_b32_e32 v120, 0x80, v0
	s_mov_b32 s2, exec_lo
	s_delay_alu instid0(VALU_DEP_1)
	v_cmpx_gt_u32_e64 s11, v120
	s_cbranch_execz .LBB127_89
; %bb.88:
	s_waitcnt lgkmcnt(13)
	global_store_b64 v[61:62], v[53:54], off offset:1024
.LBB127_89:
	s_or_b32 exec_lo, exec_lo, s2
	s_waitcnt lgkmcnt(13)
	v_or_b32_e32 v53, 0x100, v0
	s_mov_b32 s2, exec_lo
	s_delay_alu instid0(VALU_DEP_1)
	v_cmpx_gt_u32_e64 s11, v53
	s_cbranch_execz .LBB127_91
; %bb.90:
	global_store_b64 v[61:62], v[55:56], off offset:2048
.LBB127_91:
	s_or_b32 exec_lo, exec_lo, s2
	v_or_b32_e32 v53, 0x180, v0
	s_mov_b32 s2, exec_lo
	s_delay_alu instid0(VALU_DEP_1)
	v_cmpx_gt_u32_e64 s11, v53
	s_cbranch_execz .LBB127_93
; %bb.92:
	s_waitcnt lgkmcnt(12)
	global_store_b64 v[61:62], v[49:50], off offset:3072
.LBB127_93:
	s_or_b32 exec_lo, exec_lo, s2
	s_waitcnt lgkmcnt(12)
	v_or_b32_e32 v49, 0x200, v0
	s_mov_b32 s2, exec_lo
	s_delay_alu instid0(VALU_DEP_1)
	v_cmpx_gt_u32_e64 s11, v49
	s_cbranch_execz .LBB127_95
; %bb.94:
	v_add_co_u32 v49, vcc_lo, 0x1000, v61
	v_add_co_ci_u32_e32 v50, vcc_lo, 0, v62, vcc_lo
	global_store_b64 v[49:50], v[51:52], off
.LBB127_95:
	s_or_b32 exec_lo, exec_lo, s2
	v_or_b32_e32 v49, 0x280, v0
	s_mov_b32 s2, exec_lo
	s_delay_alu instid0(VALU_DEP_1)
	v_cmpx_gt_u32_e64 s11, v49
	s_cbranch_execz .LBB127_97
; %bb.96:
	v_add_co_u32 v49, vcc_lo, 0x1000, v61
	v_add_co_ci_u32_e32 v50, vcc_lo, 0, v62, vcc_lo
	s_waitcnt lgkmcnt(11)
	global_store_b64 v[49:50], v[45:46], off offset:1024
.LBB127_97:
	s_or_b32 exec_lo, exec_lo, s2
	s_waitcnt lgkmcnt(11)
	v_or_b32_e32 v45, 0x300, v0
	s_mov_b32 s2, exec_lo
	s_delay_alu instid0(VALU_DEP_1)
	v_cmpx_gt_u32_e64 s11, v45
	s_cbranch_execz .LBB127_99
; %bb.98:
	v_add_co_u32 v45, vcc_lo, 0x1000, v61
	v_add_co_ci_u32_e32 v46, vcc_lo, 0, v62, vcc_lo
	global_store_b64 v[45:46], v[47:48], off offset:2048
.LBB127_99:
	s_or_b32 exec_lo, exec_lo, s2
	v_or_b32_e32 v45, 0x380, v0
	s_mov_b32 s2, exec_lo
	s_delay_alu instid0(VALU_DEP_1)
	v_cmpx_gt_u32_e64 s11, v45
	s_cbranch_execz .LBB127_101
; %bb.100:
	v_add_co_u32 v45, vcc_lo, 0x1000, v61
	v_add_co_ci_u32_e32 v46, vcc_lo, 0, v62, vcc_lo
	s_waitcnt lgkmcnt(10)
	global_store_b64 v[45:46], v[41:42], off offset:3072
.LBB127_101:
	s_or_b32 exec_lo, exec_lo, s2
	s_waitcnt lgkmcnt(10)
	v_or_b32_e32 v41, 0x400, v0
	s_mov_b32 s2, exec_lo
	s_delay_alu instid0(VALU_DEP_1)
	v_cmpx_gt_u32_e64 s11, v41
	s_cbranch_execz .LBB127_103
; %bb.102:
	v_add_co_u32 v41, vcc_lo, 0x2000, v61
	v_add_co_ci_u32_e32 v42, vcc_lo, 0, v62, vcc_lo
	global_store_b64 v[41:42], v[43:44], off
.LBB127_103:
	s_or_b32 exec_lo, exec_lo, s2
	v_or_b32_e32 v41, 0x480, v0
	s_mov_b32 s2, exec_lo
	s_delay_alu instid0(VALU_DEP_1)
	v_cmpx_gt_u32_e64 s11, v41
	s_cbranch_execz .LBB127_105
; %bb.104:
	v_add_co_u32 v41, vcc_lo, 0x2000, v61
	v_add_co_ci_u32_e32 v42, vcc_lo, 0, v62, vcc_lo
	s_waitcnt lgkmcnt(9)
	global_store_b64 v[41:42], v[37:38], off offset:1024
.LBB127_105:
	s_or_b32 exec_lo, exec_lo, s2
	s_waitcnt lgkmcnt(9)
	v_or_b32_e32 v37, 0x500, v0
	s_mov_b32 s2, exec_lo
	s_delay_alu instid0(VALU_DEP_1)
	v_cmpx_gt_u32_e64 s11, v37
	s_cbranch_execz .LBB127_107
; %bb.106:
	v_add_co_u32 v37, vcc_lo, 0x2000, v61
	v_add_co_ci_u32_e32 v38, vcc_lo, 0, v62, vcc_lo
	global_store_b64 v[37:38], v[39:40], off offset:2048
.LBB127_107:
	s_or_b32 exec_lo, exec_lo, s2
	v_or_b32_e32 v37, 0x580, v0
	s_mov_b32 s2, exec_lo
	s_delay_alu instid0(VALU_DEP_1)
	v_cmpx_gt_u32_e64 s11, v37
	s_cbranch_execz .LBB127_109
; %bb.108:
	v_add_co_u32 v37, vcc_lo, 0x2000, v61
	v_add_co_ci_u32_e32 v38, vcc_lo, 0, v62, vcc_lo
	s_waitcnt lgkmcnt(8)
	global_store_b64 v[37:38], v[33:34], off offset:3072
.LBB127_109:
	;; [unrolled: 48-line block ×6, first 2 shown]
	s_or_b32 exec_lo, exec_lo, s2
	s_waitcnt lgkmcnt(0)
	v_or_b32_e32 v1, 0xe00, v0
	s_delay_alu instid0(VALU_DEP_1)
	v_cmp_gt_u32_e64 s2, s11, v1
	s_branch .LBB127_144
.LBB127_142:
	s_mov_b32 s2, 0
                                        ; implicit-def: $vgpr3_vgpr4
                                        ; implicit-def: $vgpr61_vgpr62
	s_cbranch_execz .LBB127_144
; %bb.143:
	v_mad_u32_u24 v0, 0xe8, v0, v119
	ds_store_2addr_b64 v118, v[59:60], v[115:116] offset1:1
	ds_store_2addr_b64 v118, v[109:110], v[113:114] offset0:2 offset1:3
	ds_store_2addr_b64 v118, v[103:104], v[111:112] offset0:4 offset1:5
	;; [unrolled: 1-line block ×13, first 2 shown]
	ds_store_b64 v118, v[57:58] offset:224
	s_waitcnt lgkmcnt(0)
	s_waitcnt_vscnt null, 0x0
	s_barrier
	buffer_gl0_inv
	ds_load_2addr_stride64_b64 v[5:8], v0 offset1:2
	s_mov_b32 s5, 0
	ds_load_2addr_stride64_b64 v[9:12], v0 offset0:4 offset1:6
	ds_load_2addr_stride64_b64 v[13:16], v0 offset0:8 offset1:10
	ds_load_2addr_stride64_b64 v[17:20], v0 offset0:12 offset1:14
	ds_load_2addr_stride64_b64 v[21:24], v0 offset0:16 offset1:18
	ds_load_2addr_stride64_b64 v[25:28], v0 offset0:20 offset1:22
	ds_load_2addr_stride64_b64 v[29:32], v0 offset0:24 offset1:26
	ds_load_2addr_stride64_b64 v[33:36], v0 offset0:28 offset1:30
	ds_load_2addr_stride64_b64 v[37:40], v0 offset0:32 offset1:34
	ds_load_2addr_stride64_b64 v[41:44], v0 offset0:36 offset1:38
	ds_load_2addr_stride64_b64 v[45:48], v0 offset0:40 offset1:42
	ds_load_2addr_stride64_b64 v[49:52], v0 offset0:44 offset1:46
	ds_load_2addr_stride64_b64 v[53:56], v0 offset0:48 offset1:50
	ds_load_2addr_stride64_b64 v[57:60], v0 offset0:52 offset1:54
	ds_load_b64 v[3:4], v0 offset:28672
	s_lshl_b64 s[4:5], s[4:5], 3
	s_delay_alu instid0(SALU_CYCLE_1) | instskip(SKIP_2) | instid1(VALU_DEP_1)
	s_add_u32 s4, s1, s4
	s_addc_u32 s5, s0, s5
	v_add_co_u32 v61, s0, s4, v117
	v_add_co_ci_u32_e64 v62, null, s5, 0, s0
	s_or_b32 s2, s2, exec_lo
	s_delay_alu instid0(VALU_DEP_2) | instskip(NEXT) | instid1(VALU_DEP_2)
	v_add_co_u32 v0, vcc_lo, 0x1000, v61
	v_add_co_ci_u32_e32 v1, vcc_lo, 0, v62, vcc_lo
	s_waitcnt lgkmcnt(14)
	s_clause 0x1
	global_store_b64 v117, v[5:6], s[4:5]
	global_store_b64 v117, v[7:8], s[4:5] offset:1024
	s_waitcnt lgkmcnt(13)
	s_clause 0x1
	global_store_b64 v117, v[9:10], s[4:5] offset:2048
	global_store_b64 v117, v[11:12], s[4:5] offset:3072
	v_add_co_u32 v5, vcc_lo, v61, 0x2000
	v_add_co_ci_u32_e32 v6, vcc_lo, 0, v62, vcc_lo
	v_add_co_u32 v7, vcc_lo, 0x2000, v61
	v_add_co_ci_u32_e32 v8, vcc_lo, 0, v62, vcc_lo
	s_waitcnt lgkmcnt(10)
	s_clause 0x4
	global_store_b64 v[5:6], v[21:22], off
	global_store_b64 v[0:1], v[15:16], off offset:1024
	global_store_b64 v[0:1], v[17:18], off offset:2048
	;; [unrolled: 1-line block ×4, first 2 shown]
	v_add_co_u32 v0, vcc_lo, 0x3000, v61
	v_add_co_ci_u32_e32 v1, vcc_lo, 0, v62, vcc_lo
	v_add_co_u32 v9, vcc_lo, v61, 0x4000
	v_add_co_ci_u32_e32 v10, vcc_lo, 0, v62, vcc_lo
	;; [unrolled: 2-line block ×3, first 2 shown]
	s_waitcnt lgkmcnt(9)
	s_clause 0x1
	global_store_b64 v[7:8], v[25:26], off offset:2048
	global_store_b64 v[7:8], v[27:28], off offset:3072
	s_waitcnt lgkmcnt(8)
	global_store_b64 v[0:1], v[31:32], off offset:1024
	s_waitcnt lgkmcnt(7)
	s_clause 0x1
	global_store_b64 v[0:1], v[33:34], off offset:2048
	global_store_b64 v[0:1], v[35:36], off offset:3072
	s_waitcnt lgkmcnt(6)
	global_store_b64 v[11:12], v[39:40], off offset:1024
	s_waitcnt lgkmcnt(5)
	s_clause 0x1
	global_store_b64 v[11:12], v[41:42], off offset:2048
	global_store_b64 v[11:12], v[43:44], off offset:3072
	v_add_co_u32 v0, vcc_lo, 0x5000, v61
	v_add_co_ci_u32_e32 v1, vcc_lo, 0, v62, vcc_lo
	v_add_co_u32 v7, vcc_lo, v61, 0x6000
	v_add_co_ci_u32_e32 v8, vcc_lo, 0, v62, vcc_lo
	v_add_co_u32 v11, vcc_lo, 0x6000, v61
	v_add_co_ci_u32_e32 v12, vcc_lo, 0, v62, vcc_lo
	s_clause 0x1
	global_store_b64 v[9:10], v[29:30], off offset:-4096
	global_store_b64 v[9:10], v[37:38], off
	s_waitcnt lgkmcnt(4)
	global_store_b64 v[7:8], v[45:46], off offset:-4096
	s_waitcnt lgkmcnt(2)
	s_clause 0x4
	global_store_b64 v[7:8], v[53:54], off
	global_store_b64 v[0:1], v[47:48], off offset:1024
	global_store_b64 v[0:1], v[49:50], off offset:2048
	;; [unrolled: 1-line block ×4, first 2 shown]
	s_waitcnt lgkmcnt(1)
	s_clause 0x2
	global_store_b64 v[11:12], v[57:58], off offset:2048
	global_store_b64 v[5:6], v[13:14], off offset:-4096
	global_store_b64 v[11:12], v[59:60], off offset:3072
.LBB127_144:
	s_delay_alu instid0(VALU_DEP_1)
	s_and_saveexec_b32 s0, s2
	s_cbranch_execnz .LBB127_146
; %bb.145:
	s_nop 0
	s_sendmsg sendmsg(MSG_DEALLOC_VGPRS)
	s_endpgm
.LBB127_146:
	v_add_co_u32 v0, vcc_lo, 0x7000, v61
	v_add_co_ci_u32_e32 v1, vcc_lo, 0, v62, vcc_lo
	s_waitcnt lgkmcnt(0)
	global_store_b64 v[0:1], v[3:4], off
	s_nop 0
	s_sendmsg sendmsg(MSG_DEALLOC_VGPRS)
	s_endpgm
	.section	.rodata,"a",@progbits
	.p2align	6, 0x0
	.amdhsa_kernel _ZN7rocprim17ROCPRIM_400000_NS6detail17trampoline_kernelINS0_14default_configENS1_35adjacent_difference_config_selectorILb1EyEEZNS1_24adjacent_difference_implIS3_Lb1ELb0EPyS7_N6thrust23THRUST_200600_302600_NS5minusIyEEEE10hipError_tPvRmT2_T3_mT4_P12ihipStream_tbEUlT_E_NS1_11comp_targetILNS1_3genE9ELNS1_11target_archE1100ELNS1_3gpuE3ELNS1_3repE0EEENS1_30default_config_static_selectorELNS0_4arch9wavefront6targetE0EEEvT1_
		.amdhsa_group_segment_fixed_size 29696
		.amdhsa_private_segment_fixed_size 0
		.amdhsa_kernarg_size 56
		.amdhsa_user_sgpr_count 15
		.amdhsa_user_sgpr_dispatch_ptr 0
		.amdhsa_user_sgpr_queue_ptr 0
		.amdhsa_user_sgpr_kernarg_segment_ptr 1
		.amdhsa_user_sgpr_dispatch_id 0
		.amdhsa_user_sgpr_private_segment_size 0
		.amdhsa_wavefront_size32 1
		.amdhsa_uses_dynamic_stack 0
		.amdhsa_enable_private_segment 0
		.amdhsa_system_sgpr_workgroup_id_x 1
		.amdhsa_system_sgpr_workgroup_id_y 0
		.amdhsa_system_sgpr_workgroup_id_z 0
		.amdhsa_system_sgpr_workgroup_info 0
		.amdhsa_system_vgpr_workitem_id 0
		.amdhsa_next_free_vgpr 122
		.amdhsa_next_free_sgpr 26
		.amdhsa_reserve_vcc 1
		.amdhsa_float_round_mode_32 0
		.amdhsa_float_round_mode_16_64 0
		.amdhsa_float_denorm_mode_32 3
		.amdhsa_float_denorm_mode_16_64 3
		.amdhsa_dx10_clamp 1
		.amdhsa_ieee_mode 1
		.amdhsa_fp16_overflow 0
		.amdhsa_workgroup_processor_mode 1
		.amdhsa_memory_ordered 1
		.amdhsa_forward_progress 0
		.amdhsa_shared_vgpr_count 0
		.amdhsa_exception_fp_ieee_invalid_op 0
		.amdhsa_exception_fp_denorm_src 0
		.amdhsa_exception_fp_ieee_div_zero 0
		.amdhsa_exception_fp_ieee_overflow 0
		.amdhsa_exception_fp_ieee_underflow 0
		.amdhsa_exception_fp_ieee_inexact 0
		.amdhsa_exception_int_div_zero 0
	.end_amdhsa_kernel
	.section	.text._ZN7rocprim17ROCPRIM_400000_NS6detail17trampoline_kernelINS0_14default_configENS1_35adjacent_difference_config_selectorILb1EyEEZNS1_24adjacent_difference_implIS3_Lb1ELb0EPyS7_N6thrust23THRUST_200600_302600_NS5minusIyEEEE10hipError_tPvRmT2_T3_mT4_P12ihipStream_tbEUlT_E_NS1_11comp_targetILNS1_3genE9ELNS1_11target_archE1100ELNS1_3gpuE3ELNS1_3repE0EEENS1_30default_config_static_selectorELNS0_4arch9wavefront6targetE0EEEvT1_,"axG",@progbits,_ZN7rocprim17ROCPRIM_400000_NS6detail17trampoline_kernelINS0_14default_configENS1_35adjacent_difference_config_selectorILb1EyEEZNS1_24adjacent_difference_implIS3_Lb1ELb0EPyS7_N6thrust23THRUST_200600_302600_NS5minusIyEEEE10hipError_tPvRmT2_T3_mT4_P12ihipStream_tbEUlT_E_NS1_11comp_targetILNS1_3genE9ELNS1_11target_archE1100ELNS1_3gpuE3ELNS1_3repE0EEENS1_30default_config_static_selectorELNS0_4arch9wavefront6targetE0EEEvT1_,comdat
.Lfunc_end127:
	.size	_ZN7rocprim17ROCPRIM_400000_NS6detail17trampoline_kernelINS0_14default_configENS1_35adjacent_difference_config_selectorILb1EyEEZNS1_24adjacent_difference_implIS3_Lb1ELb0EPyS7_N6thrust23THRUST_200600_302600_NS5minusIyEEEE10hipError_tPvRmT2_T3_mT4_P12ihipStream_tbEUlT_E_NS1_11comp_targetILNS1_3genE9ELNS1_11target_archE1100ELNS1_3gpuE3ELNS1_3repE0EEENS1_30default_config_static_selectorELNS0_4arch9wavefront6targetE0EEEvT1_, .Lfunc_end127-_ZN7rocprim17ROCPRIM_400000_NS6detail17trampoline_kernelINS0_14default_configENS1_35adjacent_difference_config_selectorILb1EyEEZNS1_24adjacent_difference_implIS3_Lb1ELb0EPyS7_N6thrust23THRUST_200600_302600_NS5minusIyEEEE10hipError_tPvRmT2_T3_mT4_P12ihipStream_tbEUlT_E_NS1_11comp_targetILNS1_3genE9ELNS1_11target_archE1100ELNS1_3gpuE3ELNS1_3repE0EEENS1_30default_config_static_selectorELNS0_4arch9wavefront6targetE0EEEvT1_
                                        ; -- End function
	.section	.AMDGPU.csdata,"",@progbits
; Kernel info:
; codeLenInByte = 8248
; NumSgprs: 28
; NumVgprs: 122
; ScratchSize: 0
; MemoryBound: 0
; FloatMode: 240
; IeeeMode: 1
; LDSByteSize: 29696 bytes/workgroup (compile time only)
; SGPRBlocks: 3
; VGPRBlocks: 15
; NumSGPRsForWavesPerEU: 28
; NumVGPRsForWavesPerEU: 122
; Occupancy: 4
; WaveLimiterHint : 1
; COMPUTE_PGM_RSRC2:SCRATCH_EN: 0
; COMPUTE_PGM_RSRC2:USER_SGPR: 15
; COMPUTE_PGM_RSRC2:TRAP_HANDLER: 0
; COMPUTE_PGM_RSRC2:TGID_X_EN: 1
; COMPUTE_PGM_RSRC2:TGID_Y_EN: 0
; COMPUTE_PGM_RSRC2:TGID_Z_EN: 0
; COMPUTE_PGM_RSRC2:TIDIG_COMP_CNT: 0
	.section	.text._ZN7rocprim17ROCPRIM_400000_NS6detail17trampoline_kernelINS0_14default_configENS1_35adjacent_difference_config_selectorILb1EyEEZNS1_24adjacent_difference_implIS3_Lb1ELb0EPyS7_N6thrust23THRUST_200600_302600_NS5minusIyEEEE10hipError_tPvRmT2_T3_mT4_P12ihipStream_tbEUlT_E_NS1_11comp_targetILNS1_3genE8ELNS1_11target_archE1030ELNS1_3gpuE2ELNS1_3repE0EEENS1_30default_config_static_selectorELNS0_4arch9wavefront6targetE0EEEvT1_,"axG",@progbits,_ZN7rocprim17ROCPRIM_400000_NS6detail17trampoline_kernelINS0_14default_configENS1_35adjacent_difference_config_selectorILb1EyEEZNS1_24adjacent_difference_implIS3_Lb1ELb0EPyS7_N6thrust23THRUST_200600_302600_NS5minusIyEEEE10hipError_tPvRmT2_T3_mT4_P12ihipStream_tbEUlT_E_NS1_11comp_targetILNS1_3genE8ELNS1_11target_archE1030ELNS1_3gpuE2ELNS1_3repE0EEENS1_30default_config_static_selectorELNS0_4arch9wavefront6targetE0EEEvT1_,comdat
	.protected	_ZN7rocprim17ROCPRIM_400000_NS6detail17trampoline_kernelINS0_14default_configENS1_35adjacent_difference_config_selectorILb1EyEEZNS1_24adjacent_difference_implIS3_Lb1ELb0EPyS7_N6thrust23THRUST_200600_302600_NS5minusIyEEEE10hipError_tPvRmT2_T3_mT4_P12ihipStream_tbEUlT_E_NS1_11comp_targetILNS1_3genE8ELNS1_11target_archE1030ELNS1_3gpuE2ELNS1_3repE0EEENS1_30default_config_static_selectorELNS0_4arch9wavefront6targetE0EEEvT1_ ; -- Begin function _ZN7rocprim17ROCPRIM_400000_NS6detail17trampoline_kernelINS0_14default_configENS1_35adjacent_difference_config_selectorILb1EyEEZNS1_24adjacent_difference_implIS3_Lb1ELb0EPyS7_N6thrust23THRUST_200600_302600_NS5minusIyEEEE10hipError_tPvRmT2_T3_mT4_P12ihipStream_tbEUlT_E_NS1_11comp_targetILNS1_3genE8ELNS1_11target_archE1030ELNS1_3gpuE2ELNS1_3repE0EEENS1_30default_config_static_selectorELNS0_4arch9wavefront6targetE0EEEvT1_
	.globl	_ZN7rocprim17ROCPRIM_400000_NS6detail17trampoline_kernelINS0_14default_configENS1_35adjacent_difference_config_selectorILb1EyEEZNS1_24adjacent_difference_implIS3_Lb1ELb0EPyS7_N6thrust23THRUST_200600_302600_NS5minusIyEEEE10hipError_tPvRmT2_T3_mT4_P12ihipStream_tbEUlT_E_NS1_11comp_targetILNS1_3genE8ELNS1_11target_archE1030ELNS1_3gpuE2ELNS1_3repE0EEENS1_30default_config_static_selectorELNS0_4arch9wavefront6targetE0EEEvT1_
	.p2align	8
	.type	_ZN7rocprim17ROCPRIM_400000_NS6detail17trampoline_kernelINS0_14default_configENS1_35adjacent_difference_config_selectorILb1EyEEZNS1_24adjacent_difference_implIS3_Lb1ELb0EPyS7_N6thrust23THRUST_200600_302600_NS5minusIyEEEE10hipError_tPvRmT2_T3_mT4_P12ihipStream_tbEUlT_E_NS1_11comp_targetILNS1_3genE8ELNS1_11target_archE1030ELNS1_3gpuE2ELNS1_3repE0EEENS1_30default_config_static_selectorELNS0_4arch9wavefront6targetE0EEEvT1_,@function
_ZN7rocprim17ROCPRIM_400000_NS6detail17trampoline_kernelINS0_14default_configENS1_35adjacent_difference_config_selectorILb1EyEEZNS1_24adjacent_difference_implIS3_Lb1ELb0EPyS7_N6thrust23THRUST_200600_302600_NS5minusIyEEEE10hipError_tPvRmT2_T3_mT4_P12ihipStream_tbEUlT_E_NS1_11comp_targetILNS1_3genE8ELNS1_11target_archE1030ELNS1_3gpuE2ELNS1_3repE0EEENS1_30default_config_static_selectorELNS0_4arch9wavefront6targetE0EEEvT1_: ; @_ZN7rocprim17ROCPRIM_400000_NS6detail17trampoline_kernelINS0_14default_configENS1_35adjacent_difference_config_selectorILb1EyEEZNS1_24adjacent_difference_implIS3_Lb1ELb0EPyS7_N6thrust23THRUST_200600_302600_NS5minusIyEEEE10hipError_tPvRmT2_T3_mT4_P12ihipStream_tbEUlT_E_NS1_11comp_targetILNS1_3genE8ELNS1_11target_archE1030ELNS1_3gpuE2ELNS1_3repE0EEENS1_30default_config_static_selectorELNS0_4arch9wavefront6targetE0EEEvT1_
; %bb.0:
	.section	.rodata,"a",@progbits
	.p2align	6, 0x0
	.amdhsa_kernel _ZN7rocprim17ROCPRIM_400000_NS6detail17trampoline_kernelINS0_14default_configENS1_35adjacent_difference_config_selectorILb1EyEEZNS1_24adjacent_difference_implIS3_Lb1ELb0EPyS7_N6thrust23THRUST_200600_302600_NS5minusIyEEEE10hipError_tPvRmT2_T3_mT4_P12ihipStream_tbEUlT_E_NS1_11comp_targetILNS1_3genE8ELNS1_11target_archE1030ELNS1_3gpuE2ELNS1_3repE0EEENS1_30default_config_static_selectorELNS0_4arch9wavefront6targetE0EEEvT1_
		.amdhsa_group_segment_fixed_size 0
		.amdhsa_private_segment_fixed_size 0
		.amdhsa_kernarg_size 56
		.amdhsa_user_sgpr_count 15
		.amdhsa_user_sgpr_dispatch_ptr 0
		.amdhsa_user_sgpr_queue_ptr 0
		.amdhsa_user_sgpr_kernarg_segment_ptr 1
		.amdhsa_user_sgpr_dispatch_id 0
		.amdhsa_user_sgpr_private_segment_size 0
		.amdhsa_wavefront_size32 1
		.amdhsa_uses_dynamic_stack 0
		.amdhsa_enable_private_segment 0
		.amdhsa_system_sgpr_workgroup_id_x 1
		.amdhsa_system_sgpr_workgroup_id_y 0
		.amdhsa_system_sgpr_workgroup_id_z 0
		.amdhsa_system_sgpr_workgroup_info 0
		.amdhsa_system_vgpr_workitem_id 0
		.amdhsa_next_free_vgpr 1
		.amdhsa_next_free_sgpr 1
		.amdhsa_reserve_vcc 0
		.amdhsa_float_round_mode_32 0
		.amdhsa_float_round_mode_16_64 0
		.amdhsa_float_denorm_mode_32 3
		.amdhsa_float_denorm_mode_16_64 3
		.amdhsa_dx10_clamp 1
		.amdhsa_ieee_mode 1
		.amdhsa_fp16_overflow 0
		.amdhsa_workgroup_processor_mode 1
		.amdhsa_memory_ordered 1
		.amdhsa_forward_progress 0
		.amdhsa_shared_vgpr_count 0
		.amdhsa_exception_fp_ieee_invalid_op 0
		.amdhsa_exception_fp_denorm_src 0
		.amdhsa_exception_fp_ieee_div_zero 0
		.amdhsa_exception_fp_ieee_overflow 0
		.amdhsa_exception_fp_ieee_underflow 0
		.amdhsa_exception_fp_ieee_inexact 0
		.amdhsa_exception_int_div_zero 0
	.end_amdhsa_kernel
	.section	.text._ZN7rocprim17ROCPRIM_400000_NS6detail17trampoline_kernelINS0_14default_configENS1_35adjacent_difference_config_selectorILb1EyEEZNS1_24adjacent_difference_implIS3_Lb1ELb0EPyS7_N6thrust23THRUST_200600_302600_NS5minusIyEEEE10hipError_tPvRmT2_T3_mT4_P12ihipStream_tbEUlT_E_NS1_11comp_targetILNS1_3genE8ELNS1_11target_archE1030ELNS1_3gpuE2ELNS1_3repE0EEENS1_30default_config_static_selectorELNS0_4arch9wavefront6targetE0EEEvT1_,"axG",@progbits,_ZN7rocprim17ROCPRIM_400000_NS6detail17trampoline_kernelINS0_14default_configENS1_35adjacent_difference_config_selectorILb1EyEEZNS1_24adjacent_difference_implIS3_Lb1ELb0EPyS7_N6thrust23THRUST_200600_302600_NS5minusIyEEEE10hipError_tPvRmT2_T3_mT4_P12ihipStream_tbEUlT_E_NS1_11comp_targetILNS1_3genE8ELNS1_11target_archE1030ELNS1_3gpuE2ELNS1_3repE0EEENS1_30default_config_static_selectorELNS0_4arch9wavefront6targetE0EEEvT1_,comdat
.Lfunc_end128:
	.size	_ZN7rocprim17ROCPRIM_400000_NS6detail17trampoline_kernelINS0_14default_configENS1_35adjacent_difference_config_selectorILb1EyEEZNS1_24adjacent_difference_implIS3_Lb1ELb0EPyS7_N6thrust23THRUST_200600_302600_NS5minusIyEEEE10hipError_tPvRmT2_T3_mT4_P12ihipStream_tbEUlT_E_NS1_11comp_targetILNS1_3genE8ELNS1_11target_archE1030ELNS1_3gpuE2ELNS1_3repE0EEENS1_30default_config_static_selectorELNS0_4arch9wavefront6targetE0EEEvT1_, .Lfunc_end128-_ZN7rocprim17ROCPRIM_400000_NS6detail17trampoline_kernelINS0_14default_configENS1_35adjacent_difference_config_selectorILb1EyEEZNS1_24adjacent_difference_implIS3_Lb1ELb0EPyS7_N6thrust23THRUST_200600_302600_NS5minusIyEEEE10hipError_tPvRmT2_T3_mT4_P12ihipStream_tbEUlT_E_NS1_11comp_targetILNS1_3genE8ELNS1_11target_archE1030ELNS1_3gpuE2ELNS1_3repE0EEENS1_30default_config_static_selectorELNS0_4arch9wavefront6targetE0EEEvT1_
                                        ; -- End function
	.section	.AMDGPU.csdata,"",@progbits
; Kernel info:
; codeLenInByte = 0
; NumSgprs: 0
; NumVgprs: 0
; ScratchSize: 0
; MemoryBound: 0
; FloatMode: 240
; IeeeMode: 1
; LDSByteSize: 0 bytes/workgroup (compile time only)
; SGPRBlocks: 0
; VGPRBlocks: 0
; NumSGPRsForWavesPerEU: 1
; NumVGPRsForWavesPerEU: 1
; Occupancy: 16
; WaveLimiterHint : 0
; COMPUTE_PGM_RSRC2:SCRATCH_EN: 0
; COMPUTE_PGM_RSRC2:USER_SGPR: 15
; COMPUTE_PGM_RSRC2:TRAP_HANDLER: 0
; COMPUTE_PGM_RSRC2:TGID_X_EN: 1
; COMPUTE_PGM_RSRC2:TGID_Y_EN: 0
; COMPUTE_PGM_RSRC2:TGID_Z_EN: 0
; COMPUTE_PGM_RSRC2:TIDIG_COMP_CNT: 0
	.section	.text._ZN7rocprim17ROCPRIM_400000_NS6detail17trampoline_kernelINS0_14default_configENS1_35adjacent_difference_config_selectorILb0EyEEZNS1_24adjacent_difference_implIS3_Lb0ELb0EPyS7_N6thrust23THRUST_200600_302600_NS4plusIyEEEE10hipError_tPvRmT2_T3_mT4_P12ihipStream_tbEUlT_E_NS1_11comp_targetILNS1_3genE0ELNS1_11target_archE4294967295ELNS1_3gpuE0ELNS1_3repE0EEENS1_30default_config_static_selectorELNS0_4arch9wavefront6targetE0EEEvT1_,"axG",@progbits,_ZN7rocprim17ROCPRIM_400000_NS6detail17trampoline_kernelINS0_14default_configENS1_35adjacent_difference_config_selectorILb0EyEEZNS1_24adjacent_difference_implIS3_Lb0ELb0EPyS7_N6thrust23THRUST_200600_302600_NS4plusIyEEEE10hipError_tPvRmT2_T3_mT4_P12ihipStream_tbEUlT_E_NS1_11comp_targetILNS1_3genE0ELNS1_11target_archE4294967295ELNS1_3gpuE0ELNS1_3repE0EEENS1_30default_config_static_selectorELNS0_4arch9wavefront6targetE0EEEvT1_,comdat
	.protected	_ZN7rocprim17ROCPRIM_400000_NS6detail17trampoline_kernelINS0_14default_configENS1_35adjacent_difference_config_selectorILb0EyEEZNS1_24adjacent_difference_implIS3_Lb0ELb0EPyS7_N6thrust23THRUST_200600_302600_NS4plusIyEEEE10hipError_tPvRmT2_T3_mT4_P12ihipStream_tbEUlT_E_NS1_11comp_targetILNS1_3genE0ELNS1_11target_archE4294967295ELNS1_3gpuE0ELNS1_3repE0EEENS1_30default_config_static_selectorELNS0_4arch9wavefront6targetE0EEEvT1_ ; -- Begin function _ZN7rocprim17ROCPRIM_400000_NS6detail17trampoline_kernelINS0_14default_configENS1_35adjacent_difference_config_selectorILb0EyEEZNS1_24adjacent_difference_implIS3_Lb0ELb0EPyS7_N6thrust23THRUST_200600_302600_NS4plusIyEEEE10hipError_tPvRmT2_T3_mT4_P12ihipStream_tbEUlT_E_NS1_11comp_targetILNS1_3genE0ELNS1_11target_archE4294967295ELNS1_3gpuE0ELNS1_3repE0EEENS1_30default_config_static_selectorELNS0_4arch9wavefront6targetE0EEEvT1_
	.globl	_ZN7rocprim17ROCPRIM_400000_NS6detail17trampoline_kernelINS0_14default_configENS1_35adjacent_difference_config_selectorILb0EyEEZNS1_24adjacent_difference_implIS3_Lb0ELb0EPyS7_N6thrust23THRUST_200600_302600_NS4plusIyEEEE10hipError_tPvRmT2_T3_mT4_P12ihipStream_tbEUlT_E_NS1_11comp_targetILNS1_3genE0ELNS1_11target_archE4294967295ELNS1_3gpuE0ELNS1_3repE0EEENS1_30default_config_static_selectorELNS0_4arch9wavefront6targetE0EEEvT1_
	.p2align	8
	.type	_ZN7rocprim17ROCPRIM_400000_NS6detail17trampoline_kernelINS0_14default_configENS1_35adjacent_difference_config_selectorILb0EyEEZNS1_24adjacent_difference_implIS3_Lb0ELb0EPyS7_N6thrust23THRUST_200600_302600_NS4plusIyEEEE10hipError_tPvRmT2_T3_mT4_P12ihipStream_tbEUlT_E_NS1_11comp_targetILNS1_3genE0ELNS1_11target_archE4294967295ELNS1_3gpuE0ELNS1_3repE0EEENS1_30default_config_static_selectorELNS0_4arch9wavefront6targetE0EEEvT1_,@function
_ZN7rocprim17ROCPRIM_400000_NS6detail17trampoline_kernelINS0_14default_configENS1_35adjacent_difference_config_selectorILb0EyEEZNS1_24adjacent_difference_implIS3_Lb0ELb0EPyS7_N6thrust23THRUST_200600_302600_NS4plusIyEEEE10hipError_tPvRmT2_T3_mT4_P12ihipStream_tbEUlT_E_NS1_11comp_targetILNS1_3genE0ELNS1_11target_archE4294967295ELNS1_3gpuE0ELNS1_3repE0EEENS1_30default_config_static_selectorELNS0_4arch9wavefront6targetE0EEEvT1_: ; @_ZN7rocprim17ROCPRIM_400000_NS6detail17trampoline_kernelINS0_14default_configENS1_35adjacent_difference_config_selectorILb0EyEEZNS1_24adjacent_difference_implIS3_Lb0ELb0EPyS7_N6thrust23THRUST_200600_302600_NS4plusIyEEEE10hipError_tPvRmT2_T3_mT4_P12ihipStream_tbEUlT_E_NS1_11comp_targetILNS1_3genE0ELNS1_11target_archE4294967295ELNS1_3gpuE0ELNS1_3repE0EEENS1_30default_config_static_selectorELNS0_4arch9wavefront6targetE0EEEvT1_
; %bb.0:
	.section	.rodata,"a",@progbits
	.p2align	6, 0x0
	.amdhsa_kernel _ZN7rocprim17ROCPRIM_400000_NS6detail17trampoline_kernelINS0_14default_configENS1_35adjacent_difference_config_selectorILb0EyEEZNS1_24adjacent_difference_implIS3_Lb0ELb0EPyS7_N6thrust23THRUST_200600_302600_NS4plusIyEEEE10hipError_tPvRmT2_T3_mT4_P12ihipStream_tbEUlT_E_NS1_11comp_targetILNS1_3genE0ELNS1_11target_archE4294967295ELNS1_3gpuE0ELNS1_3repE0EEENS1_30default_config_static_selectorELNS0_4arch9wavefront6targetE0EEEvT1_
		.amdhsa_group_segment_fixed_size 0
		.amdhsa_private_segment_fixed_size 0
		.amdhsa_kernarg_size 56
		.amdhsa_user_sgpr_count 15
		.amdhsa_user_sgpr_dispatch_ptr 0
		.amdhsa_user_sgpr_queue_ptr 0
		.amdhsa_user_sgpr_kernarg_segment_ptr 1
		.amdhsa_user_sgpr_dispatch_id 0
		.amdhsa_user_sgpr_private_segment_size 0
		.amdhsa_wavefront_size32 1
		.amdhsa_uses_dynamic_stack 0
		.amdhsa_enable_private_segment 0
		.amdhsa_system_sgpr_workgroup_id_x 1
		.amdhsa_system_sgpr_workgroup_id_y 0
		.amdhsa_system_sgpr_workgroup_id_z 0
		.amdhsa_system_sgpr_workgroup_info 0
		.amdhsa_system_vgpr_workitem_id 0
		.amdhsa_next_free_vgpr 1
		.amdhsa_next_free_sgpr 1
		.amdhsa_reserve_vcc 0
		.amdhsa_float_round_mode_32 0
		.amdhsa_float_round_mode_16_64 0
		.amdhsa_float_denorm_mode_32 3
		.amdhsa_float_denorm_mode_16_64 3
		.amdhsa_dx10_clamp 1
		.amdhsa_ieee_mode 1
		.amdhsa_fp16_overflow 0
		.amdhsa_workgroup_processor_mode 1
		.amdhsa_memory_ordered 1
		.amdhsa_forward_progress 0
		.amdhsa_shared_vgpr_count 0
		.amdhsa_exception_fp_ieee_invalid_op 0
		.amdhsa_exception_fp_denorm_src 0
		.amdhsa_exception_fp_ieee_div_zero 0
		.amdhsa_exception_fp_ieee_overflow 0
		.amdhsa_exception_fp_ieee_underflow 0
		.amdhsa_exception_fp_ieee_inexact 0
		.amdhsa_exception_int_div_zero 0
	.end_amdhsa_kernel
	.section	.text._ZN7rocprim17ROCPRIM_400000_NS6detail17trampoline_kernelINS0_14default_configENS1_35adjacent_difference_config_selectorILb0EyEEZNS1_24adjacent_difference_implIS3_Lb0ELb0EPyS7_N6thrust23THRUST_200600_302600_NS4plusIyEEEE10hipError_tPvRmT2_T3_mT4_P12ihipStream_tbEUlT_E_NS1_11comp_targetILNS1_3genE0ELNS1_11target_archE4294967295ELNS1_3gpuE0ELNS1_3repE0EEENS1_30default_config_static_selectorELNS0_4arch9wavefront6targetE0EEEvT1_,"axG",@progbits,_ZN7rocprim17ROCPRIM_400000_NS6detail17trampoline_kernelINS0_14default_configENS1_35adjacent_difference_config_selectorILb0EyEEZNS1_24adjacent_difference_implIS3_Lb0ELb0EPyS7_N6thrust23THRUST_200600_302600_NS4plusIyEEEE10hipError_tPvRmT2_T3_mT4_P12ihipStream_tbEUlT_E_NS1_11comp_targetILNS1_3genE0ELNS1_11target_archE4294967295ELNS1_3gpuE0ELNS1_3repE0EEENS1_30default_config_static_selectorELNS0_4arch9wavefront6targetE0EEEvT1_,comdat
.Lfunc_end129:
	.size	_ZN7rocprim17ROCPRIM_400000_NS6detail17trampoline_kernelINS0_14default_configENS1_35adjacent_difference_config_selectorILb0EyEEZNS1_24adjacent_difference_implIS3_Lb0ELb0EPyS7_N6thrust23THRUST_200600_302600_NS4plusIyEEEE10hipError_tPvRmT2_T3_mT4_P12ihipStream_tbEUlT_E_NS1_11comp_targetILNS1_3genE0ELNS1_11target_archE4294967295ELNS1_3gpuE0ELNS1_3repE0EEENS1_30default_config_static_selectorELNS0_4arch9wavefront6targetE0EEEvT1_, .Lfunc_end129-_ZN7rocprim17ROCPRIM_400000_NS6detail17trampoline_kernelINS0_14default_configENS1_35adjacent_difference_config_selectorILb0EyEEZNS1_24adjacent_difference_implIS3_Lb0ELb0EPyS7_N6thrust23THRUST_200600_302600_NS4plusIyEEEE10hipError_tPvRmT2_T3_mT4_P12ihipStream_tbEUlT_E_NS1_11comp_targetILNS1_3genE0ELNS1_11target_archE4294967295ELNS1_3gpuE0ELNS1_3repE0EEENS1_30default_config_static_selectorELNS0_4arch9wavefront6targetE0EEEvT1_
                                        ; -- End function
	.section	.AMDGPU.csdata,"",@progbits
; Kernel info:
; codeLenInByte = 0
; NumSgprs: 0
; NumVgprs: 0
; ScratchSize: 0
; MemoryBound: 0
; FloatMode: 240
; IeeeMode: 1
; LDSByteSize: 0 bytes/workgroup (compile time only)
; SGPRBlocks: 0
; VGPRBlocks: 0
; NumSGPRsForWavesPerEU: 1
; NumVGPRsForWavesPerEU: 1
; Occupancy: 16
; WaveLimiterHint : 0
; COMPUTE_PGM_RSRC2:SCRATCH_EN: 0
; COMPUTE_PGM_RSRC2:USER_SGPR: 15
; COMPUTE_PGM_RSRC2:TRAP_HANDLER: 0
; COMPUTE_PGM_RSRC2:TGID_X_EN: 1
; COMPUTE_PGM_RSRC2:TGID_Y_EN: 0
; COMPUTE_PGM_RSRC2:TGID_Z_EN: 0
; COMPUTE_PGM_RSRC2:TIDIG_COMP_CNT: 0
	.section	.text._ZN7rocprim17ROCPRIM_400000_NS6detail17trampoline_kernelINS0_14default_configENS1_35adjacent_difference_config_selectorILb0EyEEZNS1_24adjacent_difference_implIS3_Lb0ELb0EPyS7_N6thrust23THRUST_200600_302600_NS4plusIyEEEE10hipError_tPvRmT2_T3_mT4_P12ihipStream_tbEUlT_E_NS1_11comp_targetILNS1_3genE10ELNS1_11target_archE1201ELNS1_3gpuE5ELNS1_3repE0EEENS1_30default_config_static_selectorELNS0_4arch9wavefront6targetE0EEEvT1_,"axG",@progbits,_ZN7rocprim17ROCPRIM_400000_NS6detail17trampoline_kernelINS0_14default_configENS1_35adjacent_difference_config_selectorILb0EyEEZNS1_24adjacent_difference_implIS3_Lb0ELb0EPyS7_N6thrust23THRUST_200600_302600_NS4plusIyEEEE10hipError_tPvRmT2_T3_mT4_P12ihipStream_tbEUlT_E_NS1_11comp_targetILNS1_3genE10ELNS1_11target_archE1201ELNS1_3gpuE5ELNS1_3repE0EEENS1_30default_config_static_selectorELNS0_4arch9wavefront6targetE0EEEvT1_,comdat
	.protected	_ZN7rocprim17ROCPRIM_400000_NS6detail17trampoline_kernelINS0_14default_configENS1_35adjacent_difference_config_selectorILb0EyEEZNS1_24adjacent_difference_implIS3_Lb0ELb0EPyS7_N6thrust23THRUST_200600_302600_NS4plusIyEEEE10hipError_tPvRmT2_T3_mT4_P12ihipStream_tbEUlT_E_NS1_11comp_targetILNS1_3genE10ELNS1_11target_archE1201ELNS1_3gpuE5ELNS1_3repE0EEENS1_30default_config_static_selectorELNS0_4arch9wavefront6targetE0EEEvT1_ ; -- Begin function _ZN7rocprim17ROCPRIM_400000_NS6detail17trampoline_kernelINS0_14default_configENS1_35adjacent_difference_config_selectorILb0EyEEZNS1_24adjacent_difference_implIS3_Lb0ELb0EPyS7_N6thrust23THRUST_200600_302600_NS4plusIyEEEE10hipError_tPvRmT2_T3_mT4_P12ihipStream_tbEUlT_E_NS1_11comp_targetILNS1_3genE10ELNS1_11target_archE1201ELNS1_3gpuE5ELNS1_3repE0EEENS1_30default_config_static_selectorELNS0_4arch9wavefront6targetE0EEEvT1_
	.globl	_ZN7rocprim17ROCPRIM_400000_NS6detail17trampoline_kernelINS0_14default_configENS1_35adjacent_difference_config_selectorILb0EyEEZNS1_24adjacent_difference_implIS3_Lb0ELb0EPyS7_N6thrust23THRUST_200600_302600_NS4plusIyEEEE10hipError_tPvRmT2_T3_mT4_P12ihipStream_tbEUlT_E_NS1_11comp_targetILNS1_3genE10ELNS1_11target_archE1201ELNS1_3gpuE5ELNS1_3repE0EEENS1_30default_config_static_selectorELNS0_4arch9wavefront6targetE0EEEvT1_
	.p2align	8
	.type	_ZN7rocprim17ROCPRIM_400000_NS6detail17trampoline_kernelINS0_14default_configENS1_35adjacent_difference_config_selectorILb0EyEEZNS1_24adjacent_difference_implIS3_Lb0ELb0EPyS7_N6thrust23THRUST_200600_302600_NS4plusIyEEEE10hipError_tPvRmT2_T3_mT4_P12ihipStream_tbEUlT_E_NS1_11comp_targetILNS1_3genE10ELNS1_11target_archE1201ELNS1_3gpuE5ELNS1_3repE0EEENS1_30default_config_static_selectorELNS0_4arch9wavefront6targetE0EEEvT1_,@function
_ZN7rocprim17ROCPRIM_400000_NS6detail17trampoline_kernelINS0_14default_configENS1_35adjacent_difference_config_selectorILb0EyEEZNS1_24adjacent_difference_implIS3_Lb0ELb0EPyS7_N6thrust23THRUST_200600_302600_NS4plusIyEEEE10hipError_tPvRmT2_T3_mT4_P12ihipStream_tbEUlT_E_NS1_11comp_targetILNS1_3genE10ELNS1_11target_archE1201ELNS1_3gpuE5ELNS1_3repE0EEENS1_30default_config_static_selectorELNS0_4arch9wavefront6targetE0EEEvT1_: ; @_ZN7rocprim17ROCPRIM_400000_NS6detail17trampoline_kernelINS0_14default_configENS1_35adjacent_difference_config_selectorILb0EyEEZNS1_24adjacent_difference_implIS3_Lb0ELb0EPyS7_N6thrust23THRUST_200600_302600_NS4plusIyEEEE10hipError_tPvRmT2_T3_mT4_P12ihipStream_tbEUlT_E_NS1_11comp_targetILNS1_3genE10ELNS1_11target_archE1201ELNS1_3gpuE5ELNS1_3repE0EEENS1_30default_config_static_selectorELNS0_4arch9wavefront6targetE0EEEvT1_
; %bb.0:
	.section	.rodata,"a",@progbits
	.p2align	6, 0x0
	.amdhsa_kernel _ZN7rocprim17ROCPRIM_400000_NS6detail17trampoline_kernelINS0_14default_configENS1_35adjacent_difference_config_selectorILb0EyEEZNS1_24adjacent_difference_implIS3_Lb0ELb0EPyS7_N6thrust23THRUST_200600_302600_NS4plusIyEEEE10hipError_tPvRmT2_T3_mT4_P12ihipStream_tbEUlT_E_NS1_11comp_targetILNS1_3genE10ELNS1_11target_archE1201ELNS1_3gpuE5ELNS1_3repE0EEENS1_30default_config_static_selectorELNS0_4arch9wavefront6targetE0EEEvT1_
		.amdhsa_group_segment_fixed_size 0
		.amdhsa_private_segment_fixed_size 0
		.amdhsa_kernarg_size 56
		.amdhsa_user_sgpr_count 15
		.amdhsa_user_sgpr_dispatch_ptr 0
		.amdhsa_user_sgpr_queue_ptr 0
		.amdhsa_user_sgpr_kernarg_segment_ptr 1
		.amdhsa_user_sgpr_dispatch_id 0
		.amdhsa_user_sgpr_private_segment_size 0
		.amdhsa_wavefront_size32 1
		.amdhsa_uses_dynamic_stack 0
		.amdhsa_enable_private_segment 0
		.amdhsa_system_sgpr_workgroup_id_x 1
		.amdhsa_system_sgpr_workgroup_id_y 0
		.amdhsa_system_sgpr_workgroup_id_z 0
		.amdhsa_system_sgpr_workgroup_info 0
		.amdhsa_system_vgpr_workitem_id 0
		.amdhsa_next_free_vgpr 1
		.amdhsa_next_free_sgpr 1
		.amdhsa_reserve_vcc 0
		.amdhsa_float_round_mode_32 0
		.amdhsa_float_round_mode_16_64 0
		.amdhsa_float_denorm_mode_32 3
		.amdhsa_float_denorm_mode_16_64 3
		.amdhsa_dx10_clamp 1
		.amdhsa_ieee_mode 1
		.amdhsa_fp16_overflow 0
		.amdhsa_workgroup_processor_mode 1
		.amdhsa_memory_ordered 1
		.amdhsa_forward_progress 0
		.amdhsa_shared_vgpr_count 0
		.amdhsa_exception_fp_ieee_invalid_op 0
		.amdhsa_exception_fp_denorm_src 0
		.amdhsa_exception_fp_ieee_div_zero 0
		.amdhsa_exception_fp_ieee_overflow 0
		.amdhsa_exception_fp_ieee_underflow 0
		.amdhsa_exception_fp_ieee_inexact 0
		.amdhsa_exception_int_div_zero 0
	.end_amdhsa_kernel
	.section	.text._ZN7rocprim17ROCPRIM_400000_NS6detail17trampoline_kernelINS0_14default_configENS1_35adjacent_difference_config_selectorILb0EyEEZNS1_24adjacent_difference_implIS3_Lb0ELb0EPyS7_N6thrust23THRUST_200600_302600_NS4plusIyEEEE10hipError_tPvRmT2_T3_mT4_P12ihipStream_tbEUlT_E_NS1_11comp_targetILNS1_3genE10ELNS1_11target_archE1201ELNS1_3gpuE5ELNS1_3repE0EEENS1_30default_config_static_selectorELNS0_4arch9wavefront6targetE0EEEvT1_,"axG",@progbits,_ZN7rocprim17ROCPRIM_400000_NS6detail17trampoline_kernelINS0_14default_configENS1_35adjacent_difference_config_selectorILb0EyEEZNS1_24adjacent_difference_implIS3_Lb0ELb0EPyS7_N6thrust23THRUST_200600_302600_NS4plusIyEEEE10hipError_tPvRmT2_T3_mT4_P12ihipStream_tbEUlT_E_NS1_11comp_targetILNS1_3genE10ELNS1_11target_archE1201ELNS1_3gpuE5ELNS1_3repE0EEENS1_30default_config_static_selectorELNS0_4arch9wavefront6targetE0EEEvT1_,comdat
.Lfunc_end130:
	.size	_ZN7rocprim17ROCPRIM_400000_NS6detail17trampoline_kernelINS0_14default_configENS1_35adjacent_difference_config_selectorILb0EyEEZNS1_24adjacent_difference_implIS3_Lb0ELb0EPyS7_N6thrust23THRUST_200600_302600_NS4plusIyEEEE10hipError_tPvRmT2_T3_mT4_P12ihipStream_tbEUlT_E_NS1_11comp_targetILNS1_3genE10ELNS1_11target_archE1201ELNS1_3gpuE5ELNS1_3repE0EEENS1_30default_config_static_selectorELNS0_4arch9wavefront6targetE0EEEvT1_, .Lfunc_end130-_ZN7rocprim17ROCPRIM_400000_NS6detail17trampoline_kernelINS0_14default_configENS1_35adjacent_difference_config_selectorILb0EyEEZNS1_24adjacent_difference_implIS3_Lb0ELb0EPyS7_N6thrust23THRUST_200600_302600_NS4plusIyEEEE10hipError_tPvRmT2_T3_mT4_P12ihipStream_tbEUlT_E_NS1_11comp_targetILNS1_3genE10ELNS1_11target_archE1201ELNS1_3gpuE5ELNS1_3repE0EEENS1_30default_config_static_selectorELNS0_4arch9wavefront6targetE0EEEvT1_
                                        ; -- End function
	.section	.AMDGPU.csdata,"",@progbits
; Kernel info:
; codeLenInByte = 0
; NumSgprs: 0
; NumVgprs: 0
; ScratchSize: 0
; MemoryBound: 0
; FloatMode: 240
; IeeeMode: 1
; LDSByteSize: 0 bytes/workgroup (compile time only)
; SGPRBlocks: 0
; VGPRBlocks: 0
; NumSGPRsForWavesPerEU: 1
; NumVGPRsForWavesPerEU: 1
; Occupancy: 16
; WaveLimiterHint : 0
; COMPUTE_PGM_RSRC2:SCRATCH_EN: 0
; COMPUTE_PGM_RSRC2:USER_SGPR: 15
; COMPUTE_PGM_RSRC2:TRAP_HANDLER: 0
; COMPUTE_PGM_RSRC2:TGID_X_EN: 1
; COMPUTE_PGM_RSRC2:TGID_Y_EN: 0
; COMPUTE_PGM_RSRC2:TGID_Z_EN: 0
; COMPUTE_PGM_RSRC2:TIDIG_COMP_CNT: 0
	.section	.text._ZN7rocprim17ROCPRIM_400000_NS6detail17trampoline_kernelINS0_14default_configENS1_35adjacent_difference_config_selectorILb0EyEEZNS1_24adjacent_difference_implIS3_Lb0ELb0EPyS7_N6thrust23THRUST_200600_302600_NS4plusIyEEEE10hipError_tPvRmT2_T3_mT4_P12ihipStream_tbEUlT_E_NS1_11comp_targetILNS1_3genE5ELNS1_11target_archE942ELNS1_3gpuE9ELNS1_3repE0EEENS1_30default_config_static_selectorELNS0_4arch9wavefront6targetE0EEEvT1_,"axG",@progbits,_ZN7rocprim17ROCPRIM_400000_NS6detail17trampoline_kernelINS0_14default_configENS1_35adjacent_difference_config_selectorILb0EyEEZNS1_24adjacent_difference_implIS3_Lb0ELb0EPyS7_N6thrust23THRUST_200600_302600_NS4plusIyEEEE10hipError_tPvRmT2_T3_mT4_P12ihipStream_tbEUlT_E_NS1_11comp_targetILNS1_3genE5ELNS1_11target_archE942ELNS1_3gpuE9ELNS1_3repE0EEENS1_30default_config_static_selectorELNS0_4arch9wavefront6targetE0EEEvT1_,comdat
	.protected	_ZN7rocprim17ROCPRIM_400000_NS6detail17trampoline_kernelINS0_14default_configENS1_35adjacent_difference_config_selectorILb0EyEEZNS1_24adjacent_difference_implIS3_Lb0ELb0EPyS7_N6thrust23THRUST_200600_302600_NS4plusIyEEEE10hipError_tPvRmT2_T3_mT4_P12ihipStream_tbEUlT_E_NS1_11comp_targetILNS1_3genE5ELNS1_11target_archE942ELNS1_3gpuE9ELNS1_3repE0EEENS1_30default_config_static_selectorELNS0_4arch9wavefront6targetE0EEEvT1_ ; -- Begin function _ZN7rocprim17ROCPRIM_400000_NS6detail17trampoline_kernelINS0_14default_configENS1_35adjacent_difference_config_selectorILb0EyEEZNS1_24adjacent_difference_implIS3_Lb0ELb0EPyS7_N6thrust23THRUST_200600_302600_NS4plusIyEEEE10hipError_tPvRmT2_T3_mT4_P12ihipStream_tbEUlT_E_NS1_11comp_targetILNS1_3genE5ELNS1_11target_archE942ELNS1_3gpuE9ELNS1_3repE0EEENS1_30default_config_static_selectorELNS0_4arch9wavefront6targetE0EEEvT1_
	.globl	_ZN7rocprim17ROCPRIM_400000_NS6detail17trampoline_kernelINS0_14default_configENS1_35adjacent_difference_config_selectorILb0EyEEZNS1_24adjacent_difference_implIS3_Lb0ELb0EPyS7_N6thrust23THRUST_200600_302600_NS4plusIyEEEE10hipError_tPvRmT2_T3_mT4_P12ihipStream_tbEUlT_E_NS1_11comp_targetILNS1_3genE5ELNS1_11target_archE942ELNS1_3gpuE9ELNS1_3repE0EEENS1_30default_config_static_selectorELNS0_4arch9wavefront6targetE0EEEvT1_
	.p2align	8
	.type	_ZN7rocprim17ROCPRIM_400000_NS6detail17trampoline_kernelINS0_14default_configENS1_35adjacent_difference_config_selectorILb0EyEEZNS1_24adjacent_difference_implIS3_Lb0ELb0EPyS7_N6thrust23THRUST_200600_302600_NS4plusIyEEEE10hipError_tPvRmT2_T3_mT4_P12ihipStream_tbEUlT_E_NS1_11comp_targetILNS1_3genE5ELNS1_11target_archE942ELNS1_3gpuE9ELNS1_3repE0EEENS1_30default_config_static_selectorELNS0_4arch9wavefront6targetE0EEEvT1_,@function
_ZN7rocprim17ROCPRIM_400000_NS6detail17trampoline_kernelINS0_14default_configENS1_35adjacent_difference_config_selectorILb0EyEEZNS1_24adjacent_difference_implIS3_Lb0ELb0EPyS7_N6thrust23THRUST_200600_302600_NS4plusIyEEEE10hipError_tPvRmT2_T3_mT4_P12ihipStream_tbEUlT_E_NS1_11comp_targetILNS1_3genE5ELNS1_11target_archE942ELNS1_3gpuE9ELNS1_3repE0EEENS1_30default_config_static_selectorELNS0_4arch9wavefront6targetE0EEEvT1_: ; @_ZN7rocprim17ROCPRIM_400000_NS6detail17trampoline_kernelINS0_14default_configENS1_35adjacent_difference_config_selectorILb0EyEEZNS1_24adjacent_difference_implIS3_Lb0ELb0EPyS7_N6thrust23THRUST_200600_302600_NS4plusIyEEEE10hipError_tPvRmT2_T3_mT4_P12ihipStream_tbEUlT_E_NS1_11comp_targetILNS1_3genE5ELNS1_11target_archE942ELNS1_3gpuE9ELNS1_3repE0EEENS1_30default_config_static_selectorELNS0_4arch9wavefront6targetE0EEEvT1_
; %bb.0:
	.section	.rodata,"a",@progbits
	.p2align	6, 0x0
	.amdhsa_kernel _ZN7rocprim17ROCPRIM_400000_NS6detail17trampoline_kernelINS0_14default_configENS1_35adjacent_difference_config_selectorILb0EyEEZNS1_24adjacent_difference_implIS3_Lb0ELb0EPyS7_N6thrust23THRUST_200600_302600_NS4plusIyEEEE10hipError_tPvRmT2_T3_mT4_P12ihipStream_tbEUlT_E_NS1_11comp_targetILNS1_3genE5ELNS1_11target_archE942ELNS1_3gpuE9ELNS1_3repE0EEENS1_30default_config_static_selectorELNS0_4arch9wavefront6targetE0EEEvT1_
		.amdhsa_group_segment_fixed_size 0
		.amdhsa_private_segment_fixed_size 0
		.amdhsa_kernarg_size 56
		.amdhsa_user_sgpr_count 15
		.amdhsa_user_sgpr_dispatch_ptr 0
		.amdhsa_user_sgpr_queue_ptr 0
		.amdhsa_user_sgpr_kernarg_segment_ptr 1
		.amdhsa_user_sgpr_dispatch_id 0
		.amdhsa_user_sgpr_private_segment_size 0
		.amdhsa_wavefront_size32 1
		.amdhsa_uses_dynamic_stack 0
		.amdhsa_enable_private_segment 0
		.amdhsa_system_sgpr_workgroup_id_x 1
		.amdhsa_system_sgpr_workgroup_id_y 0
		.amdhsa_system_sgpr_workgroup_id_z 0
		.amdhsa_system_sgpr_workgroup_info 0
		.amdhsa_system_vgpr_workitem_id 0
		.amdhsa_next_free_vgpr 1
		.amdhsa_next_free_sgpr 1
		.amdhsa_reserve_vcc 0
		.amdhsa_float_round_mode_32 0
		.amdhsa_float_round_mode_16_64 0
		.amdhsa_float_denorm_mode_32 3
		.amdhsa_float_denorm_mode_16_64 3
		.amdhsa_dx10_clamp 1
		.amdhsa_ieee_mode 1
		.amdhsa_fp16_overflow 0
		.amdhsa_workgroup_processor_mode 1
		.amdhsa_memory_ordered 1
		.amdhsa_forward_progress 0
		.amdhsa_shared_vgpr_count 0
		.amdhsa_exception_fp_ieee_invalid_op 0
		.amdhsa_exception_fp_denorm_src 0
		.amdhsa_exception_fp_ieee_div_zero 0
		.amdhsa_exception_fp_ieee_overflow 0
		.amdhsa_exception_fp_ieee_underflow 0
		.amdhsa_exception_fp_ieee_inexact 0
		.amdhsa_exception_int_div_zero 0
	.end_amdhsa_kernel
	.section	.text._ZN7rocprim17ROCPRIM_400000_NS6detail17trampoline_kernelINS0_14default_configENS1_35adjacent_difference_config_selectorILb0EyEEZNS1_24adjacent_difference_implIS3_Lb0ELb0EPyS7_N6thrust23THRUST_200600_302600_NS4plusIyEEEE10hipError_tPvRmT2_T3_mT4_P12ihipStream_tbEUlT_E_NS1_11comp_targetILNS1_3genE5ELNS1_11target_archE942ELNS1_3gpuE9ELNS1_3repE0EEENS1_30default_config_static_selectorELNS0_4arch9wavefront6targetE0EEEvT1_,"axG",@progbits,_ZN7rocprim17ROCPRIM_400000_NS6detail17trampoline_kernelINS0_14default_configENS1_35adjacent_difference_config_selectorILb0EyEEZNS1_24adjacent_difference_implIS3_Lb0ELb0EPyS7_N6thrust23THRUST_200600_302600_NS4plusIyEEEE10hipError_tPvRmT2_T3_mT4_P12ihipStream_tbEUlT_E_NS1_11comp_targetILNS1_3genE5ELNS1_11target_archE942ELNS1_3gpuE9ELNS1_3repE0EEENS1_30default_config_static_selectorELNS0_4arch9wavefront6targetE0EEEvT1_,comdat
.Lfunc_end131:
	.size	_ZN7rocprim17ROCPRIM_400000_NS6detail17trampoline_kernelINS0_14default_configENS1_35adjacent_difference_config_selectorILb0EyEEZNS1_24adjacent_difference_implIS3_Lb0ELb0EPyS7_N6thrust23THRUST_200600_302600_NS4plusIyEEEE10hipError_tPvRmT2_T3_mT4_P12ihipStream_tbEUlT_E_NS1_11comp_targetILNS1_3genE5ELNS1_11target_archE942ELNS1_3gpuE9ELNS1_3repE0EEENS1_30default_config_static_selectorELNS0_4arch9wavefront6targetE0EEEvT1_, .Lfunc_end131-_ZN7rocprim17ROCPRIM_400000_NS6detail17trampoline_kernelINS0_14default_configENS1_35adjacent_difference_config_selectorILb0EyEEZNS1_24adjacent_difference_implIS3_Lb0ELb0EPyS7_N6thrust23THRUST_200600_302600_NS4plusIyEEEE10hipError_tPvRmT2_T3_mT4_P12ihipStream_tbEUlT_E_NS1_11comp_targetILNS1_3genE5ELNS1_11target_archE942ELNS1_3gpuE9ELNS1_3repE0EEENS1_30default_config_static_selectorELNS0_4arch9wavefront6targetE0EEEvT1_
                                        ; -- End function
	.section	.AMDGPU.csdata,"",@progbits
; Kernel info:
; codeLenInByte = 0
; NumSgprs: 0
; NumVgprs: 0
; ScratchSize: 0
; MemoryBound: 0
; FloatMode: 240
; IeeeMode: 1
; LDSByteSize: 0 bytes/workgroup (compile time only)
; SGPRBlocks: 0
; VGPRBlocks: 0
; NumSGPRsForWavesPerEU: 1
; NumVGPRsForWavesPerEU: 1
; Occupancy: 16
; WaveLimiterHint : 0
; COMPUTE_PGM_RSRC2:SCRATCH_EN: 0
; COMPUTE_PGM_RSRC2:USER_SGPR: 15
; COMPUTE_PGM_RSRC2:TRAP_HANDLER: 0
; COMPUTE_PGM_RSRC2:TGID_X_EN: 1
; COMPUTE_PGM_RSRC2:TGID_Y_EN: 0
; COMPUTE_PGM_RSRC2:TGID_Z_EN: 0
; COMPUTE_PGM_RSRC2:TIDIG_COMP_CNT: 0
	.section	.text._ZN7rocprim17ROCPRIM_400000_NS6detail17trampoline_kernelINS0_14default_configENS1_35adjacent_difference_config_selectorILb0EyEEZNS1_24adjacent_difference_implIS3_Lb0ELb0EPyS7_N6thrust23THRUST_200600_302600_NS4plusIyEEEE10hipError_tPvRmT2_T3_mT4_P12ihipStream_tbEUlT_E_NS1_11comp_targetILNS1_3genE4ELNS1_11target_archE910ELNS1_3gpuE8ELNS1_3repE0EEENS1_30default_config_static_selectorELNS0_4arch9wavefront6targetE0EEEvT1_,"axG",@progbits,_ZN7rocprim17ROCPRIM_400000_NS6detail17trampoline_kernelINS0_14default_configENS1_35adjacent_difference_config_selectorILb0EyEEZNS1_24adjacent_difference_implIS3_Lb0ELb0EPyS7_N6thrust23THRUST_200600_302600_NS4plusIyEEEE10hipError_tPvRmT2_T3_mT4_P12ihipStream_tbEUlT_E_NS1_11comp_targetILNS1_3genE4ELNS1_11target_archE910ELNS1_3gpuE8ELNS1_3repE0EEENS1_30default_config_static_selectorELNS0_4arch9wavefront6targetE0EEEvT1_,comdat
	.protected	_ZN7rocprim17ROCPRIM_400000_NS6detail17trampoline_kernelINS0_14default_configENS1_35adjacent_difference_config_selectorILb0EyEEZNS1_24adjacent_difference_implIS3_Lb0ELb0EPyS7_N6thrust23THRUST_200600_302600_NS4plusIyEEEE10hipError_tPvRmT2_T3_mT4_P12ihipStream_tbEUlT_E_NS1_11comp_targetILNS1_3genE4ELNS1_11target_archE910ELNS1_3gpuE8ELNS1_3repE0EEENS1_30default_config_static_selectorELNS0_4arch9wavefront6targetE0EEEvT1_ ; -- Begin function _ZN7rocprim17ROCPRIM_400000_NS6detail17trampoline_kernelINS0_14default_configENS1_35adjacent_difference_config_selectorILb0EyEEZNS1_24adjacent_difference_implIS3_Lb0ELb0EPyS7_N6thrust23THRUST_200600_302600_NS4plusIyEEEE10hipError_tPvRmT2_T3_mT4_P12ihipStream_tbEUlT_E_NS1_11comp_targetILNS1_3genE4ELNS1_11target_archE910ELNS1_3gpuE8ELNS1_3repE0EEENS1_30default_config_static_selectorELNS0_4arch9wavefront6targetE0EEEvT1_
	.globl	_ZN7rocprim17ROCPRIM_400000_NS6detail17trampoline_kernelINS0_14default_configENS1_35adjacent_difference_config_selectorILb0EyEEZNS1_24adjacent_difference_implIS3_Lb0ELb0EPyS7_N6thrust23THRUST_200600_302600_NS4plusIyEEEE10hipError_tPvRmT2_T3_mT4_P12ihipStream_tbEUlT_E_NS1_11comp_targetILNS1_3genE4ELNS1_11target_archE910ELNS1_3gpuE8ELNS1_3repE0EEENS1_30default_config_static_selectorELNS0_4arch9wavefront6targetE0EEEvT1_
	.p2align	8
	.type	_ZN7rocprim17ROCPRIM_400000_NS6detail17trampoline_kernelINS0_14default_configENS1_35adjacent_difference_config_selectorILb0EyEEZNS1_24adjacent_difference_implIS3_Lb0ELb0EPyS7_N6thrust23THRUST_200600_302600_NS4plusIyEEEE10hipError_tPvRmT2_T3_mT4_P12ihipStream_tbEUlT_E_NS1_11comp_targetILNS1_3genE4ELNS1_11target_archE910ELNS1_3gpuE8ELNS1_3repE0EEENS1_30default_config_static_selectorELNS0_4arch9wavefront6targetE0EEEvT1_,@function
_ZN7rocprim17ROCPRIM_400000_NS6detail17trampoline_kernelINS0_14default_configENS1_35adjacent_difference_config_selectorILb0EyEEZNS1_24adjacent_difference_implIS3_Lb0ELb0EPyS7_N6thrust23THRUST_200600_302600_NS4plusIyEEEE10hipError_tPvRmT2_T3_mT4_P12ihipStream_tbEUlT_E_NS1_11comp_targetILNS1_3genE4ELNS1_11target_archE910ELNS1_3gpuE8ELNS1_3repE0EEENS1_30default_config_static_selectorELNS0_4arch9wavefront6targetE0EEEvT1_: ; @_ZN7rocprim17ROCPRIM_400000_NS6detail17trampoline_kernelINS0_14default_configENS1_35adjacent_difference_config_selectorILb0EyEEZNS1_24adjacent_difference_implIS3_Lb0ELb0EPyS7_N6thrust23THRUST_200600_302600_NS4plusIyEEEE10hipError_tPvRmT2_T3_mT4_P12ihipStream_tbEUlT_E_NS1_11comp_targetILNS1_3genE4ELNS1_11target_archE910ELNS1_3gpuE8ELNS1_3repE0EEENS1_30default_config_static_selectorELNS0_4arch9wavefront6targetE0EEEvT1_
; %bb.0:
	.section	.rodata,"a",@progbits
	.p2align	6, 0x0
	.amdhsa_kernel _ZN7rocprim17ROCPRIM_400000_NS6detail17trampoline_kernelINS0_14default_configENS1_35adjacent_difference_config_selectorILb0EyEEZNS1_24adjacent_difference_implIS3_Lb0ELb0EPyS7_N6thrust23THRUST_200600_302600_NS4plusIyEEEE10hipError_tPvRmT2_T3_mT4_P12ihipStream_tbEUlT_E_NS1_11comp_targetILNS1_3genE4ELNS1_11target_archE910ELNS1_3gpuE8ELNS1_3repE0EEENS1_30default_config_static_selectorELNS0_4arch9wavefront6targetE0EEEvT1_
		.amdhsa_group_segment_fixed_size 0
		.amdhsa_private_segment_fixed_size 0
		.amdhsa_kernarg_size 56
		.amdhsa_user_sgpr_count 15
		.amdhsa_user_sgpr_dispatch_ptr 0
		.amdhsa_user_sgpr_queue_ptr 0
		.amdhsa_user_sgpr_kernarg_segment_ptr 1
		.amdhsa_user_sgpr_dispatch_id 0
		.amdhsa_user_sgpr_private_segment_size 0
		.amdhsa_wavefront_size32 1
		.amdhsa_uses_dynamic_stack 0
		.amdhsa_enable_private_segment 0
		.amdhsa_system_sgpr_workgroup_id_x 1
		.amdhsa_system_sgpr_workgroup_id_y 0
		.amdhsa_system_sgpr_workgroup_id_z 0
		.amdhsa_system_sgpr_workgroup_info 0
		.amdhsa_system_vgpr_workitem_id 0
		.amdhsa_next_free_vgpr 1
		.amdhsa_next_free_sgpr 1
		.amdhsa_reserve_vcc 0
		.amdhsa_float_round_mode_32 0
		.amdhsa_float_round_mode_16_64 0
		.amdhsa_float_denorm_mode_32 3
		.amdhsa_float_denorm_mode_16_64 3
		.amdhsa_dx10_clamp 1
		.amdhsa_ieee_mode 1
		.amdhsa_fp16_overflow 0
		.amdhsa_workgroup_processor_mode 1
		.amdhsa_memory_ordered 1
		.amdhsa_forward_progress 0
		.amdhsa_shared_vgpr_count 0
		.amdhsa_exception_fp_ieee_invalid_op 0
		.amdhsa_exception_fp_denorm_src 0
		.amdhsa_exception_fp_ieee_div_zero 0
		.amdhsa_exception_fp_ieee_overflow 0
		.amdhsa_exception_fp_ieee_underflow 0
		.amdhsa_exception_fp_ieee_inexact 0
		.amdhsa_exception_int_div_zero 0
	.end_amdhsa_kernel
	.section	.text._ZN7rocprim17ROCPRIM_400000_NS6detail17trampoline_kernelINS0_14default_configENS1_35adjacent_difference_config_selectorILb0EyEEZNS1_24adjacent_difference_implIS3_Lb0ELb0EPyS7_N6thrust23THRUST_200600_302600_NS4plusIyEEEE10hipError_tPvRmT2_T3_mT4_P12ihipStream_tbEUlT_E_NS1_11comp_targetILNS1_3genE4ELNS1_11target_archE910ELNS1_3gpuE8ELNS1_3repE0EEENS1_30default_config_static_selectorELNS0_4arch9wavefront6targetE0EEEvT1_,"axG",@progbits,_ZN7rocprim17ROCPRIM_400000_NS6detail17trampoline_kernelINS0_14default_configENS1_35adjacent_difference_config_selectorILb0EyEEZNS1_24adjacent_difference_implIS3_Lb0ELb0EPyS7_N6thrust23THRUST_200600_302600_NS4plusIyEEEE10hipError_tPvRmT2_T3_mT4_P12ihipStream_tbEUlT_E_NS1_11comp_targetILNS1_3genE4ELNS1_11target_archE910ELNS1_3gpuE8ELNS1_3repE0EEENS1_30default_config_static_selectorELNS0_4arch9wavefront6targetE0EEEvT1_,comdat
.Lfunc_end132:
	.size	_ZN7rocprim17ROCPRIM_400000_NS6detail17trampoline_kernelINS0_14default_configENS1_35adjacent_difference_config_selectorILb0EyEEZNS1_24adjacent_difference_implIS3_Lb0ELb0EPyS7_N6thrust23THRUST_200600_302600_NS4plusIyEEEE10hipError_tPvRmT2_T3_mT4_P12ihipStream_tbEUlT_E_NS1_11comp_targetILNS1_3genE4ELNS1_11target_archE910ELNS1_3gpuE8ELNS1_3repE0EEENS1_30default_config_static_selectorELNS0_4arch9wavefront6targetE0EEEvT1_, .Lfunc_end132-_ZN7rocprim17ROCPRIM_400000_NS6detail17trampoline_kernelINS0_14default_configENS1_35adjacent_difference_config_selectorILb0EyEEZNS1_24adjacent_difference_implIS3_Lb0ELb0EPyS7_N6thrust23THRUST_200600_302600_NS4plusIyEEEE10hipError_tPvRmT2_T3_mT4_P12ihipStream_tbEUlT_E_NS1_11comp_targetILNS1_3genE4ELNS1_11target_archE910ELNS1_3gpuE8ELNS1_3repE0EEENS1_30default_config_static_selectorELNS0_4arch9wavefront6targetE0EEEvT1_
                                        ; -- End function
	.section	.AMDGPU.csdata,"",@progbits
; Kernel info:
; codeLenInByte = 0
; NumSgprs: 0
; NumVgprs: 0
; ScratchSize: 0
; MemoryBound: 0
; FloatMode: 240
; IeeeMode: 1
; LDSByteSize: 0 bytes/workgroup (compile time only)
; SGPRBlocks: 0
; VGPRBlocks: 0
; NumSGPRsForWavesPerEU: 1
; NumVGPRsForWavesPerEU: 1
; Occupancy: 16
; WaveLimiterHint : 0
; COMPUTE_PGM_RSRC2:SCRATCH_EN: 0
; COMPUTE_PGM_RSRC2:USER_SGPR: 15
; COMPUTE_PGM_RSRC2:TRAP_HANDLER: 0
; COMPUTE_PGM_RSRC2:TGID_X_EN: 1
; COMPUTE_PGM_RSRC2:TGID_Y_EN: 0
; COMPUTE_PGM_RSRC2:TGID_Z_EN: 0
; COMPUTE_PGM_RSRC2:TIDIG_COMP_CNT: 0
	.section	.text._ZN7rocprim17ROCPRIM_400000_NS6detail17trampoline_kernelINS0_14default_configENS1_35adjacent_difference_config_selectorILb0EyEEZNS1_24adjacent_difference_implIS3_Lb0ELb0EPyS7_N6thrust23THRUST_200600_302600_NS4plusIyEEEE10hipError_tPvRmT2_T3_mT4_P12ihipStream_tbEUlT_E_NS1_11comp_targetILNS1_3genE3ELNS1_11target_archE908ELNS1_3gpuE7ELNS1_3repE0EEENS1_30default_config_static_selectorELNS0_4arch9wavefront6targetE0EEEvT1_,"axG",@progbits,_ZN7rocprim17ROCPRIM_400000_NS6detail17trampoline_kernelINS0_14default_configENS1_35adjacent_difference_config_selectorILb0EyEEZNS1_24adjacent_difference_implIS3_Lb0ELb0EPyS7_N6thrust23THRUST_200600_302600_NS4plusIyEEEE10hipError_tPvRmT2_T3_mT4_P12ihipStream_tbEUlT_E_NS1_11comp_targetILNS1_3genE3ELNS1_11target_archE908ELNS1_3gpuE7ELNS1_3repE0EEENS1_30default_config_static_selectorELNS0_4arch9wavefront6targetE0EEEvT1_,comdat
	.protected	_ZN7rocprim17ROCPRIM_400000_NS6detail17trampoline_kernelINS0_14default_configENS1_35adjacent_difference_config_selectorILb0EyEEZNS1_24adjacent_difference_implIS3_Lb0ELb0EPyS7_N6thrust23THRUST_200600_302600_NS4plusIyEEEE10hipError_tPvRmT2_T3_mT4_P12ihipStream_tbEUlT_E_NS1_11comp_targetILNS1_3genE3ELNS1_11target_archE908ELNS1_3gpuE7ELNS1_3repE0EEENS1_30default_config_static_selectorELNS0_4arch9wavefront6targetE0EEEvT1_ ; -- Begin function _ZN7rocprim17ROCPRIM_400000_NS6detail17trampoline_kernelINS0_14default_configENS1_35adjacent_difference_config_selectorILb0EyEEZNS1_24adjacent_difference_implIS3_Lb0ELb0EPyS7_N6thrust23THRUST_200600_302600_NS4plusIyEEEE10hipError_tPvRmT2_T3_mT4_P12ihipStream_tbEUlT_E_NS1_11comp_targetILNS1_3genE3ELNS1_11target_archE908ELNS1_3gpuE7ELNS1_3repE0EEENS1_30default_config_static_selectorELNS0_4arch9wavefront6targetE0EEEvT1_
	.globl	_ZN7rocprim17ROCPRIM_400000_NS6detail17trampoline_kernelINS0_14default_configENS1_35adjacent_difference_config_selectorILb0EyEEZNS1_24adjacent_difference_implIS3_Lb0ELb0EPyS7_N6thrust23THRUST_200600_302600_NS4plusIyEEEE10hipError_tPvRmT2_T3_mT4_P12ihipStream_tbEUlT_E_NS1_11comp_targetILNS1_3genE3ELNS1_11target_archE908ELNS1_3gpuE7ELNS1_3repE0EEENS1_30default_config_static_selectorELNS0_4arch9wavefront6targetE0EEEvT1_
	.p2align	8
	.type	_ZN7rocprim17ROCPRIM_400000_NS6detail17trampoline_kernelINS0_14default_configENS1_35adjacent_difference_config_selectorILb0EyEEZNS1_24adjacent_difference_implIS3_Lb0ELb0EPyS7_N6thrust23THRUST_200600_302600_NS4plusIyEEEE10hipError_tPvRmT2_T3_mT4_P12ihipStream_tbEUlT_E_NS1_11comp_targetILNS1_3genE3ELNS1_11target_archE908ELNS1_3gpuE7ELNS1_3repE0EEENS1_30default_config_static_selectorELNS0_4arch9wavefront6targetE0EEEvT1_,@function
_ZN7rocprim17ROCPRIM_400000_NS6detail17trampoline_kernelINS0_14default_configENS1_35adjacent_difference_config_selectorILb0EyEEZNS1_24adjacent_difference_implIS3_Lb0ELb0EPyS7_N6thrust23THRUST_200600_302600_NS4plusIyEEEE10hipError_tPvRmT2_T3_mT4_P12ihipStream_tbEUlT_E_NS1_11comp_targetILNS1_3genE3ELNS1_11target_archE908ELNS1_3gpuE7ELNS1_3repE0EEENS1_30default_config_static_selectorELNS0_4arch9wavefront6targetE0EEEvT1_: ; @_ZN7rocprim17ROCPRIM_400000_NS6detail17trampoline_kernelINS0_14default_configENS1_35adjacent_difference_config_selectorILb0EyEEZNS1_24adjacent_difference_implIS3_Lb0ELb0EPyS7_N6thrust23THRUST_200600_302600_NS4plusIyEEEE10hipError_tPvRmT2_T3_mT4_P12ihipStream_tbEUlT_E_NS1_11comp_targetILNS1_3genE3ELNS1_11target_archE908ELNS1_3gpuE7ELNS1_3repE0EEENS1_30default_config_static_selectorELNS0_4arch9wavefront6targetE0EEEvT1_
; %bb.0:
	.section	.rodata,"a",@progbits
	.p2align	6, 0x0
	.amdhsa_kernel _ZN7rocprim17ROCPRIM_400000_NS6detail17trampoline_kernelINS0_14default_configENS1_35adjacent_difference_config_selectorILb0EyEEZNS1_24adjacent_difference_implIS3_Lb0ELb0EPyS7_N6thrust23THRUST_200600_302600_NS4plusIyEEEE10hipError_tPvRmT2_T3_mT4_P12ihipStream_tbEUlT_E_NS1_11comp_targetILNS1_3genE3ELNS1_11target_archE908ELNS1_3gpuE7ELNS1_3repE0EEENS1_30default_config_static_selectorELNS0_4arch9wavefront6targetE0EEEvT1_
		.amdhsa_group_segment_fixed_size 0
		.amdhsa_private_segment_fixed_size 0
		.amdhsa_kernarg_size 56
		.amdhsa_user_sgpr_count 15
		.amdhsa_user_sgpr_dispatch_ptr 0
		.amdhsa_user_sgpr_queue_ptr 0
		.amdhsa_user_sgpr_kernarg_segment_ptr 1
		.amdhsa_user_sgpr_dispatch_id 0
		.amdhsa_user_sgpr_private_segment_size 0
		.amdhsa_wavefront_size32 1
		.amdhsa_uses_dynamic_stack 0
		.amdhsa_enable_private_segment 0
		.amdhsa_system_sgpr_workgroup_id_x 1
		.amdhsa_system_sgpr_workgroup_id_y 0
		.amdhsa_system_sgpr_workgroup_id_z 0
		.amdhsa_system_sgpr_workgroup_info 0
		.amdhsa_system_vgpr_workitem_id 0
		.amdhsa_next_free_vgpr 1
		.amdhsa_next_free_sgpr 1
		.amdhsa_reserve_vcc 0
		.amdhsa_float_round_mode_32 0
		.amdhsa_float_round_mode_16_64 0
		.amdhsa_float_denorm_mode_32 3
		.amdhsa_float_denorm_mode_16_64 3
		.amdhsa_dx10_clamp 1
		.amdhsa_ieee_mode 1
		.amdhsa_fp16_overflow 0
		.amdhsa_workgroup_processor_mode 1
		.amdhsa_memory_ordered 1
		.amdhsa_forward_progress 0
		.amdhsa_shared_vgpr_count 0
		.amdhsa_exception_fp_ieee_invalid_op 0
		.amdhsa_exception_fp_denorm_src 0
		.amdhsa_exception_fp_ieee_div_zero 0
		.amdhsa_exception_fp_ieee_overflow 0
		.amdhsa_exception_fp_ieee_underflow 0
		.amdhsa_exception_fp_ieee_inexact 0
		.amdhsa_exception_int_div_zero 0
	.end_amdhsa_kernel
	.section	.text._ZN7rocprim17ROCPRIM_400000_NS6detail17trampoline_kernelINS0_14default_configENS1_35adjacent_difference_config_selectorILb0EyEEZNS1_24adjacent_difference_implIS3_Lb0ELb0EPyS7_N6thrust23THRUST_200600_302600_NS4plusIyEEEE10hipError_tPvRmT2_T3_mT4_P12ihipStream_tbEUlT_E_NS1_11comp_targetILNS1_3genE3ELNS1_11target_archE908ELNS1_3gpuE7ELNS1_3repE0EEENS1_30default_config_static_selectorELNS0_4arch9wavefront6targetE0EEEvT1_,"axG",@progbits,_ZN7rocprim17ROCPRIM_400000_NS6detail17trampoline_kernelINS0_14default_configENS1_35adjacent_difference_config_selectorILb0EyEEZNS1_24adjacent_difference_implIS3_Lb0ELb0EPyS7_N6thrust23THRUST_200600_302600_NS4plusIyEEEE10hipError_tPvRmT2_T3_mT4_P12ihipStream_tbEUlT_E_NS1_11comp_targetILNS1_3genE3ELNS1_11target_archE908ELNS1_3gpuE7ELNS1_3repE0EEENS1_30default_config_static_selectorELNS0_4arch9wavefront6targetE0EEEvT1_,comdat
.Lfunc_end133:
	.size	_ZN7rocprim17ROCPRIM_400000_NS6detail17trampoline_kernelINS0_14default_configENS1_35adjacent_difference_config_selectorILb0EyEEZNS1_24adjacent_difference_implIS3_Lb0ELb0EPyS7_N6thrust23THRUST_200600_302600_NS4plusIyEEEE10hipError_tPvRmT2_T3_mT4_P12ihipStream_tbEUlT_E_NS1_11comp_targetILNS1_3genE3ELNS1_11target_archE908ELNS1_3gpuE7ELNS1_3repE0EEENS1_30default_config_static_selectorELNS0_4arch9wavefront6targetE0EEEvT1_, .Lfunc_end133-_ZN7rocprim17ROCPRIM_400000_NS6detail17trampoline_kernelINS0_14default_configENS1_35adjacent_difference_config_selectorILb0EyEEZNS1_24adjacent_difference_implIS3_Lb0ELb0EPyS7_N6thrust23THRUST_200600_302600_NS4plusIyEEEE10hipError_tPvRmT2_T3_mT4_P12ihipStream_tbEUlT_E_NS1_11comp_targetILNS1_3genE3ELNS1_11target_archE908ELNS1_3gpuE7ELNS1_3repE0EEENS1_30default_config_static_selectorELNS0_4arch9wavefront6targetE0EEEvT1_
                                        ; -- End function
	.section	.AMDGPU.csdata,"",@progbits
; Kernel info:
; codeLenInByte = 0
; NumSgprs: 0
; NumVgprs: 0
; ScratchSize: 0
; MemoryBound: 0
; FloatMode: 240
; IeeeMode: 1
; LDSByteSize: 0 bytes/workgroup (compile time only)
; SGPRBlocks: 0
; VGPRBlocks: 0
; NumSGPRsForWavesPerEU: 1
; NumVGPRsForWavesPerEU: 1
; Occupancy: 16
; WaveLimiterHint : 0
; COMPUTE_PGM_RSRC2:SCRATCH_EN: 0
; COMPUTE_PGM_RSRC2:USER_SGPR: 15
; COMPUTE_PGM_RSRC2:TRAP_HANDLER: 0
; COMPUTE_PGM_RSRC2:TGID_X_EN: 1
; COMPUTE_PGM_RSRC2:TGID_Y_EN: 0
; COMPUTE_PGM_RSRC2:TGID_Z_EN: 0
; COMPUTE_PGM_RSRC2:TIDIG_COMP_CNT: 0
	.section	.text._ZN7rocprim17ROCPRIM_400000_NS6detail17trampoline_kernelINS0_14default_configENS1_35adjacent_difference_config_selectorILb0EyEEZNS1_24adjacent_difference_implIS3_Lb0ELb0EPyS7_N6thrust23THRUST_200600_302600_NS4plusIyEEEE10hipError_tPvRmT2_T3_mT4_P12ihipStream_tbEUlT_E_NS1_11comp_targetILNS1_3genE2ELNS1_11target_archE906ELNS1_3gpuE6ELNS1_3repE0EEENS1_30default_config_static_selectorELNS0_4arch9wavefront6targetE0EEEvT1_,"axG",@progbits,_ZN7rocprim17ROCPRIM_400000_NS6detail17trampoline_kernelINS0_14default_configENS1_35adjacent_difference_config_selectorILb0EyEEZNS1_24adjacent_difference_implIS3_Lb0ELb0EPyS7_N6thrust23THRUST_200600_302600_NS4plusIyEEEE10hipError_tPvRmT2_T3_mT4_P12ihipStream_tbEUlT_E_NS1_11comp_targetILNS1_3genE2ELNS1_11target_archE906ELNS1_3gpuE6ELNS1_3repE0EEENS1_30default_config_static_selectorELNS0_4arch9wavefront6targetE0EEEvT1_,comdat
	.protected	_ZN7rocprim17ROCPRIM_400000_NS6detail17trampoline_kernelINS0_14default_configENS1_35adjacent_difference_config_selectorILb0EyEEZNS1_24adjacent_difference_implIS3_Lb0ELb0EPyS7_N6thrust23THRUST_200600_302600_NS4plusIyEEEE10hipError_tPvRmT2_T3_mT4_P12ihipStream_tbEUlT_E_NS1_11comp_targetILNS1_3genE2ELNS1_11target_archE906ELNS1_3gpuE6ELNS1_3repE0EEENS1_30default_config_static_selectorELNS0_4arch9wavefront6targetE0EEEvT1_ ; -- Begin function _ZN7rocprim17ROCPRIM_400000_NS6detail17trampoline_kernelINS0_14default_configENS1_35adjacent_difference_config_selectorILb0EyEEZNS1_24adjacent_difference_implIS3_Lb0ELb0EPyS7_N6thrust23THRUST_200600_302600_NS4plusIyEEEE10hipError_tPvRmT2_T3_mT4_P12ihipStream_tbEUlT_E_NS1_11comp_targetILNS1_3genE2ELNS1_11target_archE906ELNS1_3gpuE6ELNS1_3repE0EEENS1_30default_config_static_selectorELNS0_4arch9wavefront6targetE0EEEvT1_
	.globl	_ZN7rocprim17ROCPRIM_400000_NS6detail17trampoline_kernelINS0_14default_configENS1_35adjacent_difference_config_selectorILb0EyEEZNS1_24adjacent_difference_implIS3_Lb0ELb0EPyS7_N6thrust23THRUST_200600_302600_NS4plusIyEEEE10hipError_tPvRmT2_T3_mT4_P12ihipStream_tbEUlT_E_NS1_11comp_targetILNS1_3genE2ELNS1_11target_archE906ELNS1_3gpuE6ELNS1_3repE0EEENS1_30default_config_static_selectorELNS0_4arch9wavefront6targetE0EEEvT1_
	.p2align	8
	.type	_ZN7rocprim17ROCPRIM_400000_NS6detail17trampoline_kernelINS0_14default_configENS1_35adjacent_difference_config_selectorILb0EyEEZNS1_24adjacent_difference_implIS3_Lb0ELb0EPyS7_N6thrust23THRUST_200600_302600_NS4plusIyEEEE10hipError_tPvRmT2_T3_mT4_P12ihipStream_tbEUlT_E_NS1_11comp_targetILNS1_3genE2ELNS1_11target_archE906ELNS1_3gpuE6ELNS1_3repE0EEENS1_30default_config_static_selectorELNS0_4arch9wavefront6targetE0EEEvT1_,@function
_ZN7rocprim17ROCPRIM_400000_NS6detail17trampoline_kernelINS0_14default_configENS1_35adjacent_difference_config_selectorILb0EyEEZNS1_24adjacent_difference_implIS3_Lb0ELb0EPyS7_N6thrust23THRUST_200600_302600_NS4plusIyEEEE10hipError_tPvRmT2_T3_mT4_P12ihipStream_tbEUlT_E_NS1_11comp_targetILNS1_3genE2ELNS1_11target_archE906ELNS1_3gpuE6ELNS1_3repE0EEENS1_30default_config_static_selectorELNS0_4arch9wavefront6targetE0EEEvT1_: ; @_ZN7rocprim17ROCPRIM_400000_NS6detail17trampoline_kernelINS0_14default_configENS1_35adjacent_difference_config_selectorILb0EyEEZNS1_24adjacent_difference_implIS3_Lb0ELb0EPyS7_N6thrust23THRUST_200600_302600_NS4plusIyEEEE10hipError_tPvRmT2_T3_mT4_P12ihipStream_tbEUlT_E_NS1_11comp_targetILNS1_3genE2ELNS1_11target_archE906ELNS1_3gpuE6ELNS1_3repE0EEENS1_30default_config_static_selectorELNS0_4arch9wavefront6targetE0EEEvT1_
; %bb.0:
	.section	.rodata,"a",@progbits
	.p2align	6, 0x0
	.amdhsa_kernel _ZN7rocprim17ROCPRIM_400000_NS6detail17trampoline_kernelINS0_14default_configENS1_35adjacent_difference_config_selectorILb0EyEEZNS1_24adjacent_difference_implIS3_Lb0ELb0EPyS7_N6thrust23THRUST_200600_302600_NS4plusIyEEEE10hipError_tPvRmT2_T3_mT4_P12ihipStream_tbEUlT_E_NS1_11comp_targetILNS1_3genE2ELNS1_11target_archE906ELNS1_3gpuE6ELNS1_3repE0EEENS1_30default_config_static_selectorELNS0_4arch9wavefront6targetE0EEEvT1_
		.amdhsa_group_segment_fixed_size 0
		.amdhsa_private_segment_fixed_size 0
		.amdhsa_kernarg_size 56
		.amdhsa_user_sgpr_count 15
		.amdhsa_user_sgpr_dispatch_ptr 0
		.amdhsa_user_sgpr_queue_ptr 0
		.amdhsa_user_sgpr_kernarg_segment_ptr 1
		.amdhsa_user_sgpr_dispatch_id 0
		.amdhsa_user_sgpr_private_segment_size 0
		.amdhsa_wavefront_size32 1
		.amdhsa_uses_dynamic_stack 0
		.amdhsa_enable_private_segment 0
		.amdhsa_system_sgpr_workgroup_id_x 1
		.amdhsa_system_sgpr_workgroup_id_y 0
		.amdhsa_system_sgpr_workgroup_id_z 0
		.amdhsa_system_sgpr_workgroup_info 0
		.amdhsa_system_vgpr_workitem_id 0
		.amdhsa_next_free_vgpr 1
		.amdhsa_next_free_sgpr 1
		.amdhsa_reserve_vcc 0
		.amdhsa_float_round_mode_32 0
		.amdhsa_float_round_mode_16_64 0
		.amdhsa_float_denorm_mode_32 3
		.amdhsa_float_denorm_mode_16_64 3
		.amdhsa_dx10_clamp 1
		.amdhsa_ieee_mode 1
		.amdhsa_fp16_overflow 0
		.amdhsa_workgroup_processor_mode 1
		.amdhsa_memory_ordered 1
		.amdhsa_forward_progress 0
		.amdhsa_shared_vgpr_count 0
		.amdhsa_exception_fp_ieee_invalid_op 0
		.amdhsa_exception_fp_denorm_src 0
		.amdhsa_exception_fp_ieee_div_zero 0
		.amdhsa_exception_fp_ieee_overflow 0
		.amdhsa_exception_fp_ieee_underflow 0
		.amdhsa_exception_fp_ieee_inexact 0
		.amdhsa_exception_int_div_zero 0
	.end_amdhsa_kernel
	.section	.text._ZN7rocprim17ROCPRIM_400000_NS6detail17trampoline_kernelINS0_14default_configENS1_35adjacent_difference_config_selectorILb0EyEEZNS1_24adjacent_difference_implIS3_Lb0ELb0EPyS7_N6thrust23THRUST_200600_302600_NS4plusIyEEEE10hipError_tPvRmT2_T3_mT4_P12ihipStream_tbEUlT_E_NS1_11comp_targetILNS1_3genE2ELNS1_11target_archE906ELNS1_3gpuE6ELNS1_3repE0EEENS1_30default_config_static_selectorELNS0_4arch9wavefront6targetE0EEEvT1_,"axG",@progbits,_ZN7rocprim17ROCPRIM_400000_NS6detail17trampoline_kernelINS0_14default_configENS1_35adjacent_difference_config_selectorILb0EyEEZNS1_24adjacent_difference_implIS3_Lb0ELb0EPyS7_N6thrust23THRUST_200600_302600_NS4plusIyEEEE10hipError_tPvRmT2_T3_mT4_P12ihipStream_tbEUlT_E_NS1_11comp_targetILNS1_3genE2ELNS1_11target_archE906ELNS1_3gpuE6ELNS1_3repE0EEENS1_30default_config_static_selectorELNS0_4arch9wavefront6targetE0EEEvT1_,comdat
.Lfunc_end134:
	.size	_ZN7rocprim17ROCPRIM_400000_NS6detail17trampoline_kernelINS0_14default_configENS1_35adjacent_difference_config_selectorILb0EyEEZNS1_24adjacent_difference_implIS3_Lb0ELb0EPyS7_N6thrust23THRUST_200600_302600_NS4plusIyEEEE10hipError_tPvRmT2_T3_mT4_P12ihipStream_tbEUlT_E_NS1_11comp_targetILNS1_3genE2ELNS1_11target_archE906ELNS1_3gpuE6ELNS1_3repE0EEENS1_30default_config_static_selectorELNS0_4arch9wavefront6targetE0EEEvT1_, .Lfunc_end134-_ZN7rocprim17ROCPRIM_400000_NS6detail17trampoline_kernelINS0_14default_configENS1_35adjacent_difference_config_selectorILb0EyEEZNS1_24adjacent_difference_implIS3_Lb0ELb0EPyS7_N6thrust23THRUST_200600_302600_NS4plusIyEEEE10hipError_tPvRmT2_T3_mT4_P12ihipStream_tbEUlT_E_NS1_11comp_targetILNS1_3genE2ELNS1_11target_archE906ELNS1_3gpuE6ELNS1_3repE0EEENS1_30default_config_static_selectorELNS0_4arch9wavefront6targetE0EEEvT1_
                                        ; -- End function
	.section	.AMDGPU.csdata,"",@progbits
; Kernel info:
; codeLenInByte = 0
; NumSgprs: 0
; NumVgprs: 0
; ScratchSize: 0
; MemoryBound: 0
; FloatMode: 240
; IeeeMode: 1
; LDSByteSize: 0 bytes/workgroup (compile time only)
; SGPRBlocks: 0
; VGPRBlocks: 0
; NumSGPRsForWavesPerEU: 1
; NumVGPRsForWavesPerEU: 1
; Occupancy: 16
; WaveLimiterHint : 0
; COMPUTE_PGM_RSRC2:SCRATCH_EN: 0
; COMPUTE_PGM_RSRC2:USER_SGPR: 15
; COMPUTE_PGM_RSRC2:TRAP_HANDLER: 0
; COMPUTE_PGM_RSRC2:TGID_X_EN: 1
; COMPUTE_PGM_RSRC2:TGID_Y_EN: 0
; COMPUTE_PGM_RSRC2:TGID_Z_EN: 0
; COMPUTE_PGM_RSRC2:TIDIG_COMP_CNT: 0
	.section	.text._ZN7rocprim17ROCPRIM_400000_NS6detail17trampoline_kernelINS0_14default_configENS1_35adjacent_difference_config_selectorILb0EyEEZNS1_24adjacent_difference_implIS3_Lb0ELb0EPyS7_N6thrust23THRUST_200600_302600_NS4plusIyEEEE10hipError_tPvRmT2_T3_mT4_P12ihipStream_tbEUlT_E_NS1_11comp_targetILNS1_3genE9ELNS1_11target_archE1100ELNS1_3gpuE3ELNS1_3repE0EEENS1_30default_config_static_selectorELNS0_4arch9wavefront6targetE0EEEvT1_,"axG",@progbits,_ZN7rocprim17ROCPRIM_400000_NS6detail17trampoline_kernelINS0_14default_configENS1_35adjacent_difference_config_selectorILb0EyEEZNS1_24adjacent_difference_implIS3_Lb0ELb0EPyS7_N6thrust23THRUST_200600_302600_NS4plusIyEEEE10hipError_tPvRmT2_T3_mT4_P12ihipStream_tbEUlT_E_NS1_11comp_targetILNS1_3genE9ELNS1_11target_archE1100ELNS1_3gpuE3ELNS1_3repE0EEENS1_30default_config_static_selectorELNS0_4arch9wavefront6targetE0EEEvT1_,comdat
	.protected	_ZN7rocprim17ROCPRIM_400000_NS6detail17trampoline_kernelINS0_14default_configENS1_35adjacent_difference_config_selectorILb0EyEEZNS1_24adjacent_difference_implIS3_Lb0ELb0EPyS7_N6thrust23THRUST_200600_302600_NS4plusIyEEEE10hipError_tPvRmT2_T3_mT4_P12ihipStream_tbEUlT_E_NS1_11comp_targetILNS1_3genE9ELNS1_11target_archE1100ELNS1_3gpuE3ELNS1_3repE0EEENS1_30default_config_static_selectorELNS0_4arch9wavefront6targetE0EEEvT1_ ; -- Begin function _ZN7rocprim17ROCPRIM_400000_NS6detail17trampoline_kernelINS0_14default_configENS1_35adjacent_difference_config_selectorILb0EyEEZNS1_24adjacent_difference_implIS3_Lb0ELb0EPyS7_N6thrust23THRUST_200600_302600_NS4plusIyEEEE10hipError_tPvRmT2_T3_mT4_P12ihipStream_tbEUlT_E_NS1_11comp_targetILNS1_3genE9ELNS1_11target_archE1100ELNS1_3gpuE3ELNS1_3repE0EEENS1_30default_config_static_selectorELNS0_4arch9wavefront6targetE0EEEvT1_
	.globl	_ZN7rocprim17ROCPRIM_400000_NS6detail17trampoline_kernelINS0_14default_configENS1_35adjacent_difference_config_selectorILb0EyEEZNS1_24adjacent_difference_implIS3_Lb0ELb0EPyS7_N6thrust23THRUST_200600_302600_NS4plusIyEEEE10hipError_tPvRmT2_T3_mT4_P12ihipStream_tbEUlT_E_NS1_11comp_targetILNS1_3genE9ELNS1_11target_archE1100ELNS1_3gpuE3ELNS1_3repE0EEENS1_30default_config_static_selectorELNS0_4arch9wavefront6targetE0EEEvT1_
	.p2align	8
	.type	_ZN7rocprim17ROCPRIM_400000_NS6detail17trampoline_kernelINS0_14default_configENS1_35adjacent_difference_config_selectorILb0EyEEZNS1_24adjacent_difference_implIS3_Lb0ELb0EPyS7_N6thrust23THRUST_200600_302600_NS4plusIyEEEE10hipError_tPvRmT2_T3_mT4_P12ihipStream_tbEUlT_E_NS1_11comp_targetILNS1_3genE9ELNS1_11target_archE1100ELNS1_3gpuE3ELNS1_3repE0EEENS1_30default_config_static_selectorELNS0_4arch9wavefront6targetE0EEEvT1_,@function
_ZN7rocprim17ROCPRIM_400000_NS6detail17trampoline_kernelINS0_14default_configENS1_35adjacent_difference_config_selectorILb0EyEEZNS1_24adjacent_difference_implIS3_Lb0ELb0EPyS7_N6thrust23THRUST_200600_302600_NS4plusIyEEEE10hipError_tPvRmT2_T3_mT4_P12ihipStream_tbEUlT_E_NS1_11comp_targetILNS1_3genE9ELNS1_11target_archE1100ELNS1_3gpuE3ELNS1_3repE0EEENS1_30default_config_static_selectorELNS0_4arch9wavefront6targetE0EEEvT1_: ; @_ZN7rocprim17ROCPRIM_400000_NS6detail17trampoline_kernelINS0_14default_configENS1_35adjacent_difference_config_selectorILb0EyEEZNS1_24adjacent_difference_implIS3_Lb0ELb0EPyS7_N6thrust23THRUST_200600_302600_NS4plusIyEEEE10hipError_tPvRmT2_T3_mT4_P12ihipStream_tbEUlT_E_NS1_11comp_targetILNS1_3genE9ELNS1_11target_archE1100ELNS1_3gpuE3ELNS1_3repE0EEENS1_30default_config_static_selectorELNS0_4arch9wavefront6targetE0EEEvT1_
; %bb.0:
	s_clause 0x1
	s_load_b256 s[4:11], s[0:1], 0x0
	s_load_b64 s[18:19], s[0:1], 0x30
	s_mov_b32 s13, 0
	s_waitcnt lgkmcnt(0)
	s_lshl_b64 s[6:7], s[6:7], 3
	s_delay_alu instid0(SALU_CYCLE_1)
	s_add_u32 s14, s4, s6
	s_addc_u32 s16, s5, s7
	s_and_b32 s12, s10, 0x1ff
	s_lshl_b32 s2, s15, 9
	s_lshr_b64 s[0:1], s[10:11], 9
	s_cmp_lg_u64 s[12:13], 0
	s_cselect_b32 s3, -1, 0
	s_delay_alu instid0(SALU_CYCLE_1) | instskip(NEXT) | instid1(VALU_DEP_1)
	v_cndmask_b32_e64 v1, 0, 1, s3
	v_readfirstlane_b32 s3, v1
	s_delay_alu instid0(VALU_DEP_1)
	s_add_u32 s0, s0, s3
	s_addc_u32 s1, s1, 0
	s_add_u32 s12, s18, s15
	s_addc_u32 s13, s19, 0
	s_add_u32 s4, s0, -1
	s_addc_u32 s5, s1, -1
	s_delay_alu instid0(SALU_CYCLE_1) | instskip(NEXT) | instid1(VALU_DEP_1)
	v_cmp_ge_u64_e64 s11, s[12:13], s[4:5]
	s_and_b32 vcc_lo, exec_lo, s11
	s_cbranch_vccz .LBB135_4
; %bb.1:
	s_lshl_b32 s3, s4, 9
	s_mov_b32 s15, exec_lo
	s_sub_i32 s3, s10, s3
                                        ; implicit-def: $vgpr1_vgpr2
	s_delay_alu instid0(SALU_CYCLE_1)
	v_cmpx_gt_u32_e64 s3, v0
	s_cbranch_execz .LBB135_3
; %bb.2:
	s_mov_b32 s3, 0
	v_lshlrev_b32_e32 v1, 3, v0
	s_lshl_b64 s[18:19], s[2:3], 3
	s_delay_alu instid0(SALU_CYCLE_1)
	s_add_u32 s18, s14, s18
	s_addc_u32 s19, s16, s19
	global_load_b64 v[1:2], v1, s[18:19]
.LBB135_3:
	s_or_b32 exec_lo, exec_lo, s15
	v_lshlrev_b32_e32 v3, 3, v0
	s_waitcnt vmcnt(0)
	ds_store_b64 v3, v[1:2]
	s_waitcnt lgkmcnt(0)
	s_barrier
	v_lshlrev_b32_e32 v5, 3, v0
	s_branch .LBB135_6
.LBB135_4:
                                        ; implicit-def: $vgpr3
	v_lshlrev_b32_e32 v5, 3, v0
	s_cbranch_execz .LBB135_6
; %bb.5:
	s_mov_b32 s3, 0
	s_delay_alu instid0(VALU_DEP_1) | instskip(SKIP_1) | instid1(SALU_CYCLE_1)
	v_mov_b32_e32 v3, v5
	s_lshl_b64 s[18:19], s[2:3], 3
	s_add_u32 s18, s14, s18
	s_addc_u32 s19, s16, s19
	global_load_b64 v[1:2], v5, s[18:19]
	s_waitcnt vmcnt(0)
	ds_store_b64 v5, v[1:2]
	s_waitcnt lgkmcnt(0)
	s_barrier
.LBB135_6:
	buffer_gl0_inv
	ds_load_b64 v[1:2], v3
	s_cmp_eq_u64 s[12:13], 0
	s_waitcnt lgkmcnt(0)
	s_barrier
	buffer_gl0_inv
	s_cbranch_scc1 .LBB135_11
; %bb.7:
	s_mov_b32 s3, 0
	s_delay_alu instid0(SALU_CYCLE_1) | instskip(NEXT) | instid1(SALU_CYCLE_1)
	s_lshl_b64 s[18:19], s[2:3], 3
	s_add_u32 s3, s14, s18
	s_addc_u32 s15, s16, s19
	s_add_u32 s14, s3, -8
	s_addc_u32 s15, s15, -1
	s_cmp_eq_u64 s[12:13], s[4:5]
	s_load_b64 s[14:15], s[14:15], 0x0
	s_cbranch_scc1 .LBB135_12
; %bb.8:
	s_waitcnt lgkmcnt(0)
	v_dual_mov_b32 v3, s14 :: v_dual_mov_b32 v4, s15
	s_mov_b32 s3, exec_lo
	ds_store_b64 v5, v[1:2]
	s_waitcnt lgkmcnt(0)
	s_barrier
	buffer_gl0_inv
	v_cmpx_ne_u32_e32 0, v0
	s_cbranch_execz .LBB135_10
; %bb.9:
	v_add_nc_u32_e32 v3, -8, v5
	ds_load_b64 v[3:4], v3
.LBB135_10:
	s_or_b32 exec_lo, exec_lo, s3
	s_waitcnt lgkmcnt(0)
	v_add_co_u32 v3, vcc_lo, v3, v1
	v_add_co_ci_u32_e32 v4, vcc_lo, v4, v2, vcc_lo
	s_branch .LBB135_16
.LBB135_11:
                                        ; implicit-def: $vgpr3_vgpr4
	s_branch .LBB135_17
.LBB135_12:
                                        ; implicit-def: $vgpr3_vgpr4
	s_cbranch_execz .LBB135_16
; %bb.13:
	s_waitcnt lgkmcnt(0)
	v_dual_mov_b32 v3, s14 :: v_dual_mov_b32 v4, s15
	s_mov_b32 s3, exec_lo
	ds_store_b64 v5, v[1:2]
	s_waitcnt lgkmcnt(0)
	s_barrier
	buffer_gl0_inv
	v_cmpx_ne_u32_e32 0, v0
	s_cbranch_execz .LBB135_15
; %bb.14:
	v_add_nc_u32_e32 v3, -8, v5
	ds_load_b64 v[3:4], v3
.LBB135_15:
	s_or_b32 exec_lo, exec_lo, s3
	s_lshl_b32 s3, s12, 9
	s_delay_alu instid0(SALU_CYCLE_1) | instskip(NEXT) | instid1(SALU_CYCLE_1)
	s_sub_i32 s3, s10, s3
	v_cmp_gt_u32_e32 vcc_lo, s3, v0
	s_waitcnt lgkmcnt(0)
	v_dual_cndmask_b32 v4, 0, v4 :: v_dual_cndmask_b32 v3, 0, v3
	s_delay_alu instid0(VALU_DEP_1) | instskip(NEXT) | instid1(VALU_DEP_2)
	v_add_co_u32 v3, vcc_lo, v3, v1
	v_add_co_ci_u32_e32 v4, vcc_lo, v4, v2, vcc_lo
.LBB135_16:
	s_cbranch_execnz .LBB135_25
.LBB135_17:
	v_cmp_ne_u32_e32 vcc_lo, 0, v0
	s_cmp_eq_u64 s[0:1], 1
	s_cbranch_scc1 .LBB135_21
; %bb.18:
	v_dual_mov_b32 v4, v2 :: v_dual_mov_b32 v3, v1
	s_mov_b32 s0, 0
	ds_store_b64 v5, v[1:2]
	s_waitcnt lgkmcnt(0)
	s_barrier
	buffer_gl0_inv
	s_and_saveexec_b32 s1, vcc_lo
	s_cbranch_execz .LBB135_20
; %bb.19:
	v_add_nc_u32_e32 v3, -8, v5
	ds_load_b64 v[3:4], v3
	s_waitcnt lgkmcnt(0)
	v_add_co_u32 v3, vcc_lo, v3, v1
	v_add_co_ci_u32_e32 v4, vcc_lo, v4, v2, vcc_lo
.LBB135_20:
	s_or_b32 exec_lo, exec_lo, s1
	s_delay_alu instid0(SALU_CYCLE_1)
	s_and_not1_b32 vcc_lo, exec_lo, s0
	s_cbranch_vccz .LBB135_22
	s_branch .LBB135_25
.LBB135_21:
                                        ; implicit-def: $vgpr3_vgpr4
.LBB135_22:
	v_cmp_ne_u32_e32 vcc_lo, 0, v0
	v_cmp_gt_u32_e64 s0, s10, v0
	ds_store_b64 v5, v[1:2]
	s_waitcnt lgkmcnt(0)
	s_barrier
	buffer_gl0_inv
	s_and_b32 s1, vcc_lo, s0
	s_delay_alu instid0(SALU_CYCLE_1)
	s_and_saveexec_b32 s0, s1
	s_cbranch_execz .LBB135_24
; %bb.23:
	v_add_nc_u32_e32 v3, -8, v5
	ds_load_b64 v[3:4], v3
	s_waitcnt lgkmcnt(0)
	v_add_co_u32 v1, vcc_lo, v3, v1
	v_add_co_ci_u32_e32 v2, vcc_lo, v4, v2, vcc_lo
.LBB135_24:
	s_or_b32 exec_lo, exec_lo, s0
	s_delay_alu instid0(VALU_DEP_1)
	v_dual_mov_b32 v4, v2 :: v_dual_mov_b32 v3, v1
.LBB135_25:
	s_add_u32 s0, s8, s6
	s_addc_u32 s1, s9, s7
	s_and_b32 vcc_lo, exec_lo, s11
	s_mov_b32 s3, -1
	s_waitcnt lgkmcnt(0)
	s_barrier
	buffer_gl0_inv
	s_cbranch_vccnz .LBB135_28
; %bb.26:
	s_and_not1_b32 vcc_lo, exec_lo, s3
	s_cbranch_vccz .LBB135_31
.LBB135_27:
	s_nop 0
	s_sendmsg sendmsg(MSG_DEALLOC_VGPRS)
	s_endpgm
.LBB135_28:
	s_lshl_b32 s3, s4, 9
	s_mov_b32 s4, exec_lo
	s_sub_i32 s3, s10, s3
	ds_store_b64 v5, v[3:4]
	s_waitcnt lgkmcnt(0)
	s_barrier
	buffer_gl0_inv
	v_cmpx_gt_u32_e64 s3, v0
	s_cbranch_execz .LBB135_30
; %bb.29:
	ds_load_b64 v[0:1], v5
	s_mov_b32 s3, 0
	s_delay_alu instid0(SALU_CYCLE_1) | instskip(NEXT) | instid1(SALU_CYCLE_1)
	s_lshl_b64 s[6:7], s[2:3], 3
	s_add_u32 s6, s0, s6
	s_addc_u32 s7, s1, s7
	s_waitcnt lgkmcnt(0)
	global_store_b64 v5, v[0:1], s[6:7]
.LBB135_30:
	s_or_b32 exec_lo, exec_lo, s4
	s_cbranch_execnz .LBB135_27
.LBB135_31:
	ds_store_b64 v5, v[3:4]
	s_waitcnt lgkmcnt(0)
	s_waitcnt_vscnt null, 0x0
	s_barrier
	buffer_gl0_inv
	ds_load_b64 v[0:1], v5
	s_mov_b32 s3, 0
	s_delay_alu instid0(SALU_CYCLE_1) | instskip(NEXT) | instid1(SALU_CYCLE_1)
	s_lshl_b64 s[2:3], s[2:3], 3
	s_add_u32 s0, s0, s2
	s_addc_u32 s1, s1, s3
	s_waitcnt lgkmcnt(0)
	global_store_b64 v5, v[0:1], s[0:1]
	s_nop 0
	s_sendmsg sendmsg(MSG_DEALLOC_VGPRS)
	s_endpgm
	.section	.rodata,"a",@progbits
	.p2align	6, 0x0
	.amdhsa_kernel _ZN7rocprim17ROCPRIM_400000_NS6detail17trampoline_kernelINS0_14default_configENS1_35adjacent_difference_config_selectorILb0EyEEZNS1_24adjacent_difference_implIS3_Lb0ELb0EPyS7_N6thrust23THRUST_200600_302600_NS4plusIyEEEE10hipError_tPvRmT2_T3_mT4_P12ihipStream_tbEUlT_E_NS1_11comp_targetILNS1_3genE9ELNS1_11target_archE1100ELNS1_3gpuE3ELNS1_3repE0EEENS1_30default_config_static_selectorELNS0_4arch9wavefront6targetE0EEEvT1_
		.amdhsa_group_segment_fixed_size 8192
		.amdhsa_private_segment_fixed_size 0
		.amdhsa_kernarg_size 56
		.amdhsa_user_sgpr_count 15
		.amdhsa_user_sgpr_dispatch_ptr 0
		.amdhsa_user_sgpr_queue_ptr 0
		.amdhsa_user_sgpr_kernarg_segment_ptr 1
		.amdhsa_user_sgpr_dispatch_id 0
		.amdhsa_user_sgpr_private_segment_size 0
		.amdhsa_wavefront_size32 1
		.amdhsa_uses_dynamic_stack 0
		.amdhsa_enable_private_segment 0
		.amdhsa_system_sgpr_workgroup_id_x 1
		.amdhsa_system_sgpr_workgroup_id_y 0
		.amdhsa_system_sgpr_workgroup_id_z 0
		.amdhsa_system_sgpr_workgroup_info 0
		.amdhsa_system_vgpr_workitem_id 0
		.amdhsa_next_free_vgpr 6
		.amdhsa_next_free_sgpr 20
		.amdhsa_reserve_vcc 1
		.amdhsa_float_round_mode_32 0
		.amdhsa_float_round_mode_16_64 0
		.amdhsa_float_denorm_mode_32 3
		.amdhsa_float_denorm_mode_16_64 3
		.amdhsa_dx10_clamp 1
		.amdhsa_ieee_mode 1
		.amdhsa_fp16_overflow 0
		.amdhsa_workgroup_processor_mode 1
		.amdhsa_memory_ordered 1
		.amdhsa_forward_progress 0
		.amdhsa_shared_vgpr_count 0
		.amdhsa_exception_fp_ieee_invalid_op 0
		.amdhsa_exception_fp_denorm_src 0
		.amdhsa_exception_fp_ieee_div_zero 0
		.amdhsa_exception_fp_ieee_overflow 0
		.amdhsa_exception_fp_ieee_underflow 0
		.amdhsa_exception_fp_ieee_inexact 0
		.amdhsa_exception_int_div_zero 0
	.end_amdhsa_kernel
	.section	.text._ZN7rocprim17ROCPRIM_400000_NS6detail17trampoline_kernelINS0_14default_configENS1_35adjacent_difference_config_selectorILb0EyEEZNS1_24adjacent_difference_implIS3_Lb0ELb0EPyS7_N6thrust23THRUST_200600_302600_NS4plusIyEEEE10hipError_tPvRmT2_T3_mT4_P12ihipStream_tbEUlT_E_NS1_11comp_targetILNS1_3genE9ELNS1_11target_archE1100ELNS1_3gpuE3ELNS1_3repE0EEENS1_30default_config_static_selectorELNS0_4arch9wavefront6targetE0EEEvT1_,"axG",@progbits,_ZN7rocprim17ROCPRIM_400000_NS6detail17trampoline_kernelINS0_14default_configENS1_35adjacent_difference_config_selectorILb0EyEEZNS1_24adjacent_difference_implIS3_Lb0ELb0EPyS7_N6thrust23THRUST_200600_302600_NS4plusIyEEEE10hipError_tPvRmT2_T3_mT4_P12ihipStream_tbEUlT_E_NS1_11comp_targetILNS1_3genE9ELNS1_11target_archE1100ELNS1_3gpuE3ELNS1_3repE0EEENS1_30default_config_static_selectorELNS0_4arch9wavefront6targetE0EEEvT1_,comdat
.Lfunc_end135:
	.size	_ZN7rocprim17ROCPRIM_400000_NS6detail17trampoline_kernelINS0_14default_configENS1_35adjacent_difference_config_selectorILb0EyEEZNS1_24adjacent_difference_implIS3_Lb0ELb0EPyS7_N6thrust23THRUST_200600_302600_NS4plusIyEEEE10hipError_tPvRmT2_T3_mT4_P12ihipStream_tbEUlT_E_NS1_11comp_targetILNS1_3genE9ELNS1_11target_archE1100ELNS1_3gpuE3ELNS1_3repE0EEENS1_30default_config_static_selectorELNS0_4arch9wavefront6targetE0EEEvT1_, .Lfunc_end135-_ZN7rocprim17ROCPRIM_400000_NS6detail17trampoline_kernelINS0_14default_configENS1_35adjacent_difference_config_selectorILb0EyEEZNS1_24adjacent_difference_implIS3_Lb0ELb0EPyS7_N6thrust23THRUST_200600_302600_NS4plusIyEEEE10hipError_tPvRmT2_T3_mT4_P12ihipStream_tbEUlT_E_NS1_11comp_targetILNS1_3genE9ELNS1_11target_archE1100ELNS1_3gpuE3ELNS1_3repE0EEENS1_30default_config_static_selectorELNS0_4arch9wavefront6targetE0EEEvT1_
                                        ; -- End function
	.section	.AMDGPU.csdata,"",@progbits
; Kernel info:
; codeLenInByte = 1008
; NumSgprs: 22
; NumVgprs: 6
; ScratchSize: 0
; MemoryBound: 0
; FloatMode: 240
; IeeeMode: 1
; LDSByteSize: 8192 bytes/workgroup (compile time only)
; SGPRBlocks: 2
; VGPRBlocks: 0
; NumSGPRsForWavesPerEU: 22
; NumVGPRsForWavesPerEU: 6
; Occupancy: 16
; WaveLimiterHint : 0
; COMPUTE_PGM_RSRC2:SCRATCH_EN: 0
; COMPUTE_PGM_RSRC2:USER_SGPR: 15
; COMPUTE_PGM_RSRC2:TRAP_HANDLER: 0
; COMPUTE_PGM_RSRC2:TGID_X_EN: 1
; COMPUTE_PGM_RSRC2:TGID_Y_EN: 0
; COMPUTE_PGM_RSRC2:TGID_Z_EN: 0
; COMPUTE_PGM_RSRC2:TIDIG_COMP_CNT: 0
	.section	.text._ZN7rocprim17ROCPRIM_400000_NS6detail17trampoline_kernelINS0_14default_configENS1_35adjacent_difference_config_selectorILb0EyEEZNS1_24adjacent_difference_implIS3_Lb0ELb0EPyS7_N6thrust23THRUST_200600_302600_NS4plusIyEEEE10hipError_tPvRmT2_T3_mT4_P12ihipStream_tbEUlT_E_NS1_11comp_targetILNS1_3genE8ELNS1_11target_archE1030ELNS1_3gpuE2ELNS1_3repE0EEENS1_30default_config_static_selectorELNS0_4arch9wavefront6targetE0EEEvT1_,"axG",@progbits,_ZN7rocprim17ROCPRIM_400000_NS6detail17trampoline_kernelINS0_14default_configENS1_35adjacent_difference_config_selectorILb0EyEEZNS1_24adjacent_difference_implIS3_Lb0ELb0EPyS7_N6thrust23THRUST_200600_302600_NS4plusIyEEEE10hipError_tPvRmT2_T3_mT4_P12ihipStream_tbEUlT_E_NS1_11comp_targetILNS1_3genE8ELNS1_11target_archE1030ELNS1_3gpuE2ELNS1_3repE0EEENS1_30default_config_static_selectorELNS0_4arch9wavefront6targetE0EEEvT1_,comdat
	.protected	_ZN7rocprim17ROCPRIM_400000_NS6detail17trampoline_kernelINS0_14default_configENS1_35adjacent_difference_config_selectorILb0EyEEZNS1_24adjacent_difference_implIS3_Lb0ELb0EPyS7_N6thrust23THRUST_200600_302600_NS4plusIyEEEE10hipError_tPvRmT2_T3_mT4_P12ihipStream_tbEUlT_E_NS1_11comp_targetILNS1_3genE8ELNS1_11target_archE1030ELNS1_3gpuE2ELNS1_3repE0EEENS1_30default_config_static_selectorELNS0_4arch9wavefront6targetE0EEEvT1_ ; -- Begin function _ZN7rocprim17ROCPRIM_400000_NS6detail17trampoline_kernelINS0_14default_configENS1_35adjacent_difference_config_selectorILb0EyEEZNS1_24adjacent_difference_implIS3_Lb0ELb0EPyS7_N6thrust23THRUST_200600_302600_NS4plusIyEEEE10hipError_tPvRmT2_T3_mT4_P12ihipStream_tbEUlT_E_NS1_11comp_targetILNS1_3genE8ELNS1_11target_archE1030ELNS1_3gpuE2ELNS1_3repE0EEENS1_30default_config_static_selectorELNS0_4arch9wavefront6targetE0EEEvT1_
	.globl	_ZN7rocprim17ROCPRIM_400000_NS6detail17trampoline_kernelINS0_14default_configENS1_35adjacent_difference_config_selectorILb0EyEEZNS1_24adjacent_difference_implIS3_Lb0ELb0EPyS7_N6thrust23THRUST_200600_302600_NS4plusIyEEEE10hipError_tPvRmT2_T3_mT4_P12ihipStream_tbEUlT_E_NS1_11comp_targetILNS1_3genE8ELNS1_11target_archE1030ELNS1_3gpuE2ELNS1_3repE0EEENS1_30default_config_static_selectorELNS0_4arch9wavefront6targetE0EEEvT1_
	.p2align	8
	.type	_ZN7rocprim17ROCPRIM_400000_NS6detail17trampoline_kernelINS0_14default_configENS1_35adjacent_difference_config_selectorILb0EyEEZNS1_24adjacent_difference_implIS3_Lb0ELb0EPyS7_N6thrust23THRUST_200600_302600_NS4plusIyEEEE10hipError_tPvRmT2_T3_mT4_P12ihipStream_tbEUlT_E_NS1_11comp_targetILNS1_3genE8ELNS1_11target_archE1030ELNS1_3gpuE2ELNS1_3repE0EEENS1_30default_config_static_selectorELNS0_4arch9wavefront6targetE0EEEvT1_,@function
_ZN7rocprim17ROCPRIM_400000_NS6detail17trampoline_kernelINS0_14default_configENS1_35adjacent_difference_config_selectorILb0EyEEZNS1_24adjacent_difference_implIS3_Lb0ELb0EPyS7_N6thrust23THRUST_200600_302600_NS4plusIyEEEE10hipError_tPvRmT2_T3_mT4_P12ihipStream_tbEUlT_E_NS1_11comp_targetILNS1_3genE8ELNS1_11target_archE1030ELNS1_3gpuE2ELNS1_3repE0EEENS1_30default_config_static_selectorELNS0_4arch9wavefront6targetE0EEEvT1_: ; @_ZN7rocprim17ROCPRIM_400000_NS6detail17trampoline_kernelINS0_14default_configENS1_35adjacent_difference_config_selectorILb0EyEEZNS1_24adjacent_difference_implIS3_Lb0ELb0EPyS7_N6thrust23THRUST_200600_302600_NS4plusIyEEEE10hipError_tPvRmT2_T3_mT4_P12ihipStream_tbEUlT_E_NS1_11comp_targetILNS1_3genE8ELNS1_11target_archE1030ELNS1_3gpuE2ELNS1_3repE0EEENS1_30default_config_static_selectorELNS0_4arch9wavefront6targetE0EEEvT1_
; %bb.0:
	.section	.rodata,"a",@progbits
	.p2align	6, 0x0
	.amdhsa_kernel _ZN7rocprim17ROCPRIM_400000_NS6detail17trampoline_kernelINS0_14default_configENS1_35adjacent_difference_config_selectorILb0EyEEZNS1_24adjacent_difference_implIS3_Lb0ELb0EPyS7_N6thrust23THRUST_200600_302600_NS4plusIyEEEE10hipError_tPvRmT2_T3_mT4_P12ihipStream_tbEUlT_E_NS1_11comp_targetILNS1_3genE8ELNS1_11target_archE1030ELNS1_3gpuE2ELNS1_3repE0EEENS1_30default_config_static_selectorELNS0_4arch9wavefront6targetE0EEEvT1_
		.amdhsa_group_segment_fixed_size 0
		.amdhsa_private_segment_fixed_size 0
		.amdhsa_kernarg_size 56
		.amdhsa_user_sgpr_count 15
		.amdhsa_user_sgpr_dispatch_ptr 0
		.amdhsa_user_sgpr_queue_ptr 0
		.amdhsa_user_sgpr_kernarg_segment_ptr 1
		.amdhsa_user_sgpr_dispatch_id 0
		.amdhsa_user_sgpr_private_segment_size 0
		.amdhsa_wavefront_size32 1
		.amdhsa_uses_dynamic_stack 0
		.amdhsa_enable_private_segment 0
		.amdhsa_system_sgpr_workgroup_id_x 1
		.amdhsa_system_sgpr_workgroup_id_y 0
		.amdhsa_system_sgpr_workgroup_id_z 0
		.amdhsa_system_sgpr_workgroup_info 0
		.amdhsa_system_vgpr_workitem_id 0
		.amdhsa_next_free_vgpr 1
		.amdhsa_next_free_sgpr 1
		.amdhsa_reserve_vcc 0
		.amdhsa_float_round_mode_32 0
		.amdhsa_float_round_mode_16_64 0
		.amdhsa_float_denorm_mode_32 3
		.amdhsa_float_denorm_mode_16_64 3
		.amdhsa_dx10_clamp 1
		.amdhsa_ieee_mode 1
		.amdhsa_fp16_overflow 0
		.amdhsa_workgroup_processor_mode 1
		.amdhsa_memory_ordered 1
		.amdhsa_forward_progress 0
		.amdhsa_shared_vgpr_count 0
		.amdhsa_exception_fp_ieee_invalid_op 0
		.amdhsa_exception_fp_denorm_src 0
		.amdhsa_exception_fp_ieee_div_zero 0
		.amdhsa_exception_fp_ieee_overflow 0
		.amdhsa_exception_fp_ieee_underflow 0
		.amdhsa_exception_fp_ieee_inexact 0
		.amdhsa_exception_int_div_zero 0
	.end_amdhsa_kernel
	.section	.text._ZN7rocprim17ROCPRIM_400000_NS6detail17trampoline_kernelINS0_14default_configENS1_35adjacent_difference_config_selectorILb0EyEEZNS1_24adjacent_difference_implIS3_Lb0ELb0EPyS7_N6thrust23THRUST_200600_302600_NS4plusIyEEEE10hipError_tPvRmT2_T3_mT4_P12ihipStream_tbEUlT_E_NS1_11comp_targetILNS1_3genE8ELNS1_11target_archE1030ELNS1_3gpuE2ELNS1_3repE0EEENS1_30default_config_static_selectorELNS0_4arch9wavefront6targetE0EEEvT1_,"axG",@progbits,_ZN7rocprim17ROCPRIM_400000_NS6detail17trampoline_kernelINS0_14default_configENS1_35adjacent_difference_config_selectorILb0EyEEZNS1_24adjacent_difference_implIS3_Lb0ELb0EPyS7_N6thrust23THRUST_200600_302600_NS4plusIyEEEE10hipError_tPvRmT2_T3_mT4_P12ihipStream_tbEUlT_E_NS1_11comp_targetILNS1_3genE8ELNS1_11target_archE1030ELNS1_3gpuE2ELNS1_3repE0EEENS1_30default_config_static_selectorELNS0_4arch9wavefront6targetE0EEEvT1_,comdat
.Lfunc_end136:
	.size	_ZN7rocprim17ROCPRIM_400000_NS6detail17trampoline_kernelINS0_14default_configENS1_35adjacent_difference_config_selectorILb0EyEEZNS1_24adjacent_difference_implIS3_Lb0ELb0EPyS7_N6thrust23THRUST_200600_302600_NS4plusIyEEEE10hipError_tPvRmT2_T3_mT4_P12ihipStream_tbEUlT_E_NS1_11comp_targetILNS1_3genE8ELNS1_11target_archE1030ELNS1_3gpuE2ELNS1_3repE0EEENS1_30default_config_static_selectorELNS0_4arch9wavefront6targetE0EEEvT1_, .Lfunc_end136-_ZN7rocprim17ROCPRIM_400000_NS6detail17trampoline_kernelINS0_14default_configENS1_35adjacent_difference_config_selectorILb0EyEEZNS1_24adjacent_difference_implIS3_Lb0ELb0EPyS7_N6thrust23THRUST_200600_302600_NS4plusIyEEEE10hipError_tPvRmT2_T3_mT4_P12ihipStream_tbEUlT_E_NS1_11comp_targetILNS1_3genE8ELNS1_11target_archE1030ELNS1_3gpuE2ELNS1_3repE0EEENS1_30default_config_static_selectorELNS0_4arch9wavefront6targetE0EEEvT1_
                                        ; -- End function
	.section	.AMDGPU.csdata,"",@progbits
; Kernel info:
; codeLenInByte = 0
; NumSgprs: 0
; NumVgprs: 0
; ScratchSize: 0
; MemoryBound: 0
; FloatMode: 240
; IeeeMode: 1
; LDSByteSize: 0 bytes/workgroup (compile time only)
; SGPRBlocks: 0
; VGPRBlocks: 0
; NumSGPRsForWavesPerEU: 1
; NumVGPRsForWavesPerEU: 1
; Occupancy: 16
; WaveLimiterHint : 0
; COMPUTE_PGM_RSRC2:SCRATCH_EN: 0
; COMPUTE_PGM_RSRC2:USER_SGPR: 15
; COMPUTE_PGM_RSRC2:TRAP_HANDLER: 0
; COMPUTE_PGM_RSRC2:TGID_X_EN: 1
; COMPUTE_PGM_RSRC2:TGID_Y_EN: 0
; COMPUTE_PGM_RSRC2:TGID_Z_EN: 0
; COMPUTE_PGM_RSRC2:TIDIG_COMP_CNT: 0
	.section	.text._ZN7rocprim17ROCPRIM_400000_NS6detail17trampoline_kernelINS0_14default_configENS1_25transform_config_selectorIyLb0EEEZNS1_14transform_implILb0ES3_S5_NS0_18transform_iteratorINS0_17counting_iteratorImlEEZNS1_24adjacent_difference_implIS3_Lb1ELb0EPySB_N6thrust23THRUST_200600_302600_NS4plusIyEEEE10hipError_tPvRmT2_T3_mT4_P12ihipStream_tbEUlmE_yEESB_NS0_8identityIvEEEESG_SJ_SK_mSL_SN_bEUlT_E_NS1_11comp_targetILNS1_3genE0ELNS1_11target_archE4294967295ELNS1_3gpuE0ELNS1_3repE0EEENS1_30default_config_static_selectorELNS0_4arch9wavefront6targetE0EEEvT1_,"axG",@progbits,_ZN7rocprim17ROCPRIM_400000_NS6detail17trampoline_kernelINS0_14default_configENS1_25transform_config_selectorIyLb0EEEZNS1_14transform_implILb0ES3_S5_NS0_18transform_iteratorINS0_17counting_iteratorImlEEZNS1_24adjacent_difference_implIS3_Lb1ELb0EPySB_N6thrust23THRUST_200600_302600_NS4plusIyEEEE10hipError_tPvRmT2_T3_mT4_P12ihipStream_tbEUlmE_yEESB_NS0_8identityIvEEEESG_SJ_SK_mSL_SN_bEUlT_E_NS1_11comp_targetILNS1_3genE0ELNS1_11target_archE4294967295ELNS1_3gpuE0ELNS1_3repE0EEENS1_30default_config_static_selectorELNS0_4arch9wavefront6targetE0EEEvT1_,comdat
	.protected	_ZN7rocprim17ROCPRIM_400000_NS6detail17trampoline_kernelINS0_14default_configENS1_25transform_config_selectorIyLb0EEEZNS1_14transform_implILb0ES3_S5_NS0_18transform_iteratorINS0_17counting_iteratorImlEEZNS1_24adjacent_difference_implIS3_Lb1ELb0EPySB_N6thrust23THRUST_200600_302600_NS4plusIyEEEE10hipError_tPvRmT2_T3_mT4_P12ihipStream_tbEUlmE_yEESB_NS0_8identityIvEEEESG_SJ_SK_mSL_SN_bEUlT_E_NS1_11comp_targetILNS1_3genE0ELNS1_11target_archE4294967295ELNS1_3gpuE0ELNS1_3repE0EEENS1_30default_config_static_selectorELNS0_4arch9wavefront6targetE0EEEvT1_ ; -- Begin function _ZN7rocprim17ROCPRIM_400000_NS6detail17trampoline_kernelINS0_14default_configENS1_25transform_config_selectorIyLb0EEEZNS1_14transform_implILb0ES3_S5_NS0_18transform_iteratorINS0_17counting_iteratorImlEEZNS1_24adjacent_difference_implIS3_Lb1ELb0EPySB_N6thrust23THRUST_200600_302600_NS4plusIyEEEE10hipError_tPvRmT2_T3_mT4_P12ihipStream_tbEUlmE_yEESB_NS0_8identityIvEEEESG_SJ_SK_mSL_SN_bEUlT_E_NS1_11comp_targetILNS1_3genE0ELNS1_11target_archE4294967295ELNS1_3gpuE0ELNS1_3repE0EEENS1_30default_config_static_selectorELNS0_4arch9wavefront6targetE0EEEvT1_
	.globl	_ZN7rocprim17ROCPRIM_400000_NS6detail17trampoline_kernelINS0_14default_configENS1_25transform_config_selectorIyLb0EEEZNS1_14transform_implILb0ES3_S5_NS0_18transform_iteratorINS0_17counting_iteratorImlEEZNS1_24adjacent_difference_implIS3_Lb1ELb0EPySB_N6thrust23THRUST_200600_302600_NS4plusIyEEEE10hipError_tPvRmT2_T3_mT4_P12ihipStream_tbEUlmE_yEESB_NS0_8identityIvEEEESG_SJ_SK_mSL_SN_bEUlT_E_NS1_11comp_targetILNS1_3genE0ELNS1_11target_archE4294967295ELNS1_3gpuE0ELNS1_3repE0EEENS1_30default_config_static_selectorELNS0_4arch9wavefront6targetE0EEEvT1_
	.p2align	8
	.type	_ZN7rocprim17ROCPRIM_400000_NS6detail17trampoline_kernelINS0_14default_configENS1_25transform_config_selectorIyLb0EEEZNS1_14transform_implILb0ES3_S5_NS0_18transform_iteratorINS0_17counting_iteratorImlEEZNS1_24adjacent_difference_implIS3_Lb1ELb0EPySB_N6thrust23THRUST_200600_302600_NS4plusIyEEEE10hipError_tPvRmT2_T3_mT4_P12ihipStream_tbEUlmE_yEESB_NS0_8identityIvEEEESG_SJ_SK_mSL_SN_bEUlT_E_NS1_11comp_targetILNS1_3genE0ELNS1_11target_archE4294967295ELNS1_3gpuE0ELNS1_3repE0EEENS1_30default_config_static_selectorELNS0_4arch9wavefront6targetE0EEEvT1_,@function
_ZN7rocprim17ROCPRIM_400000_NS6detail17trampoline_kernelINS0_14default_configENS1_25transform_config_selectorIyLb0EEEZNS1_14transform_implILb0ES3_S5_NS0_18transform_iteratorINS0_17counting_iteratorImlEEZNS1_24adjacent_difference_implIS3_Lb1ELb0EPySB_N6thrust23THRUST_200600_302600_NS4plusIyEEEE10hipError_tPvRmT2_T3_mT4_P12ihipStream_tbEUlmE_yEESB_NS0_8identityIvEEEESG_SJ_SK_mSL_SN_bEUlT_E_NS1_11comp_targetILNS1_3genE0ELNS1_11target_archE4294967295ELNS1_3gpuE0ELNS1_3repE0EEENS1_30default_config_static_selectorELNS0_4arch9wavefront6targetE0EEEvT1_: ; @_ZN7rocprim17ROCPRIM_400000_NS6detail17trampoline_kernelINS0_14default_configENS1_25transform_config_selectorIyLb0EEEZNS1_14transform_implILb0ES3_S5_NS0_18transform_iteratorINS0_17counting_iteratorImlEEZNS1_24adjacent_difference_implIS3_Lb1ELb0EPySB_N6thrust23THRUST_200600_302600_NS4plusIyEEEE10hipError_tPvRmT2_T3_mT4_P12ihipStream_tbEUlmE_yEESB_NS0_8identityIvEEEESG_SJ_SK_mSL_SN_bEUlT_E_NS1_11comp_targetILNS1_3genE0ELNS1_11target_archE4294967295ELNS1_3gpuE0ELNS1_3repE0EEENS1_30default_config_static_selectorELNS0_4arch9wavefront6targetE0EEEvT1_
; %bb.0:
	.section	.rodata,"a",@progbits
	.p2align	6, 0x0
	.amdhsa_kernel _ZN7rocprim17ROCPRIM_400000_NS6detail17trampoline_kernelINS0_14default_configENS1_25transform_config_selectorIyLb0EEEZNS1_14transform_implILb0ES3_S5_NS0_18transform_iteratorINS0_17counting_iteratorImlEEZNS1_24adjacent_difference_implIS3_Lb1ELb0EPySB_N6thrust23THRUST_200600_302600_NS4plusIyEEEE10hipError_tPvRmT2_T3_mT4_P12ihipStream_tbEUlmE_yEESB_NS0_8identityIvEEEESG_SJ_SK_mSL_SN_bEUlT_E_NS1_11comp_targetILNS1_3genE0ELNS1_11target_archE4294967295ELNS1_3gpuE0ELNS1_3repE0EEENS1_30default_config_static_selectorELNS0_4arch9wavefront6targetE0EEEvT1_
		.amdhsa_group_segment_fixed_size 0
		.amdhsa_private_segment_fixed_size 0
		.amdhsa_kernarg_size 56
		.amdhsa_user_sgpr_count 15
		.amdhsa_user_sgpr_dispatch_ptr 0
		.amdhsa_user_sgpr_queue_ptr 0
		.amdhsa_user_sgpr_kernarg_segment_ptr 1
		.amdhsa_user_sgpr_dispatch_id 0
		.amdhsa_user_sgpr_private_segment_size 0
		.amdhsa_wavefront_size32 1
		.amdhsa_uses_dynamic_stack 0
		.amdhsa_enable_private_segment 0
		.amdhsa_system_sgpr_workgroup_id_x 1
		.amdhsa_system_sgpr_workgroup_id_y 0
		.amdhsa_system_sgpr_workgroup_id_z 0
		.amdhsa_system_sgpr_workgroup_info 0
		.amdhsa_system_vgpr_workitem_id 0
		.amdhsa_next_free_vgpr 1
		.amdhsa_next_free_sgpr 1
		.amdhsa_reserve_vcc 0
		.amdhsa_float_round_mode_32 0
		.amdhsa_float_round_mode_16_64 0
		.amdhsa_float_denorm_mode_32 3
		.amdhsa_float_denorm_mode_16_64 3
		.amdhsa_dx10_clamp 1
		.amdhsa_ieee_mode 1
		.amdhsa_fp16_overflow 0
		.amdhsa_workgroup_processor_mode 1
		.amdhsa_memory_ordered 1
		.amdhsa_forward_progress 0
		.amdhsa_shared_vgpr_count 0
		.amdhsa_exception_fp_ieee_invalid_op 0
		.amdhsa_exception_fp_denorm_src 0
		.amdhsa_exception_fp_ieee_div_zero 0
		.amdhsa_exception_fp_ieee_overflow 0
		.amdhsa_exception_fp_ieee_underflow 0
		.amdhsa_exception_fp_ieee_inexact 0
		.amdhsa_exception_int_div_zero 0
	.end_amdhsa_kernel
	.section	.text._ZN7rocprim17ROCPRIM_400000_NS6detail17trampoline_kernelINS0_14default_configENS1_25transform_config_selectorIyLb0EEEZNS1_14transform_implILb0ES3_S5_NS0_18transform_iteratorINS0_17counting_iteratorImlEEZNS1_24adjacent_difference_implIS3_Lb1ELb0EPySB_N6thrust23THRUST_200600_302600_NS4plusIyEEEE10hipError_tPvRmT2_T3_mT4_P12ihipStream_tbEUlmE_yEESB_NS0_8identityIvEEEESG_SJ_SK_mSL_SN_bEUlT_E_NS1_11comp_targetILNS1_3genE0ELNS1_11target_archE4294967295ELNS1_3gpuE0ELNS1_3repE0EEENS1_30default_config_static_selectorELNS0_4arch9wavefront6targetE0EEEvT1_,"axG",@progbits,_ZN7rocprim17ROCPRIM_400000_NS6detail17trampoline_kernelINS0_14default_configENS1_25transform_config_selectorIyLb0EEEZNS1_14transform_implILb0ES3_S5_NS0_18transform_iteratorINS0_17counting_iteratorImlEEZNS1_24adjacent_difference_implIS3_Lb1ELb0EPySB_N6thrust23THRUST_200600_302600_NS4plusIyEEEE10hipError_tPvRmT2_T3_mT4_P12ihipStream_tbEUlmE_yEESB_NS0_8identityIvEEEESG_SJ_SK_mSL_SN_bEUlT_E_NS1_11comp_targetILNS1_3genE0ELNS1_11target_archE4294967295ELNS1_3gpuE0ELNS1_3repE0EEENS1_30default_config_static_selectorELNS0_4arch9wavefront6targetE0EEEvT1_,comdat
.Lfunc_end137:
	.size	_ZN7rocprim17ROCPRIM_400000_NS6detail17trampoline_kernelINS0_14default_configENS1_25transform_config_selectorIyLb0EEEZNS1_14transform_implILb0ES3_S5_NS0_18transform_iteratorINS0_17counting_iteratorImlEEZNS1_24adjacent_difference_implIS3_Lb1ELb0EPySB_N6thrust23THRUST_200600_302600_NS4plusIyEEEE10hipError_tPvRmT2_T3_mT4_P12ihipStream_tbEUlmE_yEESB_NS0_8identityIvEEEESG_SJ_SK_mSL_SN_bEUlT_E_NS1_11comp_targetILNS1_3genE0ELNS1_11target_archE4294967295ELNS1_3gpuE0ELNS1_3repE0EEENS1_30default_config_static_selectorELNS0_4arch9wavefront6targetE0EEEvT1_, .Lfunc_end137-_ZN7rocprim17ROCPRIM_400000_NS6detail17trampoline_kernelINS0_14default_configENS1_25transform_config_selectorIyLb0EEEZNS1_14transform_implILb0ES3_S5_NS0_18transform_iteratorINS0_17counting_iteratorImlEEZNS1_24adjacent_difference_implIS3_Lb1ELb0EPySB_N6thrust23THRUST_200600_302600_NS4plusIyEEEE10hipError_tPvRmT2_T3_mT4_P12ihipStream_tbEUlmE_yEESB_NS0_8identityIvEEEESG_SJ_SK_mSL_SN_bEUlT_E_NS1_11comp_targetILNS1_3genE0ELNS1_11target_archE4294967295ELNS1_3gpuE0ELNS1_3repE0EEENS1_30default_config_static_selectorELNS0_4arch9wavefront6targetE0EEEvT1_
                                        ; -- End function
	.section	.AMDGPU.csdata,"",@progbits
; Kernel info:
; codeLenInByte = 0
; NumSgprs: 0
; NumVgprs: 0
; ScratchSize: 0
; MemoryBound: 0
; FloatMode: 240
; IeeeMode: 1
; LDSByteSize: 0 bytes/workgroup (compile time only)
; SGPRBlocks: 0
; VGPRBlocks: 0
; NumSGPRsForWavesPerEU: 1
; NumVGPRsForWavesPerEU: 1
; Occupancy: 16
; WaveLimiterHint : 0
; COMPUTE_PGM_RSRC2:SCRATCH_EN: 0
; COMPUTE_PGM_RSRC2:USER_SGPR: 15
; COMPUTE_PGM_RSRC2:TRAP_HANDLER: 0
; COMPUTE_PGM_RSRC2:TGID_X_EN: 1
; COMPUTE_PGM_RSRC2:TGID_Y_EN: 0
; COMPUTE_PGM_RSRC2:TGID_Z_EN: 0
; COMPUTE_PGM_RSRC2:TIDIG_COMP_CNT: 0
	.section	.text._ZN7rocprim17ROCPRIM_400000_NS6detail17trampoline_kernelINS0_14default_configENS1_25transform_config_selectorIyLb0EEEZNS1_14transform_implILb0ES3_S5_NS0_18transform_iteratorINS0_17counting_iteratorImlEEZNS1_24adjacent_difference_implIS3_Lb1ELb0EPySB_N6thrust23THRUST_200600_302600_NS4plusIyEEEE10hipError_tPvRmT2_T3_mT4_P12ihipStream_tbEUlmE_yEESB_NS0_8identityIvEEEESG_SJ_SK_mSL_SN_bEUlT_E_NS1_11comp_targetILNS1_3genE5ELNS1_11target_archE942ELNS1_3gpuE9ELNS1_3repE0EEENS1_30default_config_static_selectorELNS0_4arch9wavefront6targetE0EEEvT1_,"axG",@progbits,_ZN7rocprim17ROCPRIM_400000_NS6detail17trampoline_kernelINS0_14default_configENS1_25transform_config_selectorIyLb0EEEZNS1_14transform_implILb0ES3_S5_NS0_18transform_iteratorINS0_17counting_iteratorImlEEZNS1_24adjacent_difference_implIS3_Lb1ELb0EPySB_N6thrust23THRUST_200600_302600_NS4plusIyEEEE10hipError_tPvRmT2_T3_mT4_P12ihipStream_tbEUlmE_yEESB_NS0_8identityIvEEEESG_SJ_SK_mSL_SN_bEUlT_E_NS1_11comp_targetILNS1_3genE5ELNS1_11target_archE942ELNS1_3gpuE9ELNS1_3repE0EEENS1_30default_config_static_selectorELNS0_4arch9wavefront6targetE0EEEvT1_,comdat
	.protected	_ZN7rocprim17ROCPRIM_400000_NS6detail17trampoline_kernelINS0_14default_configENS1_25transform_config_selectorIyLb0EEEZNS1_14transform_implILb0ES3_S5_NS0_18transform_iteratorINS0_17counting_iteratorImlEEZNS1_24adjacent_difference_implIS3_Lb1ELb0EPySB_N6thrust23THRUST_200600_302600_NS4plusIyEEEE10hipError_tPvRmT2_T3_mT4_P12ihipStream_tbEUlmE_yEESB_NS0_8identityIvEEEESG_SJ_SK_mSL_SN_bEUlT_E_NS1_11comp_targetILNS1_3genE5ELNS1_11target_archE942ELNS1_3gpuE9ELNS1_3repE0EEENS1_30default_config_static_selectorELNS0_4arch9wavefront6targetE0EEEvT1_ ; -- Begin function _ZN7rocprim17ROCPRIM_400000_NS6detail17trampoline_kernelINS0_14default_configENS1_25transform_config_selectorIyLb0EEEZNS1_14transform_implILb0ES3_S5_NS0_18transform_iteratorINS0_17counting_iteratorImlEEZNS1_24adjacent_difference_implIS3_Lb1ELb0EPySB_N6thrust23THRUST_200600_302600_NS4plusIyEEEE10hipError_tPvRmT2_T3_mT4_P12ihipStream_tbEUlmE_yEESB_NS0_8identityIvEEEESG_SJ_SK_mSL_SN_bEUlT_E_NS1_11comp_targetILNS1_3genE5ELNS1_11target_archE942ELNS1_3gpuE9ELNS1_3repE0EEENS1_30default_config_static_selectorELNS0_4arch9wavefront6targetE0EEEvT1_
	.globl	_ZN7rocprim17ROCPRIM_400000_NS6detail17trampoline_kernelINS0_14default_configENS1_25transform_config_selectorIyLb0EEEZNS1_14transform_implILb0ES3_S5_NS0_18transform_iteratorINS0_17counting_iteratorImlEEZNS1_24adjacent_difference_implIS3_Lb1ELb0EPySB_N6thrust23THRUST_200600_302600_NS4plusIyEEEE10hipError_tPvRmT2_T3_mT4_P12ihipStream_tbEUlmE_yEESB_NS0_8identityIvEEEESG_SJ_SK_mSL_SN_bEUlT_E_NS1_11comp_targetILNS1_3genE5ELNS1_11target_archE942ELNS1_3gpuE9ELNS1_3repE0EEENS1_30default_config_static_selectorELNS0_4arch9wavefront6targetE0EEEvT1_
	.p2align	8
	.type	_ZN7rocprim17ROCPRIM_400000_NS6detail17trampoline_kernelINS0_14default_configENS1_25transform_config_selectorIyLb0EEEZNS1_14transform_implILb0ES3_S5_NS0_18transform_iteratorINS0_17counting_iteratorImlEEZNS1_24adjacent_difference_implIS3_Lb1ELb0EPySB_N6thrust23THRUST_200600_302600_NS4plusIyEEEE10hipError_tPvRmT2_T3_mT4_P12ihipStream_tbEUlmE_yEESB_NS0_8identityIvEEEESG_SJ_SK_mSL_SN_bEUlT_E_NS1_11comp_targetILNS1_3genE5ELNS1_11target_archE942ELNS1_3gpuE9ELNS1_3repE0EEENS1_30default_config_static_selectorELNS0_4arch9wavefront6targetE0EEEvT1_,@function
_ZN7rocprim17ROCPRIM_400000_NS6detail17trampoline_kernelINS0_14default_configENS1_25transform_config_selectorIyLb0EEEZNS1_14transform_implILb0ES3_S5_NS0_18transform_iteratorINS0_17counting_iteratorImlEEZNS1_24adjacent_difference_implIS3_Lb1ELb0EPySB_N6thrust23THRUST_200600_302600_NS4plusIyEEEE10hipError_tPvRmT2_T3_mT4_P12ihipStream_tbEUlmE_yEESB_NS0_8identityIvEEEESG_SJ_SK_mSL_SN_bEUlT_E_NS1_11comp_targetILNS1_3genE5ELNS1_11target_archE942ELNS1_3gpuE9ELNS1_3repE0EEENS1_30default_config_static_selectorELNS0_4arch9wavefront6targetE0EEEvT1_: ; @_ZN7rocprim17ROCPRIM_400000_NS6detail17trampoline_kernelINS0_14default_configENS1_25transform_config_selectorIyLb0EEEZNS1_14transform_implILb0ES3_S5_NS0_18transform_iteratorINS0_17counting_iteratorImlEEZNS1_24adjacent_difference_implIS3_Lb1ELb0EPySB_N6thrust23THRUST_200600_302600_NS4plusIyEEEE10hipError_tPvRmT2_T3_mT4_P12ihipStream_tbEUlmE_yEESB_NS0_8identityIvEEEESG_SJ_SK_mSL_SN_bEUlT_E_NS1_11comp_targetILNS1_3genE5ELNS1_11target_archE942ELNS1_3gpuE9ELNS1_3repE0EEENS1_30default_config_static_selectorELNS0_4arch9wavefront6targetE0EEEvT1_
; %bb.0:
	.section	.rodata,"a",@progbits
	.p2align	6, 0x0
	.amdhsa_kernel _ZN7rocprim17ROCPRIM_400000_NS6detail17trampoline_kernelINS0_14default_configENS1_25transform_config_selectorIyLb0EEEZNS1_14transform_implILb0ES3_S5_NS0_18transform_iteratorINS0_17counting_iteratorImlEEZNS1_24adjacent_difference_implIS3_Lb1ELb0EPySB_N6thrust23THRUST_200600_302600_NS4plusIyEEEE10hipError_tPvRmT2_T3_mT4_P12ihipStream_tbEUlmE_yEESB_NS0_8identityIvEEEESG_SJ_SK_mSL_SN_bEUlT_E_NS1_11comp_targetILNS1_3genE5ELNS1_11target_archE942ELNS1_3gpuE9ELNS1_3repE0EEENS1_30default_config_static_selectorELNS0_4arch9wavefront6targetE0EEEvT1_
		.amdhsa_group_segment_fixed_size 0
		.amdhsa_private_segment_fixed_size 0
		.amdhsa_kernarg_size 56
		.amdhsa_user_sgpr_count 15
		.amdhsa_user_sgpr_dispatch_ptr 0
		.amdhsa_user_sgpr_queue_ptr 0
		.amdhsa_user_sgpr_kernarg_segment_ptr 1
		.amdhsa_user_sgpr_dispatch_id 0
		.amdhsa_user_sgpr_private_segment_size 0
		.amdhsa_wavefront_size32 1
		.amdhsa_uses_dynamic_stack 0
		.amdhsa_enable_private_segment 0
		.amdhsa_system_sgpr_workgroup_id_x 1
		.amdhsa_system_sgpr_workgroup_id_y 0
		.amdhsa_system_sgpr_workgroup_id_z 0
		.amdhsa_system_sgpr_workgroup_info 0
		.amdhsa_system_vgpr_workitem_id 0
		.amdhsa_next_free_vgpr 1
		.amdhsa_next_free_sgpr 1
		.amdhsa_reserve_vcc 0
		.amdhsa_float_round_mode_32 0
		.amdhsa_float_round_mode_16_64 0
		.amdhsa_float_denorm_mode_32 3
		.amdhsa_float_denorm_mode_16_64 3
		.amdhsa_dx10_clamp 1
		.amdhsa_ieee_mode 1
		.amdhsa_fp16_overflow 0
		.amdhsa_workgroup_processor_mode 1
		.amdhsa_memory_ordered 1
		.amdhsa_forward_progress 0
		.amdhsa_shared_vgpr_count 0
		.amdhsa_exception_fp_ieee_invalid_op 0
		.amdhsa_exception_fp_denorm_src 0
		.amdhsa_exception_fp_ieee_div_zero 0
		.amdhsa_exception_fp_ieee_overflow 0
		.amdhsa_exception_fp_ieee_underflow 0
		.amdhsa_exception_fp_ieee_inexact 0
		.amdhsa_exception_int_div_zero 0
	.end_amdhsa_kernel
	.section	.text._ZN7rocprim17ROCPRIM_400000_NS6detail17trampoline_kernelINS0_14default_configENS1_25transform_config_selectorIyLb0EEEZNS1_14transform_implILb0ES3_S5_NS0_18transform_iteratorINS0_17counting_iteratorImlEEZNS1_24adjacent_difference_implIS3_Lb1ELb0EPySB_N6thrust23THRUST_200600_302600_NS4plusIyEEEE10hipError_tPvRmT2_T3_mT4_P12ihipStream_tbEUlmE_yEESB_NS0_8identityIvEEEESG_SJ_SK_mSL_SN_bEUlT_E_NS1_11comp_targetILNS1_3genE5ELNS1_11target_archE942ELNS1_3gpuE9ELNS1_3repE0EEENS1_30default_config_static_selectorELNS0_4arch9wavefront6targetE0EEEvT1_,"axG",@progbits,_ZN7rocprim17ROCPRIM_400000_NS6detail17trampoline_kernelINS0_14default_configENS1_25transform_config_selectorIyLb0EEEZNS1_14transform_implILb0ES3_S5_NS0_18transform_iteratorINS0_17counting_iteratorImlEEZNS1_24adjacent_difference_implIS3_Lb1ELb0EPySB_N6thrust23THRUST_200600_302600_NS4plusIyEEEE10hipError_tPvRmT2_T3_mT4_P12ihipStream_tbEUlmE_yEESB_NS0_8identityIvEEEESG_SJ_SK_mSL_SN_bEUlT_E_NS1_11comp_targetILNS1_3genE5ELNS1_11target_archE942ELNS1_3gpuE9ELNS1_3repE0EEENS1_30default_config_static_selectorELNS0_4arch9wavefront6targetE0EEEvT1_,comdat
.Lfunc_end138:
	.size	_ZN7rocprim17ROCPRIM_400000_NS6detail17trampoline_kernelINS0_14default_configENS1_25transform_config_selectorIyLb0EEEZNS1_14transform_implILb0ES3_S5_NS0_18transform_iteratorINS0_17counting_iteratorImlEEZNS1_24adjacent_difference_implIS3_Lb1ELb0EPySB_N6thrust23THRUST_200600_302600_NS4plusIyEEEE10hipError_tPvRmT2_T3_mT4_P12ihipStream_tbEUlmE_yEESB_NS0_8identityIvEEEESG_SJ_SK_mSL_SN_bEUlT_E_NS1_11comp_targetILNS1_3genE5ELNS1_11target_archE942ELNS1_3gpuE9ELNS1_3repE0EEENS1_30default_config_static_selectorELNS0_4arch9wavefront6targetE0EEEvT1_, .Lfunc_end138-_ZN7rocprim17ROCPRIM_400000_NS6detail17trampoline_kernelINS0_14default_configENS1_25transform_config_selectorIyLb0EEEZNS1_14transform_implILb0ES3_S5_NS0_18transform_iteratorINS0_17counting_iteratorImlEEZNS1_24adjacent_difference_implIS3_Lb1ELb0EPySB_N6thrust23THRUST_200600_302600_NS4plusIyEEEE10hipError_tPvRmT2_T3_mT4_P12ihipStream_tbEUlmE_yEESB_NS0_8identityIvEEEESG_SJ_SK_mSL_SN_bEUlT_E_NS1_11comp_targetILNS1_3genE5ELNS1_11target_archE942ELNS1_3gpuE9ELNS1_3repE0EEENS1_30default_config_static_selectorELNS0_4arch9wavefront6targetE0EEEvT1_
                                        ; -- End function
	.section	.AMDGPU.csdata,"",@progbits
; Kernel info:
; codeLenInByte = 0
; NumSgprs: 0
; NumVgprs: 0
; ScratchSize: 0
; MemoryBound: 0
; FloatMode: 240
; IeeeMode: 1
; LDSByteSize: 0 bytes/workgroup (compile time only)
; SGPRBlocks: 0
; VGPRBlocks: 0
; NumSGPRsForWavesPerEU: 1
; NumVGPRsForWavesPerEU: 1
; Occupancy: 16
; WaveLimiterHint : 0
; COMPUTE_PGM_RSRC2:SCRATCH_EN: 0
; COMPUTE_PGM_RSRC2:USER_SGPR: 15
; COMPUTE_PGM_RSRC2:TRAP_HANDLER: 0
; COMPUTE_PGM_RSRC2:TGID_X_EN: 1
; COMPUTE_PGM_RSRC2:TGID_Y_EN: 0
; COMPUTE_PGM_RSRC2:TGID_Z_EN: 0
; COMPUTE_PGM_RSRC2:TIDIG_COMP_CNT: 0
	.section	.text._ZN7rocprim17ROCPRIM_400000_NS6detail17trampoline_kernelINS0_14default_configENS1_25transform_config_selectorIyLb0EEEZNS1_14transform_implILb0ES3_S5_NS0_18transform_iteratorINS0_17counting_iteratorImlEEZNS1_24adjacent_difference_implIS3_Lb1ELb0EPySB_N6thrust23THRUST_200600_302600_NS4plusIyEEEE10hipError_tPvRmT2_T3_mT4_P12ihipStream_tbEUlmE_yEESB_NS0_8identityIvEEEESG_SJ_SK_mSL_SN_bEUlT_E_NS1_11comp_targetILNS1_3genE4ELNS1_11target_archE910ELNS1_3gpuE8ELNS1_3repE0EEENS1_30default_config_static_selectorELNS0_4arch9wavefront6targetE0EEEvT1_,"axG",@progbits,_ZN7rocprim17ROCPRIM_400000_NS6detail17trampoline_kernelINS0_14default_configENS1_25transform_config_selectorIyLb0EEEZNS1_14transform_implILb0ES3_S5_NS0_18transform_iteratorINS0_17counting_iteratorImlEEZNS1_24adjacent_difference_implIS3_Lb1ELb0EPySB_N6thrust23THRUST_200600_302600_NS4plusIyEEEE10hipError_tPvRmT2_T3_mT4_P12ihipStream_tbEUlmE_yEESB_NS0_8identityIvEEEESG_SJ_SK_mSL_SN_bEUlT_E_NS1_11comp_targetILNS1_3genE4ELNS1_11target_archE910ELNS1_3gpuE8ELNS1_3repE0EEENS1_30default_config_static_selectorELNS0_4arch9wavefront6targetE0EEEvT1_,comdat
	.protected	_ZN7rocprim17ROCPRIM_400000_NS6detail17trampoline_kernelINS0_14default_configENS1_25transform_config_selectorIyLb0EEEZNS1_14transform_implILb0ES3_S5_NS0_18transform_iteratorINS0_17counting_iteratorImlEEZNS1_24adjacent_difference_implIS3_Lb1ELb0EPySB_N6thrust23THRUST_200600_302600_NS4plusIyEEEE10hipError_tPvRmT2_T3_mT4_P12ihipStream_tbEUlmE_yEESB_NS0_8identityIvEEEESG_SJ_SK_mSL_SN_bEUlT_E_NS1_11comp_targetILNS1_3genE4ELNS1_11target_archE910ELNS1_3gpuE8ELNS1_3repE0EEENS1_30default_config_static_selectorELNS0_4arch9wavefront6targetE0EEEvT1_ ; -- Begin function _ZN7rocprim17ROCPRIM_400000_NS6detail17trampoline_kernelINS0_14default_configENS1_25transform_config_selectorIyLb0EEEZNS1_14transform_implILb0ES3_S5_NS0_18transform_iteratorINS0_17counting_iteratorImlEEZNS1_24adjacent_difference_implIS3_Lb1ELb0EPySB_N6thrust23THRUST_200600_302600_NS4plusIyEEEE10hipError_tPvRmT2_T3_mT4_P12ihipStream_tbEUlmE_yEESB_NS0_8identityIvEEEESG_SJ_SK_mSL_SN_bEUlT_E_NS1_11comp_targetILNS1_3genE4ELNS1_11target_archE910ELNS1_3gpuE8ELNS1_3repE0EEENS1_30default_config_static_selectorELNS0_4arch9wavefront6targetE0EEEvT1_
	.globl	_ZN7rocprim17ROCPRIM_400000_NS6detail17trampoline_kernelINS0_14default_configENS1_25transform_config_selectorIyLb0EEEZNS1_14transform_implILb0ES3_S5_NS0_18transform_iteratorINS0_17counting_iteratorImlEEZNS1_24adjacent_difference_implIS3_Lb1ELb0EPySB_N6thrust23THRUST_200600_302600_NS4plusIyEEEE10hipError_tPvRmT2_T3_mT4_P12ihipStream_tbEUlmE_yEESB_NS0_8identityIvEEEESG_SJ_SK_mSL_SN_bEUlT_E_NS1_11comp_targetILNS1_3genE4ELNS1_11target_archE910ELNS1_3gpuE8ELNS1_3repE0EEENS1_30default_config_static_selectorELNS0_4arch9wavefront6targetE0EEEvT1_
	.p2align	8
	.type	_ZN7rocprim17ROCPRIM_400000_NS6detail17trampoline_kernelINS0_14default_configENS1_25transform_config_selectorIyLb0EEEZNS1_14transform_implILb0ES3_S5_NS0_18transform_iteratorINS0_17counting_iteratorImlEEZNS1_24adjacent_difference_implIS3_Lb1ELb0EPySB_N6thrust23THRUST_200600_302600_NS4plusIyEEEE10hipError_tPvRmT2_T3_mT4_P12ihipStream_tbEUlmE_yEESB_NS0_8identityIvEEEESG_SJ_SK_mSL_SN_bEUlT_E_NS1_11comp_targetILNS1_3genE4ELNS1_11target_archE910ELNS1_3gpuE8ELNS1_3repE0EEENS1_30default_config_static_selectorELNS0_4arch9wavefront6targetE0EEEvT1_,@function
_ZN7rocprim17ROCPRIM_400000_NS6detail17trampoline_kernelINS0_14default_configENS1_25transform_config_selectorIyLb0EEEZNS1_14transform_implILb0ES3_S5_NS0_18transform_iteratorINS0_17counting_iteratorImlEEZNS1_24adjacent_difference_implIS3_Lb1ELb0EPySB_N6thrust23THRUST_200600_302600_NS4plusIyEEEE10hipError_tPvRmT2_T3_mT4_P12ihipStream_tbEUlmE_yEESB_NS0_8identityIvEEEESG_SJ_SK_mSL_SN_bEUlT_E_NS1_11comp_targetILNS1_3genE4ELNS1_11target_archE910ELNS1_3gpuE8ELNS1_3repE0EEENS1_30default_config_static_selectorELNS0_4arch9wavefront6targetE0EEEvT1_: ; @_ZN7rocprim17ROCPRIM_400000_NS6detail17trampoline_kernelINS0_14default_configENS1_25transform_config_selectorIyLb0EEEZNS1_14transform_implILb0ES3_S5_NS0_18transform_iteratorINS0_17counting_iteratorImlEEZNS1_24adjacent_difference_implIS3_Lb1ELb0EPySB_N6thrust23THRUST_200600_302600_NS4plusIyEEEE10hipError_tPvRmT2_T3_mT4_P12ihipStream_tbEUlmE_yEESB_NS0_8identityIvEEEESG_SJ_SK_mSL_SN_bEUlT_E_NS1_11comp_targetILNS1_3genE4ELNS1_11target_archE910ELNS1_3gpuE8ELNS1_3repE0EEENS1_30default_config_static_selectorELNS0_4arch9wavefront6targetE0EEEvT1_
; %bb.0:
	.section	.rodata,"a",@progbits
	.p2align	6, 0x0
	.amdhsa_kernel _ZN7rocprim17ROCPRIM_400000_NS6detail17trampoline_kernelINS0_14default_configENS1_25transform_config_selectorIyLb0EEEZNS1_14transform_implILb0ES3_S5_NS0_18transform_iteratorINS0_17counting_iteratorImlEEZNS1_24adjacent_difference_implIS3_Lb1ELb0EPySB_N6thrust23THRUST_200600_302600_NS4plusIyEEEE10hipError_tPvRmT2_T3_mT4_P12ihipStream_tbEUlmE_yEESB_NS0_8identityIvEEEESG_SJ_SK_mSL_SN_bEUlT_E_NS1_11comp_targetILNS1_3genE4ELNS1_11target_archE910ELNS1_3gpuE8ELNS1_3repE0EEENS1_30default_config_static_selectorELNS0_4arch9wavefront6targetE0EEEvT1_
		.amdhsa_group_segment_fixed_size 0
		.amdhsa_private_segment_fixed_size 0
		.amdhsa_kernarg_size 56
		.amdhsa_user_sgpr_count 15
		.amdhsa_user_sgpr_dispatch_ptr 0
		.amdhsa_user_sgpr_queue_ptr 0
		.amdhsa_user_sgpr_kernarg_segment_ptr 1
		.amdhsa_user_sgpr_dispatch_id 0
		.amdhsa_user_sgpr_private_segment_size 0
		.amdhsa_wavefront_size32 1
		.amdhsa_uses_dynamic_stack 0
		.amdhsa_enable_private_segment 0
		.amdhsa_system_sgpr_workgroup_id_x 1
		.amdhsa_system_sgpr_workgroup_id_y 0
		.amdhsa_system_sgpr_workgroup_id_z 0
		.amdhsa_system_sgpr_workgroup_info 0
		.amdhsa_system_vgpr_workitem_id 0
		.amdhsa_next_free_vgpr 1
		.amdhsa_next_free_sgpr 1
		.amdhsa_reserve_vcc 0
		.amdhsa_float_round_mode_32 0
		.amdhsa_float_round_mode_16_64 0
		.amdhsa_float_denorm_mode_32 3
		.amdhsa_float_denorm_mode_16_64 3
		.amdhsa_dx10_clamp 1
		.amdhsa_ieee_mode 1
		.amdhsa_fp16_overflow 0
		.amdhsa_workgroup_processor_mode 1
		.amdhsa_memory_ordered 1
		.amdhsa_forward_progress 0
		.amdhsa_shared_vgpr_count 0
		.amdhsa_exception_fp_ieee_invalid_op 0
		.amdhsa_exception_fp_denorm_src 0
		.amdhsa_exception_fp_ieee_div_zero 0
		.amdhsa_exception_fp_ieee_overflow 0
		.amdhsa_exception_fp_ieee_underflow 0
		.amdhsa_exception_fp_ieee_inexact 0
		.amdhsa_exception_int_div_zero 0
	.end_amdhsa_kernel
	.section	.text._ZN7rocprim17ROCPRIM_400000_NS6detail17trampoline_kernelINS0_14default_configENS1_25transform_config_selectorIyLb0EEEZNS1_14transform_implILb0ES3_S5_NS0_18transform_iteratorINS0_17counting_iteratorImlEEZNS1_24adjacent_difference_implIS3_Lb1ELb0EPySB_N6thrust23THRUST_200600_302600_NS4plusIyEEEE10hipError_tPvRmT2_T3_mT4_P12ihipStream_tbEUlmE_yEESB_NS0_8identityIvEEEESG_SJ_SK_mSL_SN_bEUlT_E_NS1_11comp_targetILNS1_3genE4ELNS1_11target_archE910ELNS1_3gpuE8ELNS1_3repE0EEENS1_30default_config_static_selectorELNS0_4arch9wavefront6targetE0EEEvT1_,"axG",@progbits,_ZN7rocprim17ROCPRIM_400000_NS6detail17trampoline_kernelINS0_14default_configENS1_25transform_config_selectorIyLb0EEEZNS1_14transform_implILb0ES3_S5_NS0_18transform_iteratorINS0_17counting_iteratorImlEEZNS1_24adjacent_difference_implIS3_Lb1ELb0EPySB_N6thrust23THRUST_200600_302600_NS4plusIyEEEE10hipError_tPvRmT2_T3_mT4_P12ihipStream_tbEUlmE_yEESB_NS0_8identityIvEEEESG_SJ_SK_mSL_SN_bEUlT_E_NS1_11comp_targetILNS1_3genE4ELNS1_11target_archE910ELNS1_3gpuE8ELNS1_3repE0EEENS1_30default_config_static_selectorELNS0_4arch9wavefront6targetE0EEEvT1_,comdat
.Lfunc_end139:
	.size	_ZN7rocprim17ROCPRIM_400000_NS6detail17trampoline_kernelINS0_14default_configENS1_25transform_config_selectorIyLb0EEEZNS1_14transform_implILb0ES3_S5_NS0_18transform_iteratorINS0_17counting_iteratorImlEEZNS1_24adjacent_difference_implIS3_Lb1ELb0EPySB_N6thrust23THRUST_200600_302600_NS4plusIyEEEE10hipError_tPvRmT2_T3_mT4_P12ihipStream_tbEUlmE_yEESB_NS0_8identityIvEEEESG_SJ_SK_mSL_SN_bEUlT_E_NS1_11comp_targetILNS1_3genE4ELNS1_11target_archE910ELNS1_3gpuE8ELNS1_3repE0EEENS1_30default_config_static_selectorELNS0_4arch9wavefront6targetE0EEEvT1_, .Lfunc_end139-_ZN7rocprim17ROCPRIM_400000_NS6detail17trampoline_kernelINS0_14default_configENS1_25transform_config_selectorIyLb0EEEZNS1_14transform_implILb0ES3_S5_NS0_18transform_iteratorINS0_17counting_iteratorImlEEZNS1_24adjacent_difference_implIS3_Lb1ELb0EPySB_N6thrust23THRUST_200600_302600_NS4plusIyEEEE10hipError_tPvRmT2_T3_mT4_P12ihipStream_tbEUlmE_yEESB_NS0_8identityIvEEEESG_SJ_SK_mSL_SN_bEUlT_E_NS1_11comp_targetILNS1_3genE4ELNS1_11target_archE910ELNS1_3gpuE8ELNS1_3repE0EEENS1_30default_config_static_selectorELNS0_4arch9wavefront6targetE0EEEvT1_
                                        ; -- End function
	.section	.AMDGPU.csdata,"",@progbits
; Kernel info:
; codeLenInByte = 0
; NumSgprs: 0
; NumVgprs: 0
; ScratchSize: 0
; MemoryBound: 0
; FloatMode: 240
; IeeeMode: 1
; LDSByteSize: 0 bytes/workgroup (compile time only)
; SGPRBlocks: 0
; VGPRBlocks: 0
; NumSGPRsForWavesPerEU: 1
; NumVGPRsForWavesPerEU: 1
; Occupancy: 16
; WaveLimiterHint : 0
; COMPUTE_PGM_RSRC2:SCRATCH_EN: 0
; COMPUTE_PGM_RSRC2:USER_SGPR: 15
; COMPUTE_PGM_RSRC2:TRAP_HANDLER: 0
; COMPUTE_PGM_RSRC2:TGID_X_EN: 1
; COMPUTE_PGM_RSRC2:TGID_Y_EN: 0
; COMPUTE_PGM_RSRC2:TGID_Z_EN: 0
; COMPUTE_PGM_RSRC2:TIDIG_COMP_CNT: 0
	.section	.text._ZN7rocprim17ROCPRIM_400000_NS6detail17trampoline_kernelINS0_14default_configENS1_25transform_config_selectorIyLb0EEEZNS1_14transform_implILb0ES3_S5_NS0_18transform_iteratorINS0_17counting_iteratorImlEEZNS1_24adjacent_difference_implIS3_Lb1ELb0EPySB_N6thrust23THRUST_200600_302600_NS4plusIyEEEE10hipError_tPvRmT2_T3_mT4_P12ihipStream_tbEUlmE_yEESB_NS0_8identityIvEEEESG_SJ_SK_mSL_SN_bEUlT_E_NS1_11comp_targetILNS1_3genE3ELNS1_11target_archE908ELNS1_3gpuE7ELNS1_3repE0EEENS1_30default_config_static_selectorELNS0_4arch9wavefront6targetE0EEEvT1_,"axG",@progbits,_ZN7rocprim17ROCPRIM_400000_NS6detail17trampoline_kernelINS0_14default_configENS1_25transform_config_selectorIyLb0EEEZNS1_14transform_implILb0ES3_S5_NS0_18transform_iteratorINS0_17counting_iteratorImlEEZNS1_24adjacent_difference_implIS3_Lb1ELb0EPySB_N6thrust23THRUST_200600_302600_NS4plusIyEEEE10hipError_tPvRmT2_T3_mT4_P12ihipStream_tbEUlmE_yEESB_NS0_8identityIvEEEESG_SJ_SK_mSL_SN_bEUlT_E_NS1_11comp_targetILNS1_3genE3ELNS1_11target_archE908ELNS1_3gpuE7ELNS1_3repE0EEENS1_30default_config_static_selectorELNS0_4arch9wavefront6targetE0EEEvT1_,comdat
	.protected	_ZN7rocprim17ROCPRIM_400000_NS6detail17trampoline_kernelINS0_14default_configENS1_25transform_config_selectorIyLb0EEEZNS1_14transform_implILb0ES3_S5_NS0_18transform_iteratorINS0_17counting_iteratorImlEEZNS1_24adjacent_difference_implIS3_Lb1ELb0EPySB_N6thrust23THRUST_200600_302600_NS4plusIyEEEE10hipError_tPvRmT2_T3_mT4_P12ihipStream_tbEUlmE_yEESB_NS0_8identityIvEEEESG_SJ_SK_mSL_SN_bEUlT_E_NS1_11comp_targetILNS1_3genE3ELNS1_11target_archE908ELNS1_3gpuE7ELNS1_3repE0EEENS1_30default_config_static_selectorELNS0_4arch9wavefront6targetE0EEEvT1_ ; -- Begin function _ZN7rocprim17ROCPRIM_400000_NS6detail17trampoline_kernelINS0_14default_configENS1_25transform_config_selectorIyLb0EEEZNS1_14transform_implILb0ES3_S5_NS0_18transform_iteratorINS0_17counting_iteratorImlEEZNS1_24adjacent_difference_implIS3_Lb1ELb0EPySB_N6thrust23THRUST_200600_302600_NS4plusIyEEEE10hipError_tPvRmT2_T3_mT4_P12ihipStream_tbEUlmE_yEESB_NS0_8identityIvEEEESG_SJ_SK_mSL_SN_bEUlT_E_NS1_11comp_targetILNS1_3genE3ELNS1_11target_archE908ELNS1_3gpuE7ELNS1_3repE0EEENS1_30default_config_static_selectorELNS0_4arch9wavefront6targetE0EEEvT1_
	.globl	_ZN7rocprim17ROCPRIM_400000_NS6detail17trampoline_kernelINS0_14default_configENS1_25transform_config_selectorIyLb0EEEZNS1_14transform_implILb0ES3_S5_NS0_18transform_iteratorINS0_17counting_iteratorImlEEZNS1_24adjacent_difference_implIS3_Lb1ELb0EPySB_N6thrust23THRUST_200600_302600_NS4plusIyEEEE10hipError_tPvRmT2_T3_mT4_P12ihipStream_tbEUlmE_yEESB_NS0_8identityIvEEEESG_SJ_SK_mSL_SN_bEUlT_E_NS1_11comp_targetILNS1_3genE3ELNS1_11target_archE908ELNS1_3gpuE7ELNS1_3repE0EEENS1_30default_config_static_selectorELNS0_4arch9wavefront6targetE0EEEvT1_
	.p2align	8
	.type	_ZN7rocprim17ROCPRIM_400000_NS6detail17trampoline_kernelINS0_14default_configENS1_25transform_config_selectorIyLb0EEEZNS1_14transform_implILb0ES3_S5_NS0_18transform_iteratorINS0_17counting_iteratorImlEEZNS1_24adjacent_difference_implIS3_Lb1ELb0EPySB_N6thrust23THRUST_200600_302600_NS4plusIyEEEE10hipError_tPvRmT2_T3_mT4_P12ihipStream_tbEUlmE_yEESB_NS0_8identityIvEEEESG_SJ_SK_mSL_SN_bEUlT_E_NS1_11comp_targetILNS1_3genE3ELNS1_11target_archE908ELNS1_3gpuE7ELNS1_3repE0EEENS1_30default_config_static_selectorELNS0_4arch9wavefront6targetE0EEEvT1_,@function
_ZN7rocprim17ROCPRIM_400000_NS6detail17trampoline_kernelINS0_14default_configENS1_25transform_config_selectorIyLb0EEEZNS1_14transform_implILb0ES3_S5_NS0_18transform_iteratorINS0_17counting_iteratorImlEEZNS1_24adjacent_difference_implIS3_Lb1ELb0EPySB_N6thrust23THRUST_200600_302600_NS4plusIyEEEE10hipError_tPvRmT2_T3_mT4_P12ihipStream_tbEUlmE_yEESB_NS0_8identityIvEEEESG_SJ_SK_mSL_SN_bEUlT_E_NS1_11comp_targetILNS1_3genE3ELNS1_11target_archE908ELNS1_3gpuE7ELNS1_3repE0EEENS1_30default_config_static_selectorELNS0_4arch9wavefront6targetE0EEEvT1_: ; @_ZN7rocprim17ROCPRIM_400000_NS6detail17trampoline_kernelINS0_14default_configENS1_25transform_config_selectorIyLb0EEEZNS1_14transform_implILb0ES3_S5_NS0_18transform_iteratorINS0_17counting_iteratorImlEEZNS1_24adjacent_difference_implIS3_Lb1ELb0EPySB_N6thrust23THRUST_200600_302600_NS4plusIyEEEE10hipError_tPvRmT2_T3_mT4_P12ihipStream_tbEUlmE_yEESB_NS0_8identityIvEEEESG_SJ_SK_mSL_SN_bEUlT_E_NS1_11comp_targetILNS1_3genE3ELNS1_11target_archE908ELNS1_3gpuE7ELNS1_3repE0EEENS1_30default_config_static_selectorELNS0_4arch9wavefront6targetE0EEEvT1_
; %bb.0:
	.section	.rodata,"a",@progbits
	.p2align	6, 0x0
	.amdhsa_kernel _ZN7rocprim17ROCPRIM_400000_NS6detail17trampoline_kernelINS0_14default_configENS1_25transform_config_selectorIyLb0EEEZNS1_14transform_implILb0ES3_S5_NS0_18transform_iteratorINS0_17counting_iteratorImlEEZNS1_24adjacent_difference_implIS3_Lb1ELb0EPySB_N6thrust23THRUST_200600_302600_NS4plusIyEEEE10hipError_tPvRmT2_T3_mT4_P12ihipStream_tbEUlmE_yEESB_NS0_8identityIvEEEESG_SJ_SK_mSL_SN_bEUlT_E_NS1_11comp_targetILNS1_3genE3ELNS1_11target_archE908ELNS1_3gpuE7ELNS1_3repE0EEENS1_30default_config_static_selectorELNS0_4arch9wavefront6targetE0EEEvT1_
		.amdhsa_group_segment_fixed_size 0
		.amdhsa_private_segment_fixed_size 0
		.amdhsa_kernarg_size 56
		.amdhsa_user_sgpr_count 15
		.amdhsa_user_sgpr_dispatch_ptr 0
		.amdhsa_user_sgpr_queue_ptr 0
		.amdhsa_user_sgpr_kernarg_segment_ptr 1
		.amdhsa_user_sgpr_dispatch_id 0
		.amdhsa_user_sgpr_private_segment_size 0
		.amdhsa_wavefront_size32 1
		.amdhsa_uses_dynamic_stack 0
		.amdhsa_enable_private_segment 0
		.amdhsa_system_sgpr_workgroup_id_x 1
		.amdhsa_system_sgpr_workgroup_id_y 0
		.amdhsa_system_sgpr_workgroup_id_z 0
		.amdhsa_system_sgpr_workgroup_info 0
		.amdhsa_system_vgpr_workitem_id 0
		.amdhsa_next_free_vgpr 1
		.amdhsa_next_free_sgpr 1
		.amdhsa_reserve_vcc 0
		.amdhsa_float_round_mode_32 0
		.amdhsa_float_round_mode_16_64 0
		.amdhsa_float_denorm_mode_32 3
		.amdhsa_float_denorm_mode_16_64 3
		.amdhsa_dx10_clamp 1
		.amdhsa_ieee_mode 1
		.amdhsa_fp16_overflow 0
		.amdhsa_workgroup_processor_mode 1
		.amdhsa_memory_ordered 1
		.amdhsa_forward_progress 0
		.amdhsa_shared_vgpr_count 0
		.amdhsa_exception_fp_ieee_invalid_op 0
		.amdhsa_exception_fp_denorm_src 0
		.amdhsa_exception_fp_ieee_div_zero 0
		.amdhsa_exception_fp_ieee_overflow 0
		.amdhsa_exception_fp_ieee_underflow 0
		.amdhsa_exception_fp_ieee_inexact 0
		.amdhsa_exception_int_div_zero 0
	.end_amdhsa_kernel
	.section	.text._ZN7rocprim17ROCPRIM_400000_NS6detail17trampoline_kernelINS0_14default_configENS1_25transform_config_selectorIyLb0EEEZNS1_14transform_implILb0ES3_S5_NS0_18transform_iteratorINS0_17counting_iteratorImlEEZNS1_24adjacent_difference_implIS3_Lb1ELb0EPySB_N6thrust23THRUST_200600_302600_NS4plusIyEEEE10hipError_tPvRmT2_T3_mT4_P12ihipStream_tbEUlmE_yEESB_NS0_8identityIvEEEESG_SJ_SK_mSL_SN_bEUlT_E_NS1_11comp_targetILNS1_3genE3ELNS1_11target_archE908ELNS1_3gpuE7ELNS1_3repE0EEENS1_30default_config_static_selectorELNS0_4arch9wavefront6targetE0EEEvT1_,"axG",@progbits,_ZN7rocprim17ROCPRIM_400000_NS6detail17trampoline_kernelINS0_14default_configENS1_25transform_config_selectorIyLb0EEEZNS1_14transform_implILb0ES3_S5_NS0_18transform_iteratorINS0_17counting_iteratorImlEEZNS1_24adjacent_difference_implIS3_Lb1ELb0EPySB_N6thrust23THRUST_200600_302600_NS4plusIyEEEE10hipError_tPvRmT2_T3_mT4_P12ihipStream_tbEUlmE_yEESB_NS0_8identityIvEEEESG_SJ_SK_mSL_SN_bEUlT_E_NS1_11comp_targetILNS1_3genE3ELNS1_11target_archE908ELNS1_3gpuE7ELNS1_3repE0EEENS1_30default_config_static_selectorELNS0_4arch9wavefront6targetE0EEEvT1_,comdat
.Lfunc_end140:
	.size	_ZN7rocprim17ROCPRIM_400000_NS6detail17trampoline_kernelINS0_14default_configENS1_25transform_config_selectorIyLb0EEEZNS1_14transform_implILb0ES3_S5_NS0_18transform_iteratorINS0_17counting_iteratorImlEEZNS1_24adjacent_difference_implIS3_Lb1ELb0EPySB_N6thrust23THRUST_200600_302600_NS4plusIyEEEE10hipError_tPvRmT2_T3_mT4_P12ihipStream_tbEUlmE_yEESB_NS0_8identityIvEEEESG_SJ_SK_mSL_SN_bEUlT_E_NS1_11comp_targetILNS1_3genE3ELNS1_11target_archE908ELNS1_3gpuE7ELNS1_3repE0EEENS1_30default_config_static_selectorELNS0_4arch9wavefront6targetE0EEEvT1_, .Lfunc_end140-_ZN7rocprim17ROCPRIM_400000_NS6detail17trampoline_kernelINS0_14default_configENS1_25transform_config_selectorIyLb0EEEZNS1_14transform_implILb0ES3_S5_NS0_18transform_iteratorINS0_17counting_iteratorImlEEZNS1_24adjacent_difference_implIS3_Lb1ELb0EPySB_N6thrust23THRUST_200600_302600_NS4plusIyEEEE10hipError_tPvRmT2_T3_mT4_P12ihipStream_tbEUlmE_yEESB_NS0_8identityIvEEEESG_SJ_SK_mSL_SN_bEUlT_E_NS1_11comp_targetILNS1_3genE3ELNS1_11target_archE908ELNS1_3gpuE7ELNS1_3repE0EEENS1_30default_config_static_selectorELNS0_4arch9wavefront6targetE0EEEvT1_
                                        ; -- End function
	.section	.AMDGPU.csdata,"",@progbits
; Kernel info:
; codeLenInByte = 0
; NumSgprs: 0
; NumVgprs: 0
; ScratchSize: 0
; MemoryBound: 0
; FloatMode: 240
; IeeeMode: 1
; LDSByteSize: 0 bytes/workgroup (compile time only)
; SGPRBlocks: 0
; VGPRBlocks: 0
; NumSGPRsForWavesPerEU: 1
; NumVGPRsForWavesPerEU: 1
; Occupancy: 16
; WaveLimiterHint : 0
; COMPUTE_PGM_RSRC2:SCRATCH_EN: 0
; COMPUTE_PGM_RSRC2:USER_SGPR: 15
; COMPUTE_PGM_RSRC2:TRAP_HANDLER: 0
; COMPUTE_PGM_RSRC2:TGID_X_EN: 1
; COMPUTE_PGM_RSRC2:TGID_Y_EN: 0
; COMPUTE_PGM_RSRC2:TGID_Z_EN: 0
; COMPUTE_PGM_RSRC2:TIDIG_COMP_CNT: 0
	.section	.text._ZN7rocprim17ROCPRIM_400000_NS6detail17trampoline_kernelINS0_14default_configENS1_25transform_config_selectorIyLb0EEEZNS1_14transform_implILb0ES3_S5_NS0_18transform_iteratorINS0_17counting_iteratorImlEEZNS1_24adjacent_difference_implIS3_Lb1ELb0EPySB_N6thrust23THRUST_200600_302600_NS4plusIyEEEE10hipError_tPvRmT2_T3_mT4_P12ihipStream_tbEUlmE_yEESB_NS0_8identityIvEEEESG_SJ_SK_mSL_SN_bEUlT_E_NS1_11comp_targetILNS1_3genE2ELNS1_11target_archE906ELNS1_3gpuE6ELNS1_3repE0EEENS1_30default_config_static_selectorELNS0_4arch9wavefront6targetE0EEEvT1_,"axG",@progbits,_ZN7rocprim17ROCPRIM_400000_NS6detail17trampoline_kernelINS0_14default_configENS1_25transform_config_selectorIyLb0EEEZNS1_14transform_implILb0ES3_S5_NS0_18transform_iteratorINS0_17counting_iteratorImlEEZNS1_24adjacent_difference_implIS3_Lb1ELb0EPySB_N6thrust23THRUST_200600_302600_NS4plusIyEEEE10hipError_tPvRmT2_T3_mT4_P12ihipStream_tbEUlmE_yEESB_NS0_8identityIvEEEESG_SJ_SK_mSL_SN_bEUlT_E_NS1_11comp_targetILNS1_3genE2ELNS1_11target_archE906ELNS1_3gpuE6ELNS1_3repE0EEENS1_30default_config_static_selectorELNS0_4arch9wavefront6targetE0EEEvT1_,comdat
	.protected	_ZN7rocprim17ROCPRIM_400000_NS6detail17trampoline_kernelINS0_14default_configENS1_25transform_config_selectorIyLb0EEEZNS1_14transform_implILb0ES3_S5_NS0_18transform_iteratorINS0_17counting_iteratorImlEEZNS1_24adjacent_difference_implIS3_Lb1ELb0EPySB_N6thrust23THRUST_200600_302600_NS4plusIyEEEE10hipError_tPvRmT2_T3_mT4_P12ihipStream_tbEUlmE_yEESB_NS0_8identityIvEEEESG_SJ_SK_mSL_SN_bEUlT_E_NS1_11comp_targetILNS1_3genE2ELNS1_11target_archE906ELNS1_3gpuE6ELNS1_3repE0EEENS1_30default_config_static_selectorELNS0_4arch9wavefront6targetE0EEEvT1_ ; -- Begin function _ZN7rocprim17ROCPRIM_400000_NS6detail17trampoline_kernelINS0_14default_configENS1_25transform_config_selectorIyLb0EEEZNS1_14transform_implILb0ES3_S5_NS0_18transform_iteratorINS0_17counting_iteratorImlEEZNS1_24adjacent_difference_implIS3_Lb1ELb0EPySB_N6thrust23THRUST_200600_302600_NS4plusIyEEEE10hipError_tPvRmT2_T3_mT4_P12ihipStream_tbEUlmE_yEESB_NS0_8identityIvEEEESG_SJ_SK_mSL_SN_bEUlT_E_NS1_11comp_targetILNS1_3genE2ELNS1_11target_archE906ELNS1_3gpuE6ELNS1_3repE0EEENS1_30default_config_static_selectorELNS0_4arch9wavefront6targetE0EEEvT1_
	.globl	_ZN7rocprim17ROCPRIM_400000_NS6detail17trampoline_kernelINS0_14default_configENS1_25transform_config_selectorIyLb0EEEZNS1_14transform_implILb0ES3_S5_NS0_18transform_iteratorINS0_17counting_iteratorImlEEZNS1_24adjacent_difference_implIS3_Lb1ELb0EPySB_N6thrust23THRUST_200600_302600_NS4plusIyEEEE10hipError_tPvRmT2_T3_mT4_P12ihipStream_tbEUlmE_yEESB_NS0_8identityIvEEEESG_SJ_SK_mSL_SN_bEUlT_E_NS1_11comp_targetILNS1_3genE2ELNS1_11target_archE906ELNS1_3gpuE6ELNS1_3repE0EEENS1_30default_config_static_selectorELNS0_4arch9wavefront6targetE0EEEvT1_
	.p2align	8
	.type	_ZN7rocprim17ROCPRIM_400000_NS6detail17trampoline_kernelINS0_14default_configENS1_25transform_config_selectorIyLb0EEEZNS1_14transform_implILb0ES3_S5_NS0_18transform_iteratorINS0_17counting_iteratorImlEEZNS1_24adjacent_difference_implIS3_Lb1ELb0EPySB_N6thrust23THRUST_200600_302600_NS4plusIyEEEE10hipError_tPvRmT2_T3_mT4_P12ihipStream_tbEUlmE_yEESB_NS0_8identityIvEEEESG_SJ_SK_mSL_SN_bEUlT_E_NS1_11comp_targetILNS1_3genE2ELNS1_11target_archE906ELNS1_3gpuE6ELNS1_3repE0EEENS1_30default_config_static_selectorELNS0_4arch9wavefront6targetE0EEEvT1_,@function
_ZN7rocprim17ROCPRIM_400000_NS6detail17trampoline_kernelINS0_14default_configENS1_25transform_config_selectorIyLb0EEEZNS1_14transform_implILb0ES3_S5_NS0_18transform_iteratorINS0_17counting_iteratorImlEEZNS1_24adjacent_difference_implIS3_Lb1ELb0EPySB_N6thrust23THRUST_200600_302600_NS4plusIyEEEE10hipError_tPvRmT2_T3_mT4_P12ihipStream_tbEUlmE_yEESB_NS0_8identityIvEEEESG_SJ_SK_mSL_SN_bEUlT_E_NS1_11comp_targetILNS1_3genE2ELNS1_11target_archE906ELNS1_3gpuE6ELNS1_3repE0EEENS1_30default_config_static_selectorELNS0_4arch9wavefront6targetE0EEEvT1_: ; @_ZN7rocprim17ROCPRIM_400000_NS6detail17trampoline_kernelINS0_14default_configENS1_25transform_config_selectorIyLb0EEEZNS1_14transform_implILb0ES3_S5_NS0_18transform_iteratorINS0_17counting_iteratorImlEEZNS1_24adjacent_difference_implIS3_Lb1ELb0EPySB_N6thrust23THRUST_200600_302600_NS4plusIyEEEE10hipError_tPvRmT2_T3_mT4_P12ihipStream_tbEUlmE_yEESB_NS0_8identityIvEEEESG_SJ_SK_mSL_SN_bEUlT_E_NS1_11comp_targetILNS1_3genE2ELNS1_11target_archE906ELNS1_3gpuE6ELNS1_3repE0EEENS1_30default_config_static_selectorELNS0_4arch9wavefront6targetE0EEEvT1_
; %bb.0:
	.section	.rodata,"a",@progbits
	.p2align	6, 0x0
	.amdhsa_kernel _ZN7rocprim17ROCPRIM_400000_NS6detail17trampoline_kernelINS0_14default_configENS1_25transform_config_selectorIyLb0EEEZNS1_14transform_implILb0ES3_S5_NS0_18transform_iteratorINS0_17counting_iteratorImlEEZNS1_24adjacent_difference_implIS3_Lb1ELb0EPySB_N6thrust23THRUST_200600_302600_NS4plusIyEEEE10hipError_tPvRmT2_T3_mT4_P12ihipStream_tbEUlmE_yEESB_NS0_8identityIvEEEESG_SJ_SK_mSL_SN_bEUlT_E_NS1_11comp_targetILNS1_3genE2ELNS1_11target_archE906ELNS1_3gpuE6ELNS1_3repE0EEENS1_30default_config_static_selectorELNS0_4arch9wavefront6targetE0EEEvT1_
		.amdhsa_group_segment_fixed_size 0
		.amdhsa_private_segment_fixed_size 0
		.amdhsa_kernarg_size 56
		.amdhsa_user_sgpr_count 15
		.amdhsa_user_sgpr_dispatch_ptr 0
		.amdhsa_user_sgpr_queue_ptr 0
		.amdhsa_user_sgpr_kernarg_segment_ptr 1
		.amdhsa_user_sgpr_dispatch_id 0
		.amdhsa_user_sgpr_private_segment_size 0
		.amdhsa_wavefront_size32 1
		.amdhsa_uses_dynamic_stack 0
		.amdhsa_enable_private_segment 0
		.amdhsa_system_sgpr_workgroup_id_x 1
		.amdhsa_system_sgpr_workgroup_id_y 0
		.amdhsa_system_sgpr_workgroup_id_z 0
		.amdhsa_system_sgpr_workgroup_info 0
		.amdhsa_system_vgpr_workitem_id 0
		.amdhsa_next_free_vgpr 1
		.amdhsa_next_free_sgpr 1
		.amdhsa_reserve_vcc 0
		.amdhsa_float_round_mode_32 0
		.amdhsa_float_round_mode_16_64 0
		.amdhsa_float_denorm_mode_32 3
		.amdhsa_float_denorm_mode_16_64 3
		.amdhsa_dx10_clamp 1
		.amdhsa_ieee_mode 1
		.amdhsa_fp16_overflow 0
		.amdhsa_workgroup_processor_mode 1
		.amdhsa_memory_ordered 1
		.amdhsa_forward_progress 0
		.amdhsa_shared_vgpr_count 0
		.amdhsa_exception_fp_ieee_invalid_op 0
		.amdhsa_exception_fp_denorm_src 0
		.amdhsa_exception_fp_ieee_div_zero 0
		.amdhsa_exception_fp_ieee_overflow 0
		.amdhsa_exception_fp_ieee_underflow 0
		.amdhsa_exception_fp_ieee_inexact 0
		.amdhsa_exception_int_div_zero 0
	.end_amdhsa_kernel
	.section	.text._ZN7rocprim17ROCPRIM_400000_NS6detail17trampoline_kernelINS0_14default_configENS1_25transform_config_selectorIyLb0EEEZNS1_14transform_implILb0ES3_S5_NS0_18transform_iteratorINS0_17counting_iteratorImlEEZNS1_24adjacent_difference_implIS3_Lb1ELb0EPySB_N6thrust23THRUST_200600_302600_NS4plusIyEEEE10hipError_tPvRmT2_T3_mT4_P12ihipStream_tbEUlmE_yEESB_NS0_8identityIvEEEESG_SJ_SK_mSL_SN_bEUlT_E_NS1_11comp_targetILNS1_3genE2ELNS1_11target_archE906ELNS1_3gpuE6ELNS1_3repE0EEENS1_30default_config_static_selectorELNS0_4arch9wavefront6targetE0EEEvT1_,"axG",@progbits,_ZN7rocprim17ROCPRIM_400000_NS6detail17trampoline_kernelINS0_14default_configENS1_25transform_config_selectorIyLb0EEEZNS1_14transform_implILb0ES3_S5_NS0_18transform_iteratorINS0_17counting_iteratorImlEEZNS1_24adjacent_difference_implIS3_Lb1ELb0EPySB_N6thrust23THRUST_200600_302600_NS4plusIyEEEE10hipError_tPvRmT2_T3_mT4_P12ihipStream_tbEUlmE_yEESB_NS0_8identityIvEEEESG_SJ_SK_mSL_SN_bEUlT_E_NS1_11comp_targetILNS1_3genE2ELNS1_11target_archE906ELNS1_3gpuE6ELNS1_3repE0EEENS1_30default_config_static_selectorELNS0_4arch9wavefront6targetE0EEEvT1_,comdat
.Lfunc_end141:
	.size	_ZN7rocprim17ROCPRIM_400000_NS6detail17trampoline_kernelINS0_14default_configENS1_25transform_config_selectorIyLb0EEEZNS1_14transform_implILb0ES3_S5_NS0_18transform_iteratorINS0_17counting_iteratorImlEEZNS1_24adjacent_difference_implIS3_Lb1ELb0EPySB_N6thrust23THRUST_200600_302600_NS4plusIyEEEE10hipError_tPvRmT2_T3_mT4_P12ihipStream_tbEUlmE_yEESB_NS0_8identityIvEEEESG_SJ_SK_mSL_SN_bEUlT_E_NS1_11comp_targetILNS1_3genE2ELNS1_11target_archE906ELNS1_3gpuE6ELNS1_3repE0EEENS1_30default_config_static_selectorELNS0_4arch9wavefront6targetE0EEEvT1_, .Lfunc_end141-_ZN7rocprim17ROCPRIM_400000_NS6detail17trampoline_kernelINS0_14default_configENS1_25transform_config_selectorIyLb0EEEZNS1_14transform_implILb0ES3_S5_NS0_18transform_iteratorINS0_17counting_iteratorImlEEZNS1_24adjacent_difference_implIS3_Lb1ELb0EPySB_N6thrust23THRUST_200600_302600_NS4plusIyEEEE10hipError_tPvRmT2_T3_mT4_P12ihipStream_tbEUlmE_yEESB_NS0_8identityIvEEEESG_SJ_SK_mSL_SN_bEUlT_E_NS1_11comp_targetILNS1_3genE2ELNS1_11target_archE906ELNS1_3gpuE6ELNS1_3repE0EEENS1_30default_config_static_selectorELNS0_4arch9wavefront6targetE0EEEvT1_
                                        ; -- End function
	.section	.AMDGPU.csdata,"",@progbits
; Kernel info:
; codeLenInByte = 0
; NumSgprs: 0
; NumVgprs: 0
; ScratchSize: 0
; MemoryBound: 0
; FloatMode: 240
; IeeeMode: 1
; LDSByteSize: 0 bytes/workgroup (compile time only)
; SGPRBlocks: 0
; VGPRBlocks: 0
; NumSGPRsForWavesPerEU: 1
; NumVGPRsForWavesPerEU: 1
; Occupancy: 16
; WaveLimiterHint : 0
; COMPUTE_PGM_RSRC2:SCRATCH_EN: 0
; COMPUTE_PGM_RSRC2:USER_SGPR: 15
; COMPUTE_PGM_RSRC2:TRAP_HANDLER: 0
; COMPUTE_PGM_RSRC2:TGID_X_EN: 1
; COMPUTE_PGM_RSRC2:TGID_Y_EN: 0
; COMPUTE_PGM_RSRC2:TGID_Z_EN: 0
; COMPUTE_PGM_RSRC2:TIDIG_COMP_CNT: 0
	.section	.text._ZN7rocprim17ROCPRIM_400000_NS6detail17trampoline_kernelINS0_14default_configENS1_25transform_config_selectorIyLb0EEEZNS1_14transform_implILb0ES3_S5_NS0_18transform_iteratorINS0_17counting_iteratorImlEEZNS1_24adjacent_difference_implIS3_Lb1ELb0EPySB_N6thrust23THRUST_200600_302600_NS4plusIyEEEE10hipError_tPvRmT2_T3_mT4_P12ihipStream_tbEUlmE_yEESB_NS0_8identityIvEEEESG_SJ_SK_mSL_SN_bEUlT_E_NS1_11comp_targetILNS1_3genE10ELNS1_11target_archE1201ELNS1_3gpuE5ELNS1_3repE0EEENS1_30default_config_static_selectorELNS0_4arch9wavefront6targetE0EEEvT1_,"axG",@progbits,_ZN7rocprim17ROCPRIM_400000_NS6detail17trampoline_kernelINS0_14default_configENS1_25transform_config_selectorIyLb0EEEZNS1_14transform_implILb0ES3_S5_NS0_18transform_iteratorINS0_17counting_iteratorImlEEZNS1_24adjacent_difference_implIS3_Lb1ELb0EPySB_N6thrust23THRUST_200600_302600_NS4plusIyEEEE10hipError_tPvRmT2_T3_mT4_P12ihipStream_tbEUlmE_yEESB_NS0_8identityIvEEEESG_SJ_SK_mSL_SN_bEUlT_E_NS1_11comp_targetILNS1_3genE10ELNS1_11target_archE1201ELNS1_3gpuE5ELNS1_3repE0EEENS1_30default_config_static_selectorELNS0_4arch9wavefront6targetE0EEEvT1_,comdat
	.protected	_ZN7rocprim17ROCPRIM_400000_NS6detail17trampoline_kernelINS0_14default_configENS1_25transform_config_selectorIyLb0EEEZNS1_14transform_implILb0ES3_S5_NS0_18transform_iteratorINS0_17counting_iteratorImlEEZNS1_24adjacent_difference_implIS3_Lb1ELb0EPySB_N6thrust23THRUST_200600_302600_NS4plusIyEEEE10hipError_tPvRmT2_T3_mT4_P12ihipStream_tbEUlmE_yEESB_NS0_8identityIvEEEESG_SJ_SK_mSL_SN_bEUlT_E_NS1_11comp_targetILNS1_3genE10ELNS1_11target_archE1201ELNS1_3gpuE5ELNS1_3repE0EEENS1_30default_config_static_selectorELNS0_4arch9wavefront6targetE0EEEvT1_ ; -- Begin function _ZN7rocprim17ROCPRIM_400000_NS6detail17trampoline_kernelINS0_14default_configENS1_25transform_config_selectorIyLb0EEEZNS1_14transform_implILb0ES3_S5_NS0_18transform_iteratorINS0_17counting_iteratorImlEEZNS1_24adjacent_difference_implIS3_Lb1ELb0EPySB_N6thrust23THRUST_200600_302600_NS4plusIyEEEE10hipError_tPvRmT2_T3_mT4_P12ihipStream_tbEUlmE_yEESB_NS0_8identityIvEEEESG_SJ_SK_mSL_SN_bEUlT_E_NS1_11comp_targetILNS1_3genE10ELNS1_11target_archE1201ELNS1_3gpuE5ELNS1_3repE0EEENS1_30default_config_static_selectorELNS0_4arch9wavefront6targetE0EEEvT1_
	.globl	_ZN7rocprim17ROCPRIM_400000_NS6detail17trampoline_kernelINS0_14default_configENS1_25transform_config_selectorIyLb0EEEZNS1_14transform_implILb0ES3_S5_NS0_18transform_iteratorINS0_17counting_iteratorImlEEZNS1_24adjacent_difference_implIS3_Lb1ELb0EPySB_N6thrust23THRUST_200600_302600_NS4plusIyEEEE10hipError_tPvRmT2_T3_mT4_P12ihipStream_tbEUlmE_yEESB_NS0_8identityIvEEEESG_SJ_SK_mSL_SN_bEUlT_E_NS1_11comp_targetILNS1_3genE10ELNS1_11target_archE1201ELNS1_3gpuE5ELNS1_3repE0EEENS1_30default_config_static_selectorELNS0_4arch9wavefront6targetE0EEEvT1_
	.p2align	8
	.type	_ZN7rocprim17ROCPRIM_400000_NS6detail17trampoline_kernelINS0_14default_configENS1_25transform_config_selectorIyLb0EEEZNS1_14transform_implILb0ES3_S5_NS0_18transform_iteratorINS0_17counting_iteratorImlEEZNS1_24adjacent_difference_implIS3_Lb1ELb0EPySB_N6thrust23THRUST_200600_302600_NS4plusIyEEEE10hipError_tPvRmT2_T3_mT4_P12ihipStream_tbEUlmE_yEESB_NS0_8identityIvEEEESG_SJ_SK_mSL_SN_bEUlT_E_NS1_11comp_targetILNS1_3genE10ELNS1_11target_archE1201ELNS1_3gpuE5ELNS1_3repE0EEENS1_30default_config_static_selectorELNS0_4arch9wavefront6targetE0EEEvT1_,@function
_ZN7rocprim17ROCPRIM_400000_NS6detail17trampoline_kernelINS0_14default_configENS1_25transform_config_selectorIyLb0EEEZNS1_14transform_implILb0ES3_S5_NS0_18transform_iteratorINS0_17counting_iteratorImlEEZNS1_24adjacent_difference_implIS3_Lb1ELb0EPySB_N6thrust23THRUST_200600_302600_NS4plusIyEEEE10hipError_tPvRmT2_T3_mT4_P12ihipStream_tbEUlmE_yEESB_NS0_8identityIvEEEESG_SJ_SK_mSL_SN_bEUlT_E_NS1_11comp_targetILNS1_3genE10ELNS1_11target_archE1201ELNS1_3gpuE5ELNS1_3repE0EEENS1_30default_config_static_selectorELNS0_4arch9wavefront6targetE0EEEvT1_: ; @_ZN7rocprim17ROCPRIM_400000_NS6detail17trampoline_kernelINS0_14default_configENS1_25transform_config_selectorIyLb0EEEZNS1_14transform_implILb0ES3_S5_NS0_18transform_iteratorINS0_17counting_iteratorImlEEZNS1_24adjacent_difference_implIS3_Lb1ELb0EPySB_N6thrust23THRUST_200600_302600_NS4plusIyEEEE10hipError_tPvRmT2_T3_mT4_P12ihipStream_tbEUlmE_yEESB_NS0_8identityIvEEEESG_SJ_SK_mSL_SN_bEUlT_E_NS1_11comp_targetILNS1_3genE10ELNS1_11target_archE1201ELNS1_3gpuE5ELNS1_3repE0EEENS1_30default_config_static_selectorELNS0_4arch9wavefront6targetE0EEEvT1_
; %bb.0:
	.section	.rodata,"a",@progbits
	.p2align	6, 0x0
	.amdhsa_kernel _ZN7rocprim17ROCPRIM_400000_NS6detail17trampoline_kernelINS0_14default_configENS1_25transform_config_selectorIyLb0EEEZNS1_14transform_implILb0ES3_S5_NS0_18transform_iteratorINS0_17counting_iteratorImlEEZNS1_24adjacent_difference_implIS3_Lb1ELb0EPySB_N6thrust23THRUST_200600_302600_NS4plusIyEEEE10hipError_tPvRmT2_T3_mT4_P12ihipStream_tbEUlmE_yEESB_NS0_8identityIvEEEESG_SJ_SK_mSL_SN_bEUlT_E_NS1_11comp_targetILNS1_3genE10ELNS1_11target_archE1201ELNS1_3gpuE5ELNS1_3repE0EEENS1_30default_config_static_selectorELNS0_4arch9wavefront6targetE0EEEvT1_
		.amdhsa_group_segment_fixed_size 0
		.amdhsa_private_segment_fixed_size 0
		.amdhsa_kernarg_size 56
		.amdhsa_user_sgpr_count 15
		.amdhsa_user_sgpr_dispatch_ptr 0
		.amdhsa_user_sgpr_queue_ptr 0
		.amdhsa_user_sgpr_kernarg_segment_ptr 1
		.amdhsa_user_sgpr_dispatch_id 0
		.amdhsa_user_sgpr_private_segment_size 0
		.amdhsa_wavefront_size32 1
		.amdhsa_uses_dynamic_stack 0
		.amdhsa_enable_private_segment 0
		.amdhsa_system_sgpr_workgroup_id_x 1
		.amdhsa_system_sgpr_workgroup_id_y 0
		.amdhsa_system_sgpr_workgroup_id_z 0
		.amdhsa_system_sgpr_workgroup_info 0
		.amdhsa_system_vgpr_workitem_id 0
		.amdhsa_next_free_vgpr 1
		.amdhsa_next_free_sgpr 1
		.amdhsa_reserve_vcc 0
		.amdhsa_float_round_mode_32 0
		.amdhsa_float_round_mode_16_64 0
		.amdhsa_float_denorm_mode_32 3
		.amdhsa_float_denorm_mode_16_64 3
		.amdhsa_dx10_clamp 1
		.amdhsa_ieee_mode 1
		.amdhsa_fp16_overflow 0
		.amdhsa_workgroup_processor_mode 1
		.amdhsa_memory_ordered 1
		.amdhsa_forward_progress 0
		.amdhsa_shared_vgpr_count 0
		.amdhsa_exception_fp_ieee_invalid_op 0
		.amdhsa_exception_fp_denorm_src 0
		.amdhsa_exception_fp_ieee_div_zero 0
		.amdhsa_exception_fp_ieee_overflow 0
		.amdhsa_exception_fp_ieee_underflow 0
		.amdhsa_exception_fp_ieee_inexact 0
		.amdhsa_exception_int_div_zero 0
	.end_amdhsa_kernel
	.section	.text._ZN7rocprim17ROCPRIM_400000_NS6detail17trampoline_kernelINS0_14default_configENS1_25transform_config_selectorIyLb0EEEZNS1_14transform_implILb0ES3_S5_NS0_18transform_iteratorINS0_17counting_iteratorImlEEZNS1_24adjacent_difference_implIS3_Lb1ELb0EPySB_N6thrust23THRUST_200600_302600_NS4plusIyEEEE10hipError_tPvRmT2_T3_mT4_P12ihipStream_tbEUlmE_yEESB_NS0_8identityIvEEEESG_SJ_SK_mSL_SN_bEUlT_E_NS1_11comp_targetILNS1_3genE10ELNS1_11target_archE1201ELNS1_3gpuE5ELNS1_3repE0EEENS1_30default_config_static_selectorELNS0_4arch9wavefront6targetE0EEEvT1_,"axG",@progbits,_ZN7rocprim17ROCPRIM_400000_NS6detail17trampoline_kernelINS0_14default_configENS1_25transform_config_selectorIyLb0EEEZNS1_14transform_implILb0ES3_S5_NS0_18transform_iteratorINS0_17counting_iteratorImlEEZNS1_24adjacent_difference_implIS3_Lb1ELb0EPySB_N6thrust23THRUST_200600_302600_NS4plusIyEEEE10hipError_tPvRmT2_T3_mT4_P12ihipStream_tbEUlmE_yEESB_NS0_8identityIvEEEESG_SJ_SK_mSL_SN_bEUlT_E_NS1_11comp_targetILNS1_3genE10ELNS1_11target_archE1201ELNS1_3gpuE5ELNS1_3repE0EEENS1_30default_config_static_selectorELNS0_4arch9wavefront6targetE0EEEvT1_,comdat
.Lfunc_end142:
	.size	_ZN7rocprim17ROCPRIM_400000_NS6detail17trampoline_kernelINS0_14default_configENS1_25transform_config_selectorIyLb0EEEZNS1_14transform_implILb0ES3_S5_NS0_18transform_iteratorINS0_17counting_iteratorImlEEZNS1_24adjacent_difference_implIS3_Lb1ELb0EPySB_N6thrust23THRUST_200600_302600_NS4plusIyEEEE10hipError_tPvRmT2_T3_mT4_P12ihipStream_tbEUlmE_yEESB_NS0_8identityIvEEEESG_SJ_SK_mSL_SN_bEUlT_E_NS1_11comp_targetILNS1_3genE10ELNS1_11target_archE1201ELNS1_3gpuE5ELNS1_3repE0EEENS1_30default_config_static_selectorELNS0_4arch9wavefront6targetE0EEEvT1_, .Lfunc_end142-_ZN7rocprim17ROCPRIM_400000_NS6detail17trampoline_kernelINS0_14default_configENS1_25transform_config_selectorIyLb0EEEZNS1_14transform_implILb0ES3_S5_NS0_18transform_iteratorINS0_17counting_iteratorImlEEZNS1_24adjacent_difference_implIS3_Lb1ELb0EPySB_N6thrust23THRUST_200600_302600_NS4plusIyEEEE10hipError_tPvRmT2_T3_mT4_P12ihipStream_tbEUlmE_yEESB_NS0_8identityIvEEEESG_SJ_SK_mSL_SN_bEUlT_E_NS1_11comp_targetILNS1_3genE10ELNS1_11target_archE1201ELNS1_3gpuE5ELNS1_3repE0EEENS1_30default_config_static_selectorELNS0_4arch9wavefront6targetE0EEEvT1_
                                        ; -- End function
	.section	.AMDGPU.csdata,"",@progbits
; Kernel info:
; codeLenInByte = 0
; NumSgprs: 0
; NumVgprs: 0
; ScratchSize: 0
; MemoryBound: 0
; FloatMode: 240
; IeeeMode: 1
; LDSByteSize: 0 bytes/workgroup (compile time only)
; SGPRBlocks: 0
; VGPRBlocks: 0
; NumSGPRsForWavesPerEU: 1
; NumVGPRsForWavesPerEU: 1
; Occupancy: 16
; WaveLimiterHint : 0
; COMPUTE_PGM_RSRC2:SCRATCH_EN: 0
; COMPUTE_PGM_RSRC2:USER_SGPR: 15
; COMPUTE_PGM_RSRC2:TRAP_HANDLER: 0
; COMPUTE_PGM_RSRC2:TGID_X_EN: 1
; COMPUTE_PGM_RSRC2:TGID_Y_EN: 0
; COMPUTE_PGM_RSRC2:TGID_Z_EN: 0
; COMPUTE_PGM_RSRC2:TIDIG_COMP_CNT: 0
	.section	.text._ZN7rocprim17ROCPRIM_400000_NS6detail17trampoline_kernelINS0_14default_configENS1_25transform_config_selectorIyLb0EEEZNS1_14transform_implILb0ES3_S5_NS0_18transform_iteratorINS0_17counting_iteratorImlEEZNS1_24adjacent_difference_implIS3_Lb1ELb0EPySB_N6thrust23THRUST_200600_302600_NS4plusIyEEEE10hipError_tPvRmT2_T3_mT4_P12ihipStream_tbEUlmE_yEESB_NS0_8identityIvEEEESG_SJ_SK_mSL_SN_bEUlT_E_NS1_11comp_targetILNS1_3genE10ELNS1_11target_archE1200ELNS1_3gpuE4ELNS1_3repE0EEENS1_30default_config_static_selectorELNS0_4arch9wavefront6targetE0EEEvT1_,"axG",@progbits,_ZN7rocprim17ROCPRIM_400000_NS6detail17trampoline_kernelINS0_14default_configENS1_25transform_config_selectorIyLb0EEEZNS1_14transform_implILb0ES3_S5_NS0_18transform_iteratorINS0_17counting_iteratorImlEEZNS1_24adjacent_difference_implIS3_Lb1ELb0EPySB_N6thrust23THRUST_200600_302600_NS4plusIyEEEE10hipError_tPvRmT2_T3_mT4_P12ihipStream_tbEUlmE_yEESB_NS0_8identityIvEEEESG_SJ_SK_mSL_SN_bEUlT_E_NS1_11comp_targetILNS1_3genE10ELNS1_11target_archE1200ELNS1_3gpuE4ELNS1_3repE0EEENS1_30default_config_static_selectorELNS0_4arch9wavefront6targetE0EEEvT1_,comdat
	.protected	_ZN7rocprim17ROCPRIM_400000_NS6detail17trampoline_kernelINS0_14default_configENS1_25transform_config_selectorIyLb0EEEZNS1_14transform_implILb0ES3_S5_NS0_18transform_iteratorINS0_17counting_iteratorImlEEZNS1_24adjacent_difference_implIS3_Lb1ELb0EPySB_N6thrust23THRUST_200600_302600_NS4plusIyEEEE10hipError_tPvRmT2_T3_mT4_P12ihipStream_tbEUlmE_yEESB_NS0_8identityIvEEEESG_SJ_SK_mSL_SN_bEUlT_E_NS1_11comp_targetILNS1_3genE10ELNS1_11target_archE1200ELNS1_3gpuE4ELNS1_3repE0EEENS1_30default_config_static_selectorELNS0_4arch9wavefront6targetE0EEEvT1_ ; -- Begin function _ZN7rocprim17ROCPRIM_400000_NS6detail17trampoline_kernelINS0_14default_configENS1_25transform_config_selectorIyLb0EEEZNS1_14transform_implILb0ES3_S5_NS0_18transform_iteratorINS0_17counting_iteratorImlEEZNS1_24adjacent_difference_implIS3_Lb1ELb0EPySB_N6thrust23THRUST_200600_302600_NS4plusIyEEEE10hipError_tPvRmT2_T3_mT4_P12ihipStream_tbEUlmE_yEESB_NS0_8identityIvEEEESG_SJ_SK_mSL_SN_bEUlT_E_NS1_11comp_targetILNS1_3genE10ELNS1_11target_archE1200ELNS1_3gpuE4ELNS1_3repE0EEENS1_30default_config_static_selectorELNS0_4arch9wavefront6targetE0EEEvT1_
	.globl	_ZN7rocprim17ROCPRIM_400000_NS6detail17trampoline_kernelINS0_14default_configENS1_25transform_config_selectorIyLb0EEEZNS1_14transform_implILb0ES3_S5_NS0_18transform_iteratorINS0_17counting_iteratorImlEEZNS1_24adjacent_difference_implIS3_Lb1ELb0EPySB_N6thrust23THRUST_200600_302600_NS4plusIyEEEE10hipError_tPvRmT2_T3_mT4_P12ihipStream_tbEUlmE_yEESB_NS0_8identityIvEEEESG_SJ_SK_mSL_SN_bEUlT_E_NS1_11comp_targetILNS1_3genE10ELNS1_11target_archE1200ELNS1_3gpuE4ELNS1_3repE0EEENS1_30default_config_static_selectorELNS0_4arch9wavefront6targetE0EEEvT1_
	.p2align	8
	.type	_ZN7rocprim17ROCPRIM_400000_NS6detail17trampoline_kernelINS0_14default_configENS1_25transform_config_selectorIyLb0EEEZNS1_14transform_implILb0ES3_S5_NS0_18transform_iteratorINS0_17counting_iteratorImlEEZNS1_24adjacent_difference_implIS3_Lb1ELb0EPySB_N6thrust23THRUST_200600_302600_NS4plusIyEEEE10hipError_tPvRmT2_T3_mT4_P12ihipStream_tbEUlmE_yEESB_NS0_8identityIvEEEESG_SJ_SK_mSL_SN_bEUlT_E_NS1_11comp_targetILNS1_3genE10ELNS1_11target_archE1200ELNS1_3gpuE4ELNS1_3repE0EEENS1_30default_config_static_selectorELNS0_4arch9wavefront6targetE0EEEvT1_,@function
_ZN7rocprim17ROCPRIM_400000_NS6detail17trampoline_kernelINS0_14default_configENS1_25transform_config_selectorIyLb0EEEZNS1_14transform_implILb0ES3_S5_NS0_18transform_iteratorINS0_17counting_iteratorImlEEZNS1_24adjacent_difference_implIS3_Lb1ELb0EPySB_N6thrust23THRUST_200600_302600_NS4plusIyEEEE10hipError_tPvRmT2_T3_mT4_P12ihipStream_tbEUlmE_yEESB_NS0_8identityIvEEEESG_SJ_SK_mSL_SN_bEUlT_E_NS1_11comp_targetILNS1_3genE10ELNS1_11target_archE1200ELNS1_3gpuE4ELNS1_3repE0EEENS1_30default_config_static_selectorELNS0_4arch9wavefront6targetE0EEEvT1_: ; @_ZN7rocprim17ROCPRIM_400000_NS6detail17trampoline_kernelINS0_14default_configENS1_25transform_config_selectorIyLb0EEEZNS1_14transform_implILb0ES3_S5_NS0_18transform_iteratorINS0_17counting_iteratorImlEEZNS1_24adjacent_difference_implIS3_Lb1ELb0EPySB_N6thrust23THRUST_200600_302600_NS4plusIyEEEE10hipError_tPvRmT2_T3_mT4_P12ihipStream_tbEUlmE_yEESB_NS0_8identityIvEEEESG_SJ_SK_mSL_SN_bEUlT_E_NS1_11comp_targetILNS1_3genE10ELNS1_11target_archE1200ELNS1_3gpuE4ELNS1_3repE0EEENS1_30default_config_static_selectorELNS0_4arch9wavefront6targetE0EEEvT1_
; %bb.0:
	.section	.rodata,"a",@progbits
	.p2align	6, 0x0
	.amdhsa_kernel _ZN7rocprim17ROCPRIM_400000_NS6detail17trampoline_kernelINS0_14default_configENS1_25transform_config_selectorIyLb0EEEZNS1_14transform_implILb0ES3_S5_NS0_18transform_iteratorINS0_17counting_iteratorImlEEZNS1_24adjacent_difference_implIS3_Lb1ELb0EPySB_N6thrust23THRUST_200600_302600_NS4plusIyEEEE10hipError_tPvRmT2_T3_mT4_P12ihipStream_tbEUlmE_yEESB_NS0_8identityIvEEEESG_SJ_SK_mSL_SN_bEUlT_E_NS1_11comp_targetILNS1_3genE10ELNS1_11target_archE1200ELNS1_3gpuE4ELNS1_3repE0EEENS1_30default_config_static_selectorELNS0_4arch9wavefront6targetE0EEEvT1_
		.amdhsa_group_segment_fixed_size 0
		.amdhsa_private_segment_fixed_size 0
		.amdhsa_kernarg_size 56
		.amdhsa_user_sgpr_count 15
		.amdhsa_user_sgpr_dispatch_ptr 0
		.amdhsa_user_sgpr_queue_ptr 0
		.amdhsa_user_sgpr_kernarg_segment_ptr 1
		.amdhsa_user_sgpr_dispatch_id 0
		.amdhsa_user_sgpr_private_segment_size 0
		.amdhsa_wavefront_size32 1
		.amdhsa_uses_dynamic_stack 0
		.amdhsa_enable_private_segment 0
		.amdhsa_system_sgpr_workgroup_id_x 1
		.amdhsa_system_sgpr_workgroup_id_y 0
		.amdhsa_system_sgpr_workgroup_id_z 0
		.amdhsa_system_sgpr_workgroup_info 0
		.amdhsa_system_vgpr_workitem_id 0
		.amdhsa_next_free_vgpr 1
		.amdhsa_next_free_sgpr 1
		.amdhsa_reserve_vcc 0
		.amdhsa_float_round_mode_32 0
		.amdhsa_float_round_mode_16_64 0
		.amdhsa_float_denorm_mode_32 3
		.amdhsa_float_denorm_mode_16_64 3
		.amdhsa_dx10_clamp 1
		.amdhsa_ieee_mode 1
		.amdhsa_fp16_overflow 0
		.amdhsa_workgroup_processor_mode 1
		.amdhsa_memory_ordered 1
		.amdhsa_forward_progress 0
		.amdhsa_shared_vgpr_count 0
		.amdhsa_exception_fp_ieee_invalid_op 0
		.amdhsa_exception_fp_denorm_src 0
		.amdhsa_exception_fp_ieee_div_zero 0
		.amdhsa_exception_fp_ieee_overflow 0
		.amdhsa_exception_fp_ieee_underflow 0
		.amdhsa_exception_fp_ieee_inexact 0
		.amdhsa_exception_int_div_zero 0
	.end_amdhsa_kernel
	.section	.text._ZN7rocprim17ROCPRIM_400000_NS6detail17trampoline_kernelINS0_14default_configENS1_25transform_config_selectorIyLb0EEEZNS1_14transform_implILb0ES3_S5_NS0_18transform_iteratorINS0_17counting_iteratorImlEEZNS1_24adjacent_difference_implIS3_Lb1ELb0EPySB_N6thrust23THRUST_200600_302600_NS4plusIyEEEE10hipError_tPvRmT2_T3_mT4_P12ihipStream_tbEUlmE_yEESB_NS0_8identityIvEEEESG_SJ_SK_mSL_SN_bEUlT_E_NS1_11comp_targetILNS1_3genE10ELNS1_11target_archE1200ELNS1_3gpuE4ELNS1_3repE0EEENS1_30default_config_static_selectorELNS0_4arch9wavefront6targetE0EEEvT1_,"axG",@progbits,_ZN7rocprim17ROCPRIM_400000_NS6detail17trampoline_kernelINS0_14default_configENS1_25transform_config_selectorIyLb0EEEZNS1_14transform_implILb0ES3_S5_NS0_18transform_iteratorINS0_17counting_iteratorImlEEZNS1_24adjacent_difference_implIS3_Lb1ELb0EPySB_N6thrust23THRUST_200600_302600_NS4plusIyEEEE10hipError_tPvRmT2_T3_mT4_P12ihipStream_tbEUlmE_yEESB_NS0_8identityIvEEEESG_SJ_SK_mSL_SN_bEUlT_E_NS1_11comp_targetILNS1_3genE10ELNS1_11target_archE1200ELNS1_3gpuE4ELNS1_3repE0EEENS1_30default_config_static_selectorELNS0_4arch9wavefront6targetE0EEEvT1_,comdat
.Lfunc_end143:
	.size	_ZN7rocprim17ROCPRIM_400000_NS6detail17trampoline_kernelINS0_14default_configENS1_25transform_config_selectorIyLb0EEEZNS1_14transform_implILb0ES3_S5_NS0_18transform_iteratorINS0_17counting_iteratorImlEEZNS1_24adjacent_difference_implIS3_Lb1ELb0EPySB_N6thrust23THRUST_200600_302600_NS4plusIyEEEE10hipError_tPvRmT2_T3_mT4_P12ihipStream_tbEUlmE_yEESB_NS0_8identityIvEEEESG_SJ_SK_mSL_SN_bEUlT_E_NS1_11comp_targetILNS1_3genE10ELNS1_11target_archE1200ELNS1_3gpuE4ELNS1_3repE0EEENS1_30default_config_static_selectorELNS0_4arch9wavefront6targetE0EEEvT1_, .Lfunc_end143-_ZN7rocprim17ROCPRIM_400000_NS6detail17trampoline_kernelINS0_14default_configENS1_25transform_config_selectorIyLb0EEEZNS1_14transform_implILb0ES3_S5_NS0_18transform_iteratorINS0_17counting_iteratorImlEEZNS1_24adjacent_difference_implIS3_Lb1ELb0EPySB_N6thrust23THRUST_200600_302600_NS4plusIyEEEE10hipError_tPvRmT2_T3_mT4_P12ihipStream_tbEUlmE_yEESB_NS0_8identityIvEEEESG_SJ_SK_mSL_SN_bEUlT_E_NS1_11comp_targetILNS1_3genE10ELNS1_11target_archE1200ELNS1_3gpuE4ELNS1_3repE0EEENS1_30default_config_static_selectorELNS0_4arch9wavefront6targetE0EEEvT1_
                                        ; -- End function
	.section	.AMDGPU.csdata,"",@progbits
; Kernel info:
; codeLenInByte = 0
; NumSgprs: 0
; NumVgprs: 0
; ScratchSize: 0
; MemoryBound: 0
; FloatMode: 240
; IeeeMode: 1
; LDSByteSize: 0 bytes/workgroup (compile time only)
; SGPRBlocks: 0
; VGPRBlocks: 0
; NumSGPRsForWavesPerEU: 1
; NumVGPRsForWavesPerEU: 1
; Occupancy: 16
; WaveLimiterHint : 0
; COMPUTE_PGM_RSRC2:SCRATCH_EN: 0
; COMPUTE_PGM_RSRC2:USER_SGPR: 15
; COMPUTE_PGM_RSRC2:TRAP_HANDLER: 0
; COMPUTE_PGM_RSRC2:TGID_X_EN: 1
; COMPUTE_PGM_RSRC2:TGID_Y_EN: 0
; COMPUTE_PGM_RSRC2:TGID_Z_EN: 0
; COMPUTE_PGM_RSRC2:TIDIG_COMP_CNT: 0
	.section	.text._ZN7rocprim17ROCPRIM_400000_NS6detail17trampoline_kernelINS0_14default_configENS1_25transform_config_selectorIyLb0EEEZNS1_14transform_implILb0ES3_S5_NS0_18transform_iteratorINS0_17counting_iteratorImlEEZNS1_24adjacent_difference_implIS3_Lb1ELb0EPySB_N6thrust23THRUST_200600_302600_NS4plusIyEEEE10hipError_tPvRmT2_T3_mT4_P12ihipStream_tbEUlmE_yEESB_NS0_8identityIvEEEESG_SJ_SK_mSL_SN_bEUlT_E_NS1_11comp_targetILNS1_3genE9ELNS1_11target_archE1100ELNS1_3gpuE3ELNS1_3repE0EEENS1_30default_config_static_selectorELNS0_4arch9wavefront6targetE0EEEvT1_,"axG",@progbits,_ZN7rocprim17ROCPRIM_400000_NS6detail17trampoline_kernelINS0_14default_configENS1_25transform_config_selectorIyLb0EEEZNS1_14transform_implILb0ES3_S5_NS0_18transform_iteratorINS0_17counting_iteratorImlEEZNS1_24adjacent_difference_implIS3_Lb1ELb0EPySB_N6thrust23THRUST_200600_302600_NS4plusIyEEEE10hipError_tPvRmT2_T3_mT4_P12ihipStream_tbEUlmE_yEESB_NS0_8identityIvEEEESG_SJ_SK_mSL_SN_bEUlT_E_NS1_11comp_targetILNS1_3genE9ELNS1_11target_archE1100ELNS1_3gpuE3ELNS1_3repE0EEENS1_30default_config_static_selectorELNS0_4arch9wavefront6targetE0EEEvT1_,comdat
	.protected	_ZN7rocprim17ROCPRIM_400000_NS6detail17trampoline_kernelINS0_14default_configENS1_25transform_config_selectorIyLb0EEEZNS1_14transform_implILb0ES3_S5_NS0_18transform_iteratorINS0_17counting_iteratorImlEEZNS1_24adjacent_difference_implIS3_Lb1ELb0EPySB_N6thrust23THRUST_200600_302600_NS4plusIyEEEE10hipError_tPvRmT2_T3_mT4_P12ihipStream_tbEUlmE_yEESB_NS0_8identityIvEEEESG_SJ_SK_mSL_SN_bEUlT_E_NS1_11comp_targetILNS1_3genE9ELNS1_11target_archE1100ELNS1_3gpuE3ELNS1_3repE0EEENS1_30default_config_static_selectorELNS0_4arch9wavefront6targetE0EEEvT1_ ; -- Begin function _ZN7rocprim17ROCPRIM_400000_NS6detail17trampoline_kernelINS0_14default_configENS1_25transform_config_selectorIyLb0EEEZNS1_14transform_implILb0ES3_S5_NS0_18transform_iteratorINS0_17counting_iteratorImlEEZNS1_24adjacent_difference_implIS3_Lb1ELb0EPySB_N6thrust23THRUST_200600_302600_NS4plusIyEEEE10hipError_tPvRmT2_T3_mT4_P12ihipStream_tbEUlmE_yEESB_NS0_8identityIvEEEESG_SJ_SK_mSL_SN_bEUlT_E_NS1_11comp_targetILNS1_3genE9ELNS1_11target_archE1100ELNS1_3gpuE3ELNS1_3repE0EEENS1_30default_config_static_selectorELNS0_4arch9wavefront6targetE0EEEvT1_
	.globl	_ZN7rocprim17ROCPRIM_400000_NS6detail17trampoline_kernelINS0_14default_configENS1_25transform_config_selectorIyLb0EEEZNS1_14transform_implILb0ES3_S5_NS0_18transform_iteratorINS0_17counting_iteratorImlEEZNS1_24adjacent_difference_implIS3_Lb1ELb0EPySB_N6thrust23THRUST_200600_302600_NS4plusIyEEEE10hipError_tPvRmT2_T3_mT4_P12ihipStream_tbEUlmE_yEESB_NS0_8identityIvEEEESG_SJ_SK_mSL_SN_bEUlT_E_NS1_11comp_targetILNS1_3genE9ELNS1_11target_archE1100ELNS1_3gpuE3ELNS1_3repE0EEENS1_30default_config_static_selectorELNS0_4arch9wavefront6targetE0EEEvT1_
	.p2align	8
	.type	_ZN7rocprim17ROCPRIM_400000_NS6detail17trampoline_kernelINS0_14default_configENS1_25transform_config_selectorIyLb0EEEZNS1_14transform_implILb0ES3_S5_NS0_18transform_iteratorINS0_17counting_iteratorImlEEZNS1_24adjacent_difference_implIS3_Lb1ELb0EPySB_N6thrust23THRUST_200600_302600_NS4plusIyEEEE10hipError_tPvRmT2_T3_mT4_P12ihipStream_tbEUlmE_yEESB_NS0_8identityIvEEEESG_SJ_SK_mSL_SN_bEUlT_E_NS1_11comp_targetILNS1_3genE9ELNS1_11target_archE1100ELNS1_3gpuE3ELNS1_3repE0EEENS1_30default_config_static_selectorELNS0_4arch9wavefront6targetE0EEEvT1_,@function
_ZN7rocprim17ROCPRIM_400000_NS6detail17trampoline_kernelINS0_14default_configENS1_25transform_config_selectorIyLb0EEEZNS1_14transform_implILb0ES3_S5_NS0_18transform_iteratorINS0_17counting_iteratorImlEEZNS1_24adjacent_difference_implIS3_Lb1ELb0EPySB_N6thrust23THRUST_200600_302600_NS4plusIyEEEE10hipError_tPvRmT2_T3_mT4_P12ihipStream_tbEUlmE_yEESB_NS0_8identityIvEEEESG_SJ_SK_mSL_SN_bEUlT_E_NS1_11comp_targetILNS1_3genE9ELNS1_11target_archE1100ELNS1_3gpuE3ELNS1_3repE0EEENS1_30default_config_static_selectorELNS0_4arch9wavefront6targetE0EEEvT1_: ; @_ZN7rocprim17ROCPRIM_400000_NS6detail17trampoline_kernelINS0_14default_configENS1_25transform_config_selectorIyLb0EEEZNS1_14transform_implILb0ES3_S5_NS0_18transform_iteratorINS0_17counting_iteratorImlEEZNS1_24adjacent_difference_implIS3_Lb1ELb0EPySB_N6thrust23THRUST_200600_302600_NS4plusIyEEEE10hipError_tPvRmT2_T3_mT4_P12ihipStream_tbEUlmE_yEESB_NS0_8identityIvEEEESG_SJ_SK_mSL_SN_bEUlT_E_NS1_11comp_targetILNS1_3genE9ELNS1_11target_archE1100ELNS1_3gpuE3ELNS1_3repE0EEENS1_30default_config_static_selectorELNS0_4arch9wavefront6targetE0EEEvT1_
; %bb.0:
	s_clause 0x4
	s_load_b128 s[4:7], s[0:1], 0x0
	s_load_b64 s[2:3], s[0:1], 0x18
	s_load_b64 s[12:13], s[0:1], 0x28
	s_load_b32 s11, s[0:1], 0x38
	s_load_b32 s8, s[0:1], 0x10
	s_waitcnt lgkmcnt(0)
	s_add_u32 s9, s2, s4
	s_addc_u32 s10, s3, s5
	s_lshl_b64 s[2:3], s[2:3], 3
	s_delay_alu instid0(SALU_CYCLE_1)
	s_add_u32 s4, s12, s2
	s_addc_u32 s5, s13, s3
	s_add_i32 s11, s11, -1
	s_lshl_b32 s2, s15, 9
	s_mov_b32 s3, 0
	s_cmp_lg_u32 s15, s11
	s_mov_b32 s11, -1
	s_cbranch_scc0 .LBB144_2
; %bb.1:
	s_add_u32 s11, s9, s2
	s_addc_u32 s12, s10, 0
	v_add_co_u32 v3, s11, s11, v0
	s_delay_alu instid0(VALU_DEP_1) | instskip(SKIP_1) | instid1(VALU_DEP_2)
	v_add_co_ci_u32_e64 v5, null, s12, 0, s11
	s_lshl_b64 s[12:13], s[2:3], 3
	v_mad_u64_u32 v[1:2], null, v3, s8, 0
	s_add_u32 s12, s4, s12
	s_addc_u32 s13, s5, s13
	s_mov_b32 s11, s3
	s_delay_alu instid0(VALU_DEP_1) | instskip(NEXT) | instid1(VALU_DEP_1)
	v_mad_u64_u32 v[3:4], null, v5, s8, v[2:3]
	v_dual_mov_b32 v2, v3 :: v_dual_lshlrev_b32 v3, 3, v0
	s_delay_alu instid0(VALU_DEP_1) | instskip(NEXT) | instid1(VALU_DEP_1)
	v_lshlrev_b64 v[1:2], 3, v[1:2]
	v_add_co_u32 v1, vcc_lo, s6, v1
	s_delay_alu instid0(VALU_DEP_2)
	v_add_co_ci_u32_e32 v2, vcc_lo, s7, v2, vcc_lo
	global_load_b64 v[1:2], v[1:2], off
	s_waitcnt vmcnt(0)
	global_store_b64 v3, v[1:2], s[12:13]
.LBB144_2:
	s_and_not1_b32 vcc_lo, exec_lo, s11
	s_cbranch_vccnz .LBB144_7
; %bb.3:
	s_load_b32 s0, s[0:1], 0x20
                                        ; implicit-def: $vgpr1_vgpr2
	s_waitcnt lgkmcnt(0)
	s_sub_i32 s0, s0, s2
	s_delay_alu instid0(SALU_CYCLE_1)
	v_cmp_gt_u32_e32 vcc_lo, s0, v0
	s_and_saveexec_b32 s1, vcc_lo
	s_cbranch_execz .LBB144_5
; %bb.4:
	s_add_u32 s0, s9, s2
	s_addc_u32 s9, s10, 0
	v_add_co_u32 v3, s0, s0, v0
	s_delay_alu instid0(VALU_DEP_1) | instskip(NEXT) | instid1(VALU_DEP_2)
	v_add_co_ci_u32_e64 v5, null, s9, 0, s0
	v_mad_u64_u32 v[1:2], null, v3, s8, 0
	s_delay_alu instid0(VALU_DEP_1) | instskip(NEXT) | instid1(VALU_DEP_1)
	v_mad_u64_u32 v[3:4], null, v5, s8, v[2:3]
	v_mov_b32_e32 v2, v3
	s_delay_alu instid0(VALU_DEP_1) | instskip(NEXT) | instid1(VALU_DEP_1)
	v_lshlrev_b64 v[1:2], 3, v[1:2]
	v_add_co_u32 v1, s0, s6, v1
	s_delay_alu instid0(VALU_DEP_1)
	v_add_co_ci_u32_e64 v2, s0, s7, v2, s0
	global_load_b64 v[1:2], v[1:2], off
.LBB144_5:
	s_or_b32 exec_lo, exec_lo, s1
	s_and_saveexec_b32 s0, vcc_lo
	s_cbranch_execz .LBB144_7
; %bb.6:
	s_lshl_b64 s[0:1], s[2:3], 3
	v_lshlrev_b32_e32 v0, 3, v0
	s_add_u32 s0, s4, s0
	s_addc_u32 s1, s5, s1
	s_waitcnt vmcnt(0)
	global_store_b64 v0, v[1:2], s[0:1]
.LBB144_7:
	s_nop 0
	s_sendmsg sendmsg(MSG_DEALLOC_VGPRS)
	s_endpgm
	.section	.rodata,"a",@progbits
	.p2align	6, 0x0
	.amdhsa_kernel _ZN7rocprim17ROCPRIM_400000_NS6detail17trampoline_kernelINS0_14default_configENS1_25transform_config_selectorIyLb0EEEZNS1_14transform_implILb0ES3_S5_NS0_18transform_iteratorINS0_17counting_iteratorImlEEZNS1_24adjacent_difference_implIS3_Lb1ELb0EPySB_N6thrust23THRUST_200600_302600_NS4plusIyEEEE10hipError_tPvRmT2_T3_mT4_P12ihipStream_tbEUlmE_yEESB_NS0_8identityIvEEEESG_SJ_SK_mSL_SN_bEUlT_E_NS1_11comp_targetILNS1_3genE9ELNS1_11target_archE1100ELNS1_3gpuE3ELNS1_3repE0EEENS1_30default_config_static_selectorELNS0_4arch9wavefront6targetE0EEEvT1_
		.amdhsa_group_segment_fixed_size 0
		.amdhsa_private_segment_fixed_size 0
		.amdhsa_kernarg_size 312
		.amdhsa_user_sgpr_count 15
		.amdhsa_user_sgpr_dispatch_ptr 0
		.amdhsa_user_sgpr_queue_ptr 0
		.amdhsa_user_sgpr_kernarg_segment_ptr 1
		.amdhsa_user_sgpr_dispatch_id 0
		.amdhsa_user_sgpr_private_segment_size 0
		.amdhsa_wavefront_size32 1
		.amdhsa_uses_dynamic_stack 0
		.amdhsa_enable_private_segment 0
		.amdhsa_system_sgpr_workgroup_id_x 1
		.amdhsa_system_sgpr_workgroup_id_y 0
		.amdhsa_system_sgpr_workgroup_id_z 0
		.amdhsa_system_sgpr_workgroup_info 0
		.amdhsa_system_vgpr_workitem_id 0
		.amdhsa_next_free_vgpr 6
		.amdhsa_next_free_sgpr 16
		.amdhsa_reserve_vcc 1
		.amdhsa_float_round_mode_32 0
		.amdhsa_float_round_mode_16_64 0
		.amdhsa_float_denorm_mode_32 3
		.amdhsa_float_denorm_mode_16_64 3
		.amdhsa_dx10_clamp 1
		.amdhsa_ieee_mode 1
		.amdhsa_fp16_overflow 0
		.amdhsa_workgroup_processor_mode 1
		.amdhsa_memory_ordered 1
		.amdhsa_forward_progress 0
		.amdhsa_shared_vgpr_count 0
		.amdhsa_exception_fp_ieee_invalid_op 0
		.amdhsa_exception_fp_denorm_src 0
		.amdhsa_exception_fp_ieee_div_zero 0
		.amdhsa_exception_fp_ieee_overflow 0
		.amdhsa_exception_fp_ieee_underflow 0
		.amdhsa_exception_fp_ieee_inexact 0
		.amdhsa_exception_int_div_zero 0
	.end_amdhsa_kernel
	.section	.text._ZN7rocprim17ROCPRIM_400000_NS6detail17trampoline_kernelINS0_14default_configENS1_25transform_config_selectorIyLb0EEEZNS1_14transform_implILb0ES3_S5_NS0_18transform_iteratorINS0_17counting_iteratorImlEEZNS1_24adjacent_difference_implIS3_Lb1ELb0EPySB_N6thrust23THRUST_200600_302600_NS4plusIyEEEE10hipError_tPvRmT2_T3_mT4_P12ihipStream_tbEUlmE_yEESB_NS0_8identityIvEEEESG_SJ_SK_mSL_SN_bEUlT_E_NS1_11comp_targetILNS1_3genE9ELNS1_11target_archE1100ELNS1_3gpuE3ELNS1_3repE0EEENS1_30default_config_static_selectorELNS0_4arch9wavefront6targetE0EEEvT1_,"axG",@progbits,_ZN7rocprim17ROCPRIM_400000_NS6detail17trampoline_kernelINS0_14default_configENS1_25transform_config_selectorIyLb0EEEZNS1_14transform_implILb0ES3_S5_NS0_18transform_iteratorINS0_17counting_iteratorImlEEZNS1_24adjacent_difference_implIS3_Lb1ELb0EPySB_N6thrust23THRUST_200600_302600_NS4plusIyEEEE10hipError_tPvRmT2_T3_mT4_P12ihipStream_tbEUlmE_yEESB_NS0_8identityIvEEEESG_SJ_SK_mSL_SN_bEUlT_E_NS1_11comp_targetILNS1_3genE9ELNS1_11target_archE1100ELNS1_3gpuE3ELNS1_3repE0EEENS1_30default_config_static_selectorELNS0_4arch9wavefront6targetE0EEEvT1_,comdat
.Lfunc_end144:
	.size	_ZN7rocprim17ROCPRIM_400000_NS6detail17trampoline_kernelINS0_14default_configENS1_25transform_config_selectorIyLb0EEEZNS1_14transform_implILb0ES3_S5_NS0_18transform_iteratorINS0_17counting_iteratorImlEEZNS1_24adjacent_difference_implIS3_Lb1ELb0EPySB_N6thrust23THRUST_200600_302600_NS4plusIyEEEE10hipError_tPvRmT2_T3_mT4_P12ihipStream_tbEUlmE_yEESB_NS0_8identityIvEEEESG_SJ_SK_mSL_SN_bEUlT_E_NS1_11comp_targetILNS1_3genE9ELNS1_11target_archE1100ELNS1_3gpuE3ELNS1_3repE0EEENS1_30default_config_static_selectorELNS0_4arch9wavefront6targetE0EEEvT1_, .Lfunc_end144-_ZN7rocprim17ROCPRIM_400000_NS6detail17trampoline_kernelINS0_14default_configENS1_25transform_config_selectorIyLb0EEEZNS1_14transform_implILb0ES3_S5_NS0_18transform_iteratorINS0_17counting_iteratorImlEEZNS1_24adjacent_difference_implIS3_Lb1ELb0EPySB_N6thrust23THRUST_200600_302600_NS4plusIyEEEE10hipError_tPvRmT2_T3_mT4_P12ihipStream_tbEUlmE_yEESB_NS0_8identityIvEEEESG_SJ_SK_mSL_SN_bEUlT_E_NS1_11comp_targetILNS1_3genE9ELNS1_11target_archE1100ELNS1_3gpuE3ELNS1_3repE0EEENS1_30default_config_static_selectorELNS0_4arch9wavefront6targetE0EEEvT1_
                                        ; -- End function
	.section	.AMDGPU.csdata,"",@progbits
; Kernel info:
; codeLenInByte = 400
; NumSgprs: 18
; NumVgprs: 6
; ScratchSize: 0
; MemoryBound: 0
; FloatMode: 240
; IeeeMode: 1
; LDSByteSize: 0 bytes/workgroup (compile time only)
; SGPRBlocks: 2
; VGPRBlocks: 0
; NumSGPRsForWavesPerEU: 18
; NumVGPRsForWavesPerEU: 6
; Occupancy: 16
; WaveLimiterHint : 0
; COMPUTE_PGM_RSRC2:SCRATCH_EN: 0
; COMPUTE_PGM_RSRC2:USER_SGPR: 15
; COMPUTE_PGM_RSRC2:TRAP_HANDLER: 0
; COMPUTE_PGM_RSRC2:TGID_X_EN: 1
; COMPUTE_PGM_RSRC2:TGID_Y_EN: 0
; COMPUTE_PGM_RSRC2:TGID_Z_EN: 0
; COMPUTE_PGM_RSRC2:TIDIG_COMP_CNT: 0
	.section	.text._ZN7rocprim17ROCPRIM_400000_NS6detail17trampoline_kernelINS0_14default_configENS1_25transform_config_selectorIyLb0EEEZNS1_14transform_implILb0ES3_S5_NS0_18transform_iteratorINS0_17counting_iteratorImlEEZNS1_24adjacent_difference_implIS3_Lb1ELb0EPySB_N6thrust23THRUST_200600_302600_NS4plusIyEEEE10hipError_tPvRmT2_T3_mT4_P12ihipStream_tbEUlmE_yEESB_NS0_8identityIvEEEESG_SJ_SK_mSL_SN_bEUlT_E_NS1_11comp_targetILNS1_3genE8ELNS1_11target_archE1030ELNS1_3gpuE2ELNS1_3repE0EEENS1_30default_config_static_selectorELNS0_4arch9wavefront6targetE0EEEvT1_,"axG",@progbits,_ZN7rocprim17ROCPRIM_400000_NS6detail17trampoline_kernelINS0_14default_configENS1_25transform_config_selectorIyLb0EEEZNS1_14transform_implILb0ES3_S5_NS0_18transform_iteratorINS0_17counting_iteratorImlEEZNS1_24adjacent_difference_implIS3_Lb1ELb0EPySB_N6thrust23THRUST_200600_302600_NS4plusIyEEEE10hipError_tPvRmT2_T3_mT4_P12ihipStream_tbEUlmE_yEESB_NS0_8identityIvEEEESG_SJ_SK_mSL_SN_bEUlT_E_NS1_11comp_targetILNS1_3genE8ELNS1_11target_archE1030ELNS1_3gpuE2ELNS1_3repE0EEENS1_30default_config_static_selectorELNS0_4arch9wavefront6targetE0EEEvT1_,comdat
	.protected	_ZN7rocprim17ROCPRIM_400000_NS6detail17trampoline_kernelINS0_14default_configENS1_25transform_config_selectorIyLb0EEEZNS1_14transform_implILb0ES3_S5_NS0_18transform_iteratorINS0_17counting_iteratorImlEEZNS1_24adjacent_difference_implIS3_Lb1ELb0EPySB_N6thrust23THRUST_200600_302600_NS4plusIyEEEE10hipError_tPvRmT2_T3_mT4_P12ihipStream_tbEUlmE_yEESB_NS0_8identityIvEEEESG_SJ_SK_mSL_SN_bEUlT_E_NS1_11comp_targetILNS1_3genE8ELNS1_11target_archE1030ELNS1_3gpuE2ELNS1_3repE0EEENS1_30default_config_static_selectorELNS0_4arch9wavefront6targetE0EEEvT1_ ; -- Begin function _ZN7rocprim17ROCPRIM_400000_NS6detail17trampoline_kernelINS0_14default_configENS1_25transform_config_selectorIyLb0EEEZNS1_14transform_implILb0ES3_S5_NS0_18transform_iteratorINS0_17counting_iteratorImlEEZNS1_24adjacent_difference_implIS3_Lb1ELb0EPySB_N6thrust23THRUST_200600_302600_NS4plusIyEEEE10hipError_tPvRmT2_T3_mT4_P12ihipStream_tbEUlmE_yEESB_NS0_8identityIvEEEESG_SJ_SK_mSL_SN_bEUlT_E_NS1_11comp_targetILNS1_3genE8ELNS1_11target_archE1030ELNS1_3gpuE2ELNS1_3repE0EEENS1_30default_config_static_selectorELNS0_4arch9wavefront6targetE0EEEvT1_
	.globl	_ZN7rocprim17ROCPRIM_400000_NS6detail17trampoline_kernelINS0_14default_configENS1_25transform_config_selectorIyLb0EEEZNS1_14transform_implILb0ES3_S5_NS0_18transform_iteratorINS0_17counting_iteratorImlEEZNS1_24adjacent_difference_implIS3_Lb1ELb0EPySB_N6thrust23THRUST_200600_302600_NS4plusIyEEEE10hipError_tPvRmT2_T3_mT4_P12ihipStream_tbEUlmE_yEESB_NS0_8identityIvEEEESG_SJ_SK_mSL_SN_bEUlT_E_NS1_11comp_targetILNS1_3genE8ELNS1_11target_archE1030ELNS1_3gpuE2ELNS1_3repE0EEENS1_30default_config_static_selectorELNS0_4arch9wavefront6targetE0EEEvT1_
	.p2align	8
	.type	_ZN7rocprim17ROCPRIM_400000_NS6detail17trampoline_kernelINS0_14default_configENS1_25transform_config_selectorIyLb0EEEZNS1_14transform_implILb0ES3_S5_NS0_18transform_iteratorINS0_17counting_iteratorImlEEZNS1_24adjacent_difference_implIS3_Lb1ELb0EPySB_N6thrust23THRUST_200600_302600_NS4plusIyEEEE10hipError_tPvRmT2_T3_mT4_P12ihipStream_tbEUlmE_yEESB_NS0_8identityIvEEEESG_SJ_SK_mSL_SN_bEUlT_E_NS1_11comp_targetILNS1_3genE8ELNS1_11target_archE1030ELNS1_3gpuE2ELNS1_3repE0EEENS1_30default_config_static_selectorELNS0_4arch9wavefront6targetE0EEEvT1_,@function
_ZN7rocprim17ROCPRIM_400000_NS6detail17trampoline_kernelINS0_14default_configENS1_25transform_config_selectorIyLb0EEEZNS1_14transform_implILb0ES3_S5_NS0_18transform_iteratorINS0_17counting_iteratorImlEEZNS1_24adjacent_difference_implIS3_Lb1ELb0EPySB_N6thrust23THRUST_200600_302600_NS4plusIyEEEE10hipError_tPvRmT2_T3_mT4_P12ihipStream_tbEUlmE_yEESB_NS0_8identityIvEEEESG_SJ_SK_mSL_SN_bEUlT_E_NS1_11comp_targetILNS1_3genE8ELNS1_11target_archE1030ELNS1_3gpuE2ELNS1_3repE0EEENS1_30default_config_static_selectorELNS0_4arch9wavefront6targetE0EEEvT1_: ; @_ZN7rocprim17ROCPRIM_400000_NS6detail17trampoline_kernelINS0_14default_configENS1_25transform_config_selectorIyLb0EEEZNS1_14transform_implILb0ES3_S5_NS0_18transform_iteratorINS0_17counting_iteratorImlEEZNS1_24adjacent_difference_implIS3_Lb1ELb0EPySB_N6thrust23THRUST_200600_302600_NS4plusIyEEEE10hipError_tPvRmT2_T3_mT4_P12ihipStream_tbEUlmE_yEESB_NS0_8identityIvEEEESG_SJ_SK_mSL_SN_bEUlT_E_NS1_11comp_targetILNS1_3genE8ELNS1_11target_archE1030ELNS1_3gpuE2ELNS1_3repE0EEENS1_30default_config_static_selectorELNS0_4arch9wavefront6targetE0EEEvT1_
; %bb.0:
	.section	.rodata,"a",@progbits
	.p2align	6, 0x0
	.amdhsa_kernel _ZN7rocprim17ROCPRIM_400000_NS6detail17trampoline_kernelINS0_14default_configENS1_25transform_config_selectorIyLb0EEEZNS1_14transform_implILb0ES3_S5_NS0_18transform_iteratorINS0_17counting_iteratorImlEEZNS1_24adjacent_difference_implIS3_Lb1ELb0EPySB_N6thrust23THRUST_200600_302600_NS4plusIyEEEE10hipError_tPvRmT2_T3_mT4_P12ihipStream_tbEUlmE_yEESB_NS0_8identityIvEEEESG_SJ_SK_mSL_SN_bEUlT_E_NS1_11comp_targetILNS1_3genE8ELNS1_11target_archE1030ELNS1_3gpuE2ELNS1_3repE0EEENS1_30default_config_static_selectorELNS0_4arch9wavefront6targetE0EEEvT1_
		.amdhsa_group_segment_fixed_size 0
		.amdhsa_private_segment_fixed_size 0
		.amdhsa_kernarg_size 56
		.amdhsa_user_sgpr_count 15
		.amdhsa_user_sgpr_dispatch_ptr 0
		.amdhsa_user_sgpr_queue_ptr 0
		.amdhsa_user_sgpr_kernarg_segment_ptr 1
		.amdhsa_user_sgpr_dispatch_id 0
		.amdhsa_user_sgpr_private_segment_size 0
		.amdhsa_wavefront_size32 1
		.amdhsa_uses_dynamic_stack 0
		.amdhsa_enable_private_segment 0
		.amdhsa_system_sgpr_workgroup_id_x 1
		.amdhsa_system_sgpr_workgroup_id_y 0
		.amdhsa_system_sgpr_workgroup_id_z 0
		.amdhsa_system_sgpr_workgroup_info 0
		.amdhsa_system_vgpr_workitem_id 0
		.amdhsa_next_free_vgpr 1
		.amdhsa_next_free_sgpr 1
		.amdhsa_reserve_vcc 0
		.amdhsa_float_round_mode_32 0
		.amdhsa_float_round_mode_16_64 0
		.amdhsa_float_denorm_mode_32 3
		.amdhsa_float_denorm_mode_16_64 3
		.amdhsa_dx10_clamp 1
		.amdhsa_ieee_mode 1
		.amdhsa_fp16_overflow 0
		.amdhsa_workgroup_processor_mode 1
		.amdhsa_memory_ordered 1
		.amdhsa_forward_progress 0
		.amdhsa_shared_vgpr_count 0
		.amdhsa_exception_fp_ieee_invalid_op 0
		.amdhsa_exception_fp_denorm_src 0
		.amdhsa_exception_fp_ieee_div_zero 0
		.amdhsa_exception_fp_ieee_overflow 0
		.amdhsa_exception_fp_ieee_underflow 0
		.amdhsa_exception_fp_ieee_inexact 0
		.amdhsa_exception_int_div_zero 0
	.end_amdhsa_kernel
	.section	.text._ZN7rocprim17ROCPRIM_400000_NS6detail17trampoline_kernelINS0_14default_configENS1_25transform_config_selectorIyLb0EEEZNS1_14transform_implILb0ES3_S5_NS0_18transform_iteratorINS0_17counting_iteratorImlEEZNS1_24adjacent_difference_implIS3_Lb1ELb0EPySB_N6thrust23THRUST_200600_302600_NS4plusIyEEEE10hipError_tPvRmT2_T3_mT4_P12ihipStream_tbEUlmE_yEESB_NS0_8identityIvEEEESG_SJ_SK_mSL_SN_bEUlT_E_NS1_11comp_targetILNS1_3genE8ELNS1_11target_archE1030ELNS1_3gpuE2ELNS1_3repE0EEENS1_30default_config_static_selectorELNS0_4arch9wavefront6targetE0EEEvT1_,"axG",@progbits,_ZN7rocprim17ROCPRIM_400000_NS6detail17trampoline_kernelINS0_14default_configENS1_25transform_config_selectorIyLb0EEEZNS1_14transform_implILb0ES3_S5_NS0_18transform_iteratorINS0_17counting_iteratorImlEEZNS1_24adjacent_difference_implIS3_Lb1ELb0EPySB_N6thrust23THRUST_200600_302600_NS4plusIyEEEE10hipError_tPvRmT2_T3_mT4_P12ihipStream_tbEUlmE_yEESB_NS0_8identityIvEEEESG_SJ_SK_mSL_SN_bEUlT_E_NS1_11comp_targetILNS1_3genE8ELNS1_11target_archE1030ELNS1_3gpuE2ELNS1_3repE0EEENS1_30default_config_static_selectorELNS0_4arch9wavefront6targetE0EEEvT1_,comdat
.Lfunc_end145:
	.size	_ZN7rocprim17ROCPRIM_400000_NS6detail17trampoline_kernelINS0_14default_configENS1_25transform_config_selectorIyLb0EEEZNS1_14transform_implILb0ES3_S5_NS0_18transform_iteratorINS0_17counting_iteratorImlEEZNS1_24adjacent_difference_implIS3_Lb1ELb0EPySB_N6thrust23THRUST_200600_302600_NS4plusIyEEEE10hipError_tPvRmT2_T3_mT4_P12ihipStream_tbEUlmE_yEESB_NS0_8identityIvEEEESG_SJ_SK_mSL_SN_bEUlT_E_NS1_11comp_targetILNS1_3genE8ELNS1_11target_archE1030ELNS1_3gpuE2ELNS1_3repE0EEENS1_30default_config_static_selectorELNS0_4arch9wavefront6targetE0EEEvT1_, .Lfunc_end145-_ZN7rocprim17ROCPRIM_400000_NS6detail17trampoline_kernelINS0_14default_configENS1_25transform_config_selectorIyLb0EEEZNS1_14transform_implILb0ES3_S5_NS0_18transform_iteratorINS0_17counting_iteratorImlEEZNS1_24adjacent_difference_implIS3_Lb1ELb0EPySB_N6thrust23THRUST_200600_302600_NS4plusIyEEEE10hipError_tPvRmT2_T3_mT4_P12ihipStream_tbEUlmE_yEESB_NS0_8identityIvEEEESG_SJ_SK_mSL_SN_bEUlT_E_NS1_11comp_targetILNS1_3genE8ELNS1_11target_archE1030ELNS1_3gpuE2ELNS1_3repE0EEENS1_30default_config_static_selectorELNS0_4arch9wavefront6targetE0EEEvT1_
                                        ; -- End function
	.section	.AMDGPU.csdata,"",@progbits
; Kernel info:
; codeLenInByte = 0
; NumSgprs: 0
; NumVgprs: 0
; ScratchSize: 0
; MemoryBound: 0
; FloatMode: 240
; IeeeMode: 1
; LDSByteSize: 0 bytes/workgroup (compile time only)
; SGPRBlocks: 0
; VGPRBlocks: 0
; NumSGPRsForWavesPerEU: 1
; NumVGPRsForWavesPerEU: 1
; Occupancy: 16
; WaveLimiterHint : 0
; COMPUTE_PGM_RSRC2:SCRATCH_EN: 0
; COMPUTE_PGM_RSRC2:USER_SGPR: 15
; COMPUTE_PGM_RSRC2:TRAP_HANDLER: 0
; COMPUTE_PGM_RSRC2:TGID_X_EN: 1
; COMPUTE_PGM_RSRC2:TGID_Y_EN: 0
; COMPUTE_PGM_RSRC2:TGID_Z_EN: 0
; COMPUTE_PGM_RSRC2:TIDIG_COMP_CNT: 0
	.section	.text._ZN7rocprim17ROCPRIM_400000_NS6detail17trampoline_kernelINS0_14default_configENS1_35adjacent_difference_config_selectorILb1EyEEZNS1_24adjacent_difference_implIS3_Lb1ELb0EPyS7_N6thrust23THRUST_200600_302600_NS4plusIyEEEE10hipError_tPvRmT2_T3_mT4_P12ihipStream_tbEUlT_E_NS1_11comp_targetILNS1_3genE0ELNS1_11target_archE4294967295ELNS1_3gpuE0ELNS1_3repE0EEENS1_30default_config_static_selectorELNS0_4arch9wavefront6targetE0EEEvT1_,"axG",@progbits,_ZN7rocprim17ROCPRIM_400000_NS6detail17trampoline_kernelINS0_14default_configENS1_35adjacent_difference_config_selectorILb1EyEEZNS1_24adjacent_difference_implIS3_Lb1ELb0EPyS7_N6thrust23THRUST_200600_302600_NS4plusIyEEEE10hipError_tPvRmT2_T3_mT4_P12ihipStream_tbEUlT_E_NS1_11comp_targetILNS1_3genE0ELNS1_11target_archE4294967295ELNS1_3gpuE0ELNS1_3repE0EEENS1_30default_config_static_selectorELNS0_4arch9wavefront6targetE0EEEvT1_,comdat
	.protected	_ZN7rocprim17ROCPRIM_400000_NS6detail17trampoline_kernelINS0_14default_configENS1_35adjacent_difference_config_selectorILb1EyEEZNS1_24adjacent_difference_implIS3_Lb1ELb0EPyS7_N6thrust23THRUST_200600_302600_NS4plusIyEEEE10hipError_tPvRmT2_T3_mT4_P12ihipStream_tbEUlT_E_NS1_11comp_targetILNS1_3genE0ELNS1_11target_archE4294967295ELNS1_3gpuE0ELNS1_3repE0EEENS1_30default_config_static_selectorELNS0_4arch9wavefront6targetE0EEEvT1_ ; -- Begin function _ZN7rocprim17ROCPRIM_400000_NS6detail17trampoline_kernelINS0_14default_configENS1_35adjacent_difference_config_selectorILb1EyEEZNS1_24adjacent_difference_implIS3_Lb1ELb0EPyS7_N6thrust23THRUST_200600_302600_NS4plusIyEEEE10hipError_tPvRmT2_T3_mT4_P12ihipStream_tbEUlT_E_NS1_11comp_targetILNS1_3genE0ELNS1_11target_archE4294967295ELNS1_3gpuE0ELNS1_3repE0EEENS1_30default_config_static_selectorELNS0_4arch9wavefront6targetE0EEEvT1_
	.globl	_ZN7rocprim17ROCPRIM_400000_NS6detail17trampoline_kernelINS0_14default_configENS1_35adjacent_difference_config_selectorILb1EyEEZNS1_24adjacent_difference_implIS3_Lb1ELb0EPyS7_N6thrust23THRUST_200600_302600_NS4plusIyEEEE10hipError_tPvRmT2_T3_mT4_P12ihipStream_tbEUlT_E_NS1_11comp_targetILNS1_3genE0ELNS1_11target_archE4294967295ELNS1_3gpuE0ELNS1_3repE0EEENS1_30default_config_static_selectorELNS0_4arch9wavefront6targetE0EEEvT1_
	.p2align	8
	.type	_ZN7rocprim17ROCPRIM_400000_NS6detail17trampoline_kernelINS0_14default_configENS1_35adjacent_difference_config_selectorILb1EyEEZNS1_24adjacent_difference_implIS3_Lb1ELb0EPyS7_N6thrust23THRUST_200600_302600_NS4plusIyEEEE10hipError_tPvRmT2_T3_mT4_P12ihipStream_tbEUlT_E_NS1_11comp_targetILNS1_3genE0ELNS1_11target_archE4294967295ELNS1_3gpuE0ELNS1_3repE0EEENS1_30default_config_static_selectorELNS0_4arch9wavefront6targetE0EEEvT1_,@function
_ZN7rocprim17ROCPRIM_400000_NS6detail17trampoline_kernelINS0_14default_configENS1_35adjacent_difference_config_selectorILb1EyEEZNS1_24adjacent_difference_implIS3_Lb1ELb0EPyS7_N6thrust23THRUST_200600_302600_NS4plusIyEEEE10hipError_tPvRmT2_T3_mT4_P12ihipStream_tbEUlT_E_NS1_11comp_targetILNS1_3genE0ELNS1_11target_archE4294967295ELNS1_3gpuE0ELNS1_3repE0EEENS1_30default_config_static_selectorELNS0_4arch9wavefront6targetE0EEEvT1_: ; @_ZN7rocprim17ROCPRIM_400000_NS6detail17trampoline_kernelINS0_14default_configENS1_35adjacent_difference_config_selectorILb1EyEEZNS1_24adjacent_difference_implIS3_Lb1ELb0EPyS7_N6thrust23THRUST_200600_302600_NS4plusIyEEEE10hipError_tPvRmT2_T3_mT4_P12ihipStream_tbEUlT_E_NS1_11comp_targetILNS1_3genE0ELNS1_11target_archE4294967295ELNS1_3gpuE0ELNS1_3repE0EEENS1_30default_config_static_selectorELNS0_4arch9wavefront6targetE0EEEvT1_
; %bb.0:
	.section	.rodata,"a",@progbits
	.p2align	6, 0x0
	.amdhsa_kernel _ZN7rocprim17ROCPRIM_400000_NS6detail17trampoline_kernelINS0_14default_configENS1_35adjacent_difference_config_selectorILb1EyEEZNS1_24adjacent_difference_implIS3_Lb1ELb0EPyS7_N6thrust23THRUST_200600_302600_NS4plusIyEEEE10hipError_tPvRmT2_T3_mT4_P12ihipStream_tbEUlT_E_NS1_11comp_targetILNS1_3genE0ELNS1_11target_archE4294967295ELNS1_3gpuE0ELNS1_3repE0EEENS1_30default_config_static_selectorELNS0_4arch9wavefront6targetE0EEEvT1_
		.amdhsa_group_segment_fixed_size 0
		.amdhsa_private_segment_fixed_size 0
		.amdhsa_kernarg_size 56
		.amdhsa_user_sgpr_count 15
		.amdhsa_user_sgpr_dispatch_ptr 0
		.amdhsa_user_sgpr_queue_ptr 0
		.amdhsa_user_sgpr_kernarg_segment_ptr 1
		.amdhsa_user_sgpr_dispatch_id 0
		.amdhsa_user_sgpr_private_segment_size 0
		.amdhsa_wavefront_size32 1
		.amdhsa_uses_dynamic_stack 0
		.amdhsa_enable_private_segment 0
		.amdhsa_system_sgpr_workgroup_id_x 1
		.amdhsa_system_sgpr_workgroup_id_y 0
		.amdhsa_system_sgpr_workgroup_id_z 0
		.amdhsa_system_sgpr_workgroup_info 0
		.amdhsa_system_vgpr_workitem_id 0
		.amdhsa_next_free_vgpr 1
		.amdhsa_next_free_sgpr 1
		.amdhsa_reserve_vcc 0
		.amdhsa_float_round_mode_32 0
		.amdhsa_float_round_mode_16_64 0
		.amdhsa_float_denorm_mode_32 3
		.amdhsa_float_denorm_mode_16_64 3
		.amdhsa_dx10_clamp 1
		.amdhsa_ieee_mode 1
		.amdhsa_fp16_overflow 0
		.amdhsa_workgroup_processor_mode 1
		.amdhsa_memory_ordered 1
		.amdhsa_forward_progress 0
		.amdhsa_shared_vgpr_count 0
		.amdhsa_exception_fp_ieee_invalid_op 0
		.amdhsa_exception_fp_denorm_src 0
		.amdhsa_exception_fp_ieee_div_zero 0
		.amdhsa_exception_fp_ieee_overflow 0
		.amdhsa_exception_fp_ieee_underflow 0
		.amdhsa_exception_fp_ieee_inexact 0
		.amdhsa_exception_int_div_zero 0
	.end_amdhsa_kernel
	.section	.text._ZN7rocprim17ROCPRIM_400000_NS6detail17trampoline_kernelINS0_14default_configENS1_35adjacent_difference_config_selectorILb1EyEEZNS1_24adjacent_difference_implIS3_Lb1ELb0EPyS7_N6thrust23THRUST_200600_302600_NS4plusIyEEEE10hipError_tPvRmT2_T3_mT4_P12ihipStream_tbEUlT_E_NS1_11comp_targetILNS1_3genE0ELNS1_11target_archE4294967295ELNS1_3gpuE0ELNS1_3repE0EEENS1_30default_config_static_selectorELNS0_4arch9wavefront6targetE0EEEvT1_,"axG",@progbits,_ZN7rocprim17ROCPRIM_400000_NS6detail17trampoline_kernelINS0_14default_configENS1_35adjacent_difference_config_selectorILb1EyEEZNS1_24adjacent_difference_implIS3_Lb1ELb0EPyS7_N6thrust23THRUST_200600_302600_NS4plusIyEEEE10hipError_tPvRmT2_T3_mT4_P12ihipStream_tbEUlT_E_NS1_11comp_targetILNS1_3genE0ELNS1_11target_archE4294967295ELNS1_3gpuE0ELNS1_3repE0EEENS1_30default_config_static_selectorELNS0_4arch9wavefront6targetE0EEEvT1_,comdat
.Lfunc_end146:
	.size	_ZN7rocprim17ROCPRIM_400000_NS6detail17trampoline_kernelINS0_14default_configENS1_35adjacent_difference_config_selectorILb1EyEEZNS1_24adjacent_difference_implIS3_Lb1ELb0EPyS7_N6thrust23THRUST_200600_302600_NS4plusIyEEEE10hipError_tPvRmT2_T3_mT4_P12ihipStream_tbEUlT_E_NS1_11comp_targetILNS1_3genE0ELNS1_11target_archE4294967295ELNS1_3gpuE0ELNS1_3repE0EEENS1_30default_config_static_selectorELNS0_4arch9wavefront6targetE0EEEvT1_, .Lfunc_end146-_ZN7rocprim17ROCPRIM_400000_NS6detail17trampoline_kernelINS0_14default_configENS1_35adjacent_difference_config_selectorILb1EyEEZNS1_24adjacent_difference_implIS3_Lb1ELb0EPyS7_N6thrust23THRUST_200600_302600_NS4plusIyEEEE10hipError_tPvRmT2_T3_mT4_P12ihipStream_tbEUlT_E_NS1_11comp_targetILNS1_3genE0ELNS1_11target_archE4294967295ELNS1_3gpuE0ELNS1_3repE0EEENS1_30default_config_static_selectorELNS0_4arch9wavefront6targetE0EEEvT1_
                                        ; -- End function
	.section	.AMDGPU.csdata,"",@progbits
; Kernel info:
; codeLenInByte = 0
; NumSgprs: 0
; NumVgprs: 0
; ScratchSize: 0
; MemoryBound: 0
; FloatMode: 240
; IeeeMode: 1
; LDSByteSize: 0 bytes/workgroup (compile time only)
; SGPRBlocks: 0
; VGPRBlocks: 0
; NumSGPRsForWavesPerEU: 1
; NumVGPRsForWavesPerEU: 1
; Occupancy: 16
; WaveLimiterHint : 0
; COMPUTE_PGM_RSRC2:SCRATCH_EN: 0
; COMPUTE_PGM_RSRC2:USER_SGPR: 15
; COMPUTE_PGM_RSRC2:TRAP_HANDLER: 0
; COMPUTE_PGM_RSRC2:TGID_X_EN: 1
; COMPUTE_PGM_RSRC2:TGID_Y_EN: 0
; COMPUTE_PGM_RSRC2:TGID_Z_EN: 0
; COMPUTE_PGM_RSRC2:TIDIG_COMP_CNT: 0
	.section	.text._ZN7rocprim17ROCPRIM_400000_NS6detail17trampoline_kernelINS0_14default_configENS1_35adjacent_difference_config_selectorILb1EyEEZNS1_24adjacent_difference_implIS3_Lb1ELb0EPyS7_N6thrust23THRUST_200600_302600_NS4plusIyEEEE10hipError_tPvRmT2_T3_mT4_P12ihipStream_tbEUlT_E_NS1_11comp_targetILNS1_3genE10ELNS1_11target_archE1201ELNS1_3gpuE5ELNS1_3repE0EEENS1_30default_config_static_selectorELNS0_4arch9wavefront6targetE0EEEvT1_,"axG",@progbits,_ZN7rocprim17ROCPRIM_400000_NS6detail17trampoline_kernelINS0_14default_configENS1_35adjacent_difference_config_selectorILb1EyEEZNS1_24adjacent_difference_implIS3_Lb1ELb0EPyS7_N6thrust23THRUST_200600_302600_NS4plusIyEEEE10hipError_tPvRmT2_T3_mT4_P12ihipStream_tbEUlT_E_NS1_11comp_targetILNS1_3genE10ELNS1_11target_archE1201ELNS1_3gpuE5ELNS1_3repE0EEENS1_30default_config_static_selectorELNS0_4arch9wavefront6targetE0EEEvT1_,comdat
	.protected	_ZN7rocprim17ROCPRIM_400000_NS6detail17trampoline_kernelINS0_14default_configENS1_35adjacent_difference_config_selectorILb1EyEEZNS1_24adjacent_difference_implIS3_Lb1ELb0EPyS7_N6thrust23THRUST_200600_302600_NS4plusIyEEEE10hipError_tPvRmT2_T3_mT4_P12ihipStream_tbEUlT_E_NS1_11comp_targetILNS1_3genE10ELNS1_11target_archE1201ELNS1_3gpuE5ELNS1_3repE0EEENS1_30default_config_static_selectorELNS0_4arch9wavefront6targetE0EEEvT1_ ; -- Begin function _ZN7rocprim17ROCPRIM_400000_NS6detail17trampoline_kernelINS0_14default_configENS1_35adjacent_difference_config_selectorILb1EyEEZNS1_24adjacent_difference_implIS3_Lb1ELb0EPyS7_N6thrust23THRUST_200600_302600_NS4plusIyEEEE10hipError_tPvRmT2_T3_mT4_P12ihipStream_tbEUlT_E_NS1_11comp_targetILNS1_3genE10ELNS1_11target_archE1201ELNS1_3gpuE5ELNS1_3repE0EEENS1_30default_config_static_selectorELNS0_4arch9wavefront6targetE0EEEvT1_
	.globl	_ZN7rocprim17ROCPRIM_400000_NS6detail17trampoline_kernelINS0_14default_configENS1_35adjacent_difference_config_selectorILb1EyEEZNS1_24adjacent_difference_implIS3_Lb1ELb0EPyS7_N6thrust23THRUST_200600_302600_NS4plusIyEEEE10hipError_tPvRmT2_T3_mT4_P12ihipStream_tbEUlT_E_NS1_11comp_targetILNS1_3genE10ELNS1_11target_archE1201ELNS1_3gpuE5ELNS1_3repE0EEENS1_30default_config_static_selectorELNS0_4arch9wavefront6targetE0EEEvT1_
	.p2align	8
	.type	_ZN7rocprim17ROCPRIM_400000_NS6detail17trampoline_kernelINS0_14default_configENS1_35adjacent_difference_config_selectorILb1EyEEZNS1_24adjacent_difference_implIS3_Lb1ELb0EPyS7_N6thrust23THRUST_200600_302600_NS4plusIyEEEE10hipError_tPvRmT2_T3_mT4_P12ihipStream_tbEUlT_E_NS1_11comp_targetILNS1_3genE10ELNS1_11target_archE1201ELNS1_3gpuE5ELNS1_3repE0EEENS1_30default_config_static_selectorELNS0_4arch9wavefront6targetE0EEEvT1_,@function
_ZN7rocprim17ROCPRIM_400000_NS6detail17trampoline_kernelINS0_14default_configENS1_35adjacent_difference_config_selectorILb1EyEEZNS1_24adjacent_difference_implIS3_Lb1ELb0EPyS7_N6thrust23THRUST_200600_302600_NS4plusIyEEEE10hipError_tPvRmT2_T3_mT4_P12ihipStream_tbEUlT_E_NS1_11comp_targetILNS1_3genE10ELNS1_11target_archE1201ELNS1_3gpuE5ELNS1_3repE0EEENS1_30default_config_static_selectorELNS0_4arch9wavefront6targetE0EEEvT1_: ; @_ZN7rocprim17ROCPRIM_400000_NS6detail17trampoline_kernelINS0_14default_configENS1_35adjacent_difference_config_selectorILb1EyEEZNS1_24adjacent_difference_implIS3_Lb1ELb0EPyS7_N6thrust23THRUST_200600_302600_NS4plusIyEEEE10hipError_tPvRmT2_T3_mT4_P12ihipStream_tbEUlT_E_NS1_11comp_targetILNS1_3genE10ELNS1_11target_archE1201ELNS1_3gpuE5ELNS1_3repE0EEENS1_30default_config_static_selectorELNS0_4arch9wavefront6targetE0EEEvT1_
; %bb.0:
	.section	.rodata,"a",@progbits
	.p2align	6, 0x0
	.amdhsa_kernel _ZN7rocprim17ROCPRIM_400000_NS6detail17trampoline_kernelINS0_14default_configENS1_35adjacent_difference_config_selectorILb1EyEEZNS1_24adjacent_difference_implIS3_Lb1ELb0EPyS7_N6thrust23THRUST_200600_302600_NS4plusIyEEEE10hipError_tPvRmT2_T3_mT4_P12ihipStream_tbEUlT_E_NS1_11comp_targetILNS1_3genE10ELNS1_11target_archE1201ELNS1_3gpuE5ELNS1_3repE0EEENS1_30default_config_static_selectorELNS0_4arch9wavefront6targetE0EEEvT1_
		.amdhsa_group_segment_fixed_size 0
		.amdhsa_private_segment_fixed_size 0
		.amdhsa_kernarg_size 56
		.amdhsa_user_sgpr_count 15
		.amdhsa_user_sgpr_dispatch_ptr 0
		.amdhsa_user_sgpr_queue_ptr 0
		.amdhsa_user_sgpr_kernarg_segment_ptr 1
		.amdhsa_user_sgpr_dispatch_id 0
		.amdhsa_user_sgpr_private_segment_size 0
		.amdhsa_wavefront_size32 1
		.amdhsa_uses_dynamic_stack 0
		.amdhsa_enable_private_segment 0
		.amdhsa_system_sgpr_workgroup_id_x 1
		.amdhsa_system_sgpr_workgroup_id_y 0
		.amdhsa_system_sgpr_workgroup_id_z 0
		.amdhsa_system_sgpr_workgroup_info 0
		.amdhsa_system_vgpr_workitem_id 0
		.amdhsa_next_free_vgpr 1
		.amdhsa_next_free_sgpr 1
		.amdhsa_reserve_vcc 0
		.amdhsa_float_round_mode_32 0
		.amdhsa_float_round_mode_16_64 0
		.amdhsa_float_denorm_mode_32 3
		.amdhsa_float_denorm_mode_16_64 3
		.amdhsa_dx10_clamp 1
		.amdhsa_ieee_mode 1
		.amdhsa_fp16_overflow 0
		.amdhsa_workgroup_processor_mode 1
		.amdhsa_memory_ordered 1
		.amdhsa_forward_progress 0
		.amdhsa_shared_vgpr_count 0
		.amdhsa_exception_fp_ieee_invalid_op 0
		.amdhsa_exception_fp_denorm_src 0
		.amdhsa_exception_fp_ieee_div_zero 0
		.amdhsa_exception_fp_ieee_overflow 0
		.amdhsa_exception_fp_ieee_underflow 0
		.amdhsa_exception_fp_ieee_inexact 0
		.amdhsa_exception_int_div_zero 0
	.end_amdhsa_kernel
	.section	.text._ZN7rocprim17ROCPRIM_400000_NS6detail17trampoline_kernelINS0_14default_configENS1_35adjacent_difference_config_selectorILb1EyEEZNS1_24adjacent_difference_implIS3_Lb1ELb0EPyS7_N6thrust23THRUST_200600_302600_NS4plusIyEEEE10hipError_tPvRmT2_T3_mT4_P12ihipStream_tbEUlT_E_NS1_11comp_targetILNS1_3genE10ELNS1_11target_archE1201ELNS1_3gpuE5ELNS1_3repE0EEENS1_30default_config_static_selectorELNS0_4arch9wavefront6targetE0EEEvT1_,"axG",@progbits,_ZN7rocprim17ROCPRIM_400000_NS6detail17trampoline_kernelINS0_14default_configENS1_35adjacent_difference_config_selectorILb1EyEEZNS1_24adjacent_difference_implIS3_Lb1ELb0EPyS7_N6thrust23THRUST_200600_302600_NS4plusIyEEEE10hipError_tPvRmT2_T3_mT4_P12ihipStream_tbEUlT_E_NS1_11comp_targetILNS1_3genE10ELNS1_11target_archE1201ELNS1_3gpuE5ELNS1_3repE0EEENS1_30default_config_static_selectorELNS0_4arch9wavefront6targetE0EEEvT1_,comdat
.Lfunc_end147:
	.size	_ZN7rocprim17ROCPRIM_400000_NS6detail17trampoline_kernelINS0_14default_configENS1_35adjacent_difference_config_selectorILb1EyEEZNS1_24adjacent_difference_implIS3_Lb1ELb0EPyS7_N6thrust23THRUST_200600_302600_NS4plusIyEEEE10hipError_tPvRmT2_T3_mT4_P12ihipStream_tbEUlT_E_NS1_11comp_targetILNS1_3genE10ELNS1_11target_archE1201ELNS1_3gpuE5ELNS1_3repE0EEENS1_30default_config_static_selectorELNS0_4arch9wavefront6targetE0EEEvT1_, .Lfunc_end147-_ZN7rocprim17ROCPRIM_400000_NS6detail17trampoline_kernelINS0_14default_configENS1_35adjacent_difference_config_selectorILb1EyEEZNS1_24adjacent_difference_implIS3_Lb1ELb0EPyS7_N6thrust23THRUST_200600_302600_NS4plusIyEEEE10hipError_tPvRmT2_T3_mT4_P12ihipStream_tbEUlT_E_NS1_11comp_targetILNS1_3genE10ELNS1_11target_archE1201ELNS1_3gpuE5ELNS1_3repE0EEENS1_30default_config_static_selectorELNS0_4arch9wavefront6targetE0EEEvT1_
                                        ; -- End function
	.section	.AMDGPU.csdata,"",@progbits
; Kernel info:
; codeLenInByte = 0
; NumSgprs: 0
; NumVgprs: 0
; ScratchSize: 0
; MemoryBound: 0
; FloatMode: 240
; IeeeMode: 1
; LDSByteSize: 0 bytes/workgroup (compile time only)
; SGPRBlocks: 0
; VGPRBlocks: 0
; NumSGPRsForWavesPerEU: 1
; NumVGPRsForWavesPerEU: 1
; Occupancy: 16
; WaveLimiterHint : 0
; COMPUTE_PGM_RSRC2:SCRATCH_EN: 0
; COMPUTE_PGM_RSRC2:USER_SGPR: 15
; COMPUTE_PGM_RSRC2:TRAP_HANDLER: 0
; COMPUTE_PGM_RSRC2:TGID_X_EN: 1
; COMPUTE_PGM_RSRC2:TGID_Y_EN: 0
; COMPUTE_PGM_RSRC2:TGID_Z_EN: 0
; COMPUTE_PGM_RSRC2:TIDIG_COMP_CNT: 0
	.section	.text._ZN7rocprim17ROCPRIM_400000_NS6detail17trampoline_kernelINS0_14default_configENS1_35adjacent_difference_config_selectorILb1EyEEZNS1_24adjacent_difference_implIS3_Lb1ELb0EPyS7_N6thrust23THRUST_200600_302600_NS4plusIyEEEE10hipError_tPvRmT2_T3_mT4_P12ihipStream_tbEUlT_E_NS1_11comp_targetILNS1_3genE5ELNS1_11target_archE942ELNS1_3gpuE9ELNS1_3repE0EEENS1_30default_config_static_selectorELNS0_4arch9wavefront6targetE0EEEvT1_,"axG",@progbits,_ZN7rocprim17ROCPRIM_400000_NS6detail17trampoline_kernelINS0_14default_configENS1_35adjacent_difference_config_selectorILb1EyEEZNS1_24adjacent_difference_implIS3_Lb1ELb0EPyS7_N6thrust23THRUST_200600_302600_NS4plusIyEEEE10hipError_tPvRmT2_T3_mT4_P12ihipStream_tbEUlT_E_NS1_11comp_targetILNS1_3genE5ELNS1_11target_archE942ELNS1_3gpuE9ELNS1_3repE0EEENS1_30default_config_static_selectorELNS0_4arch9wavefront6targetE0EEEvT1_,comdat
	.protected	_ZN7rocprim17ROCPRIM_400000_NS6detail17trampoline_kernelINS0_14default_configENS1_35adjacent_difference_config_selectorILb1EyEEZNS1_24adjacent_difference_implIS3_Lb1ELb0EPyS7_N6thrust23THRUST_200600_302600_NS4plusIyEEEE10hipError_tPvRmT2_T3_mT4_P12ihipStream_tbEUlT_E_NS1_11comp_targetILNS1_3genE5ELNS1_11target_archE942ELNS1_3gpuE9ELNS1_3repE0EEENS1_30default_config_static_selectorELNS0_4arch9wavefront6targetE0EEEvT1_ ; -- Begin function _ZN7rocprim17ROCPRIM_400000_NS6detail17trampoline_kernelINS0_14default_configENS1_35adjacent_difference_config_selectorILb1EyEEZNS1_24adjacent_difference_implIS3_Lb1ELb0EPyS7_N6thrust23THRUST_200600_302600_NS4plusIyEEEE10hipError_tPvRmT2_T3_mT4_P12ihipStream_tbEUlT_E_NS1_11comp_targetILNS1_3genE5ELNS1_11target_archE942ELNS1_3gpuE9ELNS1_3repE0EEENS1_30default_config_static_selectorELNS0_4arch9wavefront6targetE0EEEvT1_
	.globl	_ZN7rocprim17ROCPRIM_400000_NS6detail17trampoline_kernelINS0_14default_configENS1_35adjacent_difference_config_selectorILb1EyEEZNS1_24adjacent_difference_implIS3_Lb1ELb0EPyS7_N6thrust23THRUST_200600_302600_NS4plusIyEEEE10hipError_tPvRmT2_T3_mT4_P12ihipStream_tbEUlT_E_NS1_11comp_targetILNS1_3genE5ELNS1_11target_archE942ELNS1_3gpuE9ELNS1_3repE0EEENS1_30default_config_static_selectorELNS0_4arch9wavefront6targetE0EEEvT1_
	.p2align	8
	.type	_ZN7rocprim17ROCPRIM_400000_NS6detail17trampoline_kernelINS0_14default_configENS1_35adjacent_difference_config_selectorILb1EyEEZNS1_24adjacent_difference_implIS3_Lb1ELb0EPyS7_N6thrust23THRUST_200600_302600_NS4plusIyEEEE10hipError_tPvRmT2_T3_mT4_P12ihipStream_tbEUlT_E_NS1_11comp_targetILNS1_3genE5ELNS1_11target_archE942ELNS1_3gpuE9ELNS1_3repE0EEENS1_30default_config_static_selectorELNS0_4arch9wavefront6targetE0EEEvT1_,@function
_ZN7rocprim17ROCPRIM_400000_NS6detail17trampoline_kernelINS0_14default_configENS1_35adjacent_difference_config_selectorILb1EyEEZNS1_24adjacent_difference_implIS3_Lb1ELb0EPyS7_N6thrust23THRUST_200600_302600_NS4plusIyEEEE10hipError_tPvRmT2_T3_mT4_P12ihipStream_tbEUlT_E_NS1_11comp_targetILNS1_3genE5ELNS1_11target_archE942ELNS1_3gpuE9ELNS1_3repE0EEENS1_30default_config_static_selectorELNS0_4arch9wavefront6targetE0EEEvT1_: ; @_ZN7rocprim17ROCPRIM_400000_NS6detail17trampoline_kernelINS0_14default_configENS1_35adjacent_difference_config_selectorILb1EyEEZNS1_24adjacent_difference_implIS3_Lb1ELb0EPyS7_N6thrust23THRUST_200600_302600_NS4plusIyEEEE10hipError_tPvRmT2_T3_mT4_P12ihipStream_tbEUlT_E_NS1_11comp_targetILNS1_3genE5ELNS1_11target_archE942ELNS1_3gpuE9ELNS1_3repE0EEENS1_30default_config_static_selectorELNS0_4arch9wavefront6targetE0EEEvT1_
; %bb.0:
	.section	.rodata,"a",@progbits
	.p2align	6, 0x0
	.amdhsa_kernel _ZN7rocprim17ROCPRIM_400000_NS6detail17trampoline_kernelINS0_14default_configENS1_35adjacent_difference_config_selectorILb1EyEEZNS1_24adjacent_difference_implIS3_Lb1ELb0EPyS7_N6thrust23THRUST_200600_302600_NS4plusIyEEEE10hipError_tPvRmT2_T3_mT4_P12ihipStream_tbEUlT_E_NS1_11comp_targetILNS1_3genE5ELNS1_11target_archE942ELNS1_3gpuE9ELNS1_3repE0EEENS1_30default_config_static_selectorELNS0_4arch9wavefront6targetE0EEEvT1_
		.amdhsa_group_segment_fixed_size 0
		.amdhsa_private_segment_fixed_size 0
		.amdhsa_kernarg_size 56
		.amdhsa_user_sgpr_count 15
		.amdhsa_user_sgpr_dispatch_ptr 0
		.amdhsa_user_sgpr_queue_ptr 0
		.amdhsa_user_sgpr_kernarg_segment_ptr 1
		.amdhsa_user_sgpr_dispatch_id 0
		.amdhsa_user_sgpr_private_segment_size 0
		.amdhsa_wavefront_size32 1
		.amdhsa_uses_dynamic_stack 0
		.amdhsa_enable_private_segment 0
		.amdhsa_system_sgpr_workgroup_id_x 1
		.amdhsa_system_sgpr_workgroup_id_y 0
		.amdhsa_system_sgpr_workgroup_id_z 0
		.amdhsa_system_sgpr_workgroup_info 0
		.amdhsa_system_vgpr_workitem_id 0
		.amdhsa_next_free_vgpr 1
		.amdhsa_next_free_sgpr 1
		.amdhsa_reserve_vcc 0
		.amdhsa_float_round_mode_32 0
		.amdhsa_float_round_mode_16_64 0
		.amdhsa_float_denorm_mode_32 3
		.amdhsa_float_denorm_mode_16_64 3
		.amdhsa_dx10_clamp 1
		.amdhsa_ieee_mode 1
		.amdhsa_fp16_overflow 0
		.amdhsa_workgroup_processor_mode 1
		.amdhsa_memory_ordered 1
		.amdhsa_forward_progress 0
		.amdhsa_shared_vgpr_count 0
		.amdhsa_exception_fp_ieee_invalid_op 0
		.amdhsa_exception_fp_denorm_src 0
		.amdhsa_exception_fp_ieee_div_zero 0
		.amdhsa_exception_fp_ieee_overflow 0
		.amdhsa_exception_fp_ieee_underflow 0
		.amdhsa_exception_fp_ieee_inexact 0
		.amdhsa_exception_int_div_zero 0
	.end_amdhsa_kernel
	.section	.text._ZN7rocprim17ROCPRIM_400000_NS6detail17trampoline_kernelINS0_14default_configENS1_35adjacent_difference_config_selectorILb1EyEEZNS1_24adjacent_difference_implIS3_Lb1ELb0EPyS7_N6thrust23THRUST_200600_302600_NS4plusIyEEEE10hipError_tPvRmT2_T3_mT4_P12ihipStream_tbEUlT_E_NS1_11comp_targetILNS1_3genE5ELNS1_11target_archE942ELNS1_3gpuE9ELNS1_3repE0EEENS1_30default_config_static_selectorELNS0_4arch9wavefront6targetE0EEEvT1_,"axG",@progbits,_ZN7rocprim17ROCPRIM_400000_NS6detail17trampoline_kernelINS0_14default_configENS1_35adjacent_difference_config_selectorILb1EyEEZNS1_24adjacent_difference_implIS3_Lb1ELb0EPyS7_N6thrust23THRUST_200600_302600_NS4plusIyEEEE10hipError_tPvRmT2_T3_mT4_P12ihipStream_tbEUlT_E_NS1_11comp_targetILNS1_3genE5ELNS1_11target_archE942ELNS1_3gpuE9ELNS1_3repE0EEENS1_30default_config_static_selectorELNS0_4arch9wavefront6targetE0EEEvT1_,comdat
.Lfunc_end148:
	.size	_ZN7rocprim17ROCPRIM_400000_NS6detail17trampoline_kernelINS0_14default_configENS1_35adjacent_difference_config_selectorILb1EyEEZNS1_24adjacent_difference_implIS3_Lb1ELb0EPyS7_N6thrust23THRUST_200600_302600_NS4plusIyEEEE10hipError_tPvRmT2_T3_mT4_P12ihipStream_tbEUlT_E_NS1_11comp_targetILNS1_3genE5ELNS1_11target_archE942ELNS1_3gpuE9ELNS1_3repE0EEENS1_30default_config_static_selectorELNS0_4arch9wavefront6targetE0EEEvT1_, .Lfunc_end148-_ZN7rocprim17ROCPRIM_400000_NS6detail17trampoline_kernelINS0_14default_configENS1_35adjacent_difference_config_selectorILb1EyEEZNS1_24adjacent_difference_implIS3_Lb1ELb0EPyS7_N6thrust23THRUST_200600_302600_NS4plusIyEEEE10hipError_tPvRmT2_T3_mT4_P12ihipStream_tbEUlT_E_NS1_11comp_targetILNS1_3genE5ELNS1_11target_archE942ELNS1_3gpuE9ELNS1_3repE0EEENS1_30default_config_static_selectorELNS0_4arch9wavefront6targetE0EEEvT1_
                                        ; -- End function
	.section	.AMDGPU.csdata,"",@progbits
; Kernel info:
; codeLenInByte = 0
; NumSgprs: 0
; NumVgprs: 0
; ScratchSize: 0
; MemoryBound: 0
; FloatMode: 240
; IeeeMode: 1
; LDSByteSize: 0 bytes/workgroup (compile time only)
; SGPRBlocks: 0
; VGPRBlocks: 0
; NumSGPRsForWavesPerEU: 1
; NumVGPRsForWavesPerEU: 1
; Occupancy: 16
; WaveLimiterHint : 0
; COMPUTE_PGM_RSRC2:SCRATCH_EN: 0
; COMPUTE_PGM_RSRC2:USER_SGPR: 15
; COMPUTE_PGM_RSRC2:TRAP_HANDLER: 0
; COMPUTE_PGM_RSRC2:TGID_X_EN: 1
; COMPUTE_PGM_RSRC2:TGID_Y_EN: 0
; COMPUTE_PGM_RSRC2:TGID_Z_EN: 0
; COMPUTE_PGM_RSRC2:TIDIG_COMP_CNT: 0
	.section	.text._ZN7rocprim17ROCPRIM_400000_NS6detail17trampoline_kernelINS0_14default_configENS1_35adjacent_difference_config_selectorILb1EyEEZNS1_24adjacent_difference_implIS3_Lb1ELb0EPyS7_N6thrust23THRUST_200600_302600_NS4plusIyEEEE10hipError_tPvRmT2_T3_mT4_P12ihipStream_tbEUlT_E_NS1_11comp_targetILNS1_3genE4ELNS1_11target_archE910ELNS1_3gpuE8ELNS1_3repE0EEENS1_30default_config_static_selectorELNS0_4arch9wavefront6targetE0EEEvT1_,"axG",@progbits,_ZN7rocprim17ROCPRIM_400000_NS6detail17trampoline_kernelINS0_14default_configENS1_35adjacent_difference_config_selectorILb1EyEEZNS1_24adjacent_difference_implIS3_Lb1ELb0EPyS7_N6thrust23THRUST_200600_302600_NS4plusIyEEEE10hipError_tPvRmT2_T3_mT4_P12ihipStream_tbEUlT_E_NS1_11comp_targetILNS1_3genE4ELNS1_11target_archE910ELNS1_3gpuE8ELNS1_3repE0EEENS1_30default_config_static_selectorELNS0_4arch9wavefront6targetE0EEEvT1_,comdat
	.protected	_ZN7rocprim17ROCPRIM_400000_NS6detail17trampoline_kernelINS0_14default_configENS1_35adjacent_difference_config_selectorILb1EyEEZNS1_24adjacent_difference_implIS3_Lb1ELb0EPyS7_N6thrust23THRUST_200600_302600_NS4plusIyEEEE10hipError_tPvRmT2_T3_mT4_P12ihipStream_tbEUlT_E_NS1_11comp_targetILNS1_3genE4ELNS1_11target_archE910ELNS1_3gpuE8ELNS1_3repE0EEENS1_30default_config_static_selectorELNS0_4arch9wavefront6targetE0EEEvT1_ ; -- Begin function _ZN7rocprim17ROCPRIM_400000_NS6detail17trampoline_kernelINS0_14default_configENS1_35adjacent_difference_config_selectorILb1EyEEZNS1_24adjacent_difference_implIS3_Lb1ELb0EPyS7_N6thrust23THRUST_200600_302600_NS4plusIyEEEE10hipError_tPvRmT2_T3_mT4_P12ihipStream_tbEUlT_E_NS1_11comp_targetILNS1_3genE4ELNS1_11target_archE910ELNS1_3gpuE8ELNS1_3repE0EEENS1_30default_config_static_selectorELNS0_4arch9wavefront6targetE0EEEvT1_
	.globl	_ZN7rocprim17ROCPRIM_400000_NS6detail17trampoline_kernelINS0_14default_configENS1_35adjacent_difference_config_selectorILb1EyEEZNS1_24adjacent_difference_implIS3_Lb1ELb0EPyS7_N6thrust23THRUST_200600_302600_NS4plusIyEEEE10hipError_tPvRmT2_T3_mT4_P12ihipStream_tbEUlT_E_NS1_11comp_targetILNS1_3genE4ELNS1_11target_archE910ELNS1_3gpuE8ELNS1_3repE0EEENS1_30default_config_static_selectorELNS0_4arch9wavefront6targetE0EEEvT1_
	.p2align	8
	.type	_ZN7rocprim17ROCPRIM_400000_NS6detail17trampoline_kernelINS0_14default_configENS1_35adjacent_difference_config_selectorILb1EyEEZNS1_24adjacent_difference_implIS3_Lb1ELb0EPyS7_N6thrust23THRUST_200600_302600_NS4plusIyEEEE10hipError_tPvRmT2_T3_mT4_P12ihipStream_tbEUlT_E_NS1_11comp_targetILNS1_3genE4ELNS1_11target_archE910ELNS1_3gpuE8ELNS1_3repE0EEENS1_30default_config_static_selectorELNS0_4arch9wavefront6targetE0EEEvT1_,@function
_ZN7rocprim17ROCPRIM_400000_NS6detail17trampoline_kernelINS0_14default_configENS1_35adjacent_difference_config_selectorILb1EyEEZNS1_24adjacent_difference_implIS3_Lb1ELb0EPyS7_N6thrust23THRUST_200600_302600_NS4plusIyEEEE10hipError_tPvRmT2_T3_mT4_P12ihipStream_tbEUlT_E_NS1_11comp_targetILNS1_3genE4ELNS1_11target_archE910ELNS1_3gpuE8ELNS1_3repE0EEENS1_30default_config_static_selectorELNS0_4arch9wavefront6targetE0EEEvT1_: ; @_ZN7rocprim17ROCPRIM_400000_NS6detail17trampoline_kernelINS0_14default_configENS1_35adjacent_difference_config_selectorILb1EyEEZNS1_24adjacent_difference_implIS3_Lb1ELb0EPyS7_N6thrust23THRUST_200600_302600_NS4plusIyEEEE10hipError_tPvRmT2_T3_mT4_P12ihipStream_tbEUlT_E_NS1_11comp_targetILNS1_3genE4ELNS1_11target_archE910ELNS1_3gpuE8ELNS1_3repE0EEENS1_30default_config_static_selectorELNS0_4arch9wavefront6targetE0EEEvT1_
; %bb.0:
	.section	.rodata,"a",@progbits
	.p2align	6, 0x0
	.amdhsa_kernel _ZN7rocprim17ROCPRIM_400000_NS6detail17trampoline_kernelINS0_14default_configENS1_35adjacent_difference_config_selectorILb1EyEEZNS1_24adjacent_difference_implIS3_Lb1ELb0EPyS7_N6thrust23THRUST_200600_302600_NS4plusIyEEEE10hipError_tPvRmT2_T3_mT4_P12ihipStream_tbEUlT_E_NS1_11comp_targetILNS1_3genE4ELNS1_11target_archE910ELNS1_3gpuE8ELNS1_3repE0EEENS1_30default_config_static_selectorELNS0_4arch9wavefront6targetE0EEEvT1_
		.amdhsa_group_segment_fixed_size 0
		.amdhsa_private_segment_fixed_size 0
		.amdhsa_kernarg_size 56
		.amdhsa_user_sgpr_count 15
		.amdhsa_user_sgpr_dispatch_ptr 0
		.amdhsa_user_sgpr_queue_ptr 0
		.amdhsa_user_sgpr_kernarg_segment_ptr 1
		.amdhsa_user_sgpr_dispatch_id 0
		.amdhsa_user_sgpr_private_segment_size 0
		.amdhsa_wavefront_size32 1
		.amdhsa_uses_dynamic_stack 0
		.amdhsa_enable_private_segment 0
		.amdhsa_system_sgpr_workgroup_id_x 1
		.amdhsa_system_sgpr_workgroup_id_y 0
		.amdhsa_system_sgpr_workgroup_id_z 0
		.amdhsa_system_sgpr_workgroup_info 0
		.amdhsa_system_vgpr_workitem_id 0
		.amdhsa_next_free_vgpr 1
		.amdhsa_next_free_sgpr 1
		.amdhsa_reserve_vcc 0
		.amdhsa_float_round_mode_32 0
		.amdhsa_float_round_mode_16_64 0
		.amdhsa_float_denorm_mode_32 3
		.amdhsa_float_denorm_mode_16_64 3
		.amdhsa_dx10_clamp 1
		.amdhsa_ieee_mode 1
		.amdhsa_fp16_overflow 0
		.amdhsa_workgroup_processor_mode 1
		.amdhsa_memory_ordered 1
		.amdhsa_forward_progress 0
		.amdhsa_shared_vgpr_count 0
		.amdhsa_exception_fp_ieee_invalid_op 0
		.amdhsa_exception_fp_denorm_src 0
		.amdhsa_exception_fp_ieee_div_zero 0
		.amdhsa_exception_fp_ieee_overflow 0
		.amdhsa_exception_fp_ieee_underflow 0
		.amdhsa_exception_fp_ieee_inexact 0
		.amdhsa_exception_int_div_zero 0
	.end_amdhsa_kernel
	.section	.text._ZN7rocprim17ROCPRIM_400000_NS6detail17trampoline_kernelINS0_14default_configENS1_35adjacent_difference_config_selectorILb1EyEEZNS1_24adjacent_difference_implIS3_Lb1ELb0EPyS7_N6thrust23THRUST_200600_302600_NS4plusIyEEEE10hipError_tPvRmT2_T3_mT4_P12ihipStream_tbEUlT_E_NS1_11comp_targetILNS1_3genE4ELNS1_11target_archE910ELNS1_3gpuE8ELNS1_3repE0EEENS1_30default_config_static_selectorELNS0_4arch9wavefront6targetE0EEEvT1_,"axG",@progbits,_ZN7rocprim17ROCPRIM_400000_NS6detail17trampoline_kernelINS0_14default_configENS1_35adjacent_difference_config_selectorILb1EyEEZNS1_24adjacent_difference_implIS3_Lb1ELb0EPyS7_N6thrust23THRUST_200600_302600_NS4plusIyEEEE10hipError_tPvRmT2_T3_mT4_P12ihipStream_tbEUlT_E_NS1_11comp_targetILNS1_3genE4ELNS1_11target_archE910ELNS1_3gpuE8ELNS1_3repE0EEENS1_30default_config_static_selectorELNS0_4arch9wavefront6targetE0EEEvT1_,comdat
.Lfunc_end149:
	.size	_ZN7rocprim17ROCPRIM_400000_NS6detail17trampoline_kernelINS0_14default_configENS1_35adjacent_difference_config_selectorILb1EyEEZNS1_24adjacent_difference_implIS3_Lb1ELb0EPyS7_N6thrust23THRUST_200600_302600_NS4plusIyEEEE10hipError_tPvRmT2_T3_mT4_P12ihipStream_tbEUlT_E_NS1_11comp_targetILNS1_3genE4ELNS1_11target_archE910ELNS1_3gpuE8ELNS1_3repE0EEENS1_30default_config_static_selectorELNS0_4arch9wavefront6targetE0EEEvT1_, .Lfunc_end149-_ZN7rocprim17ROCPRIM_400000_NS6detail17trampoline_kernelINS0_14default_configENS1_35adjacent_difference_config_selectorILb1EyEEZNS1_24adjacent_difference_implIS3_Lb1ELb0EPyS7_N6thrust23THRUST_200600_302600_NS4plusIyEEEE10hipError_tPvRmT2_T3_mT4_P12ihipStream_tbEUlT_E_NS1_11comp_targetILNS1_3genE4ELNS1_11target_archE910ELNS1_3gpuE8ELNS1_3repE0EEENS1_30default_config_static_selectorELNS0_4arch9wavefront6targetE0EEEvT1_
                                        ; -- End function
	.section	.AMDGPU.csdata,"",@progbits
; Kernel info:
; codeLenInByte = 0
; NumSgprs: 0
; NumVgprs: 0
; ScratchSize: 0
; MemoryBound: 0
; FloatMode: 240
; IeeeMode: 1
; LDSByteSize: 0 bytes/workgroup (compile time only)
; SGPRBlocks: 0
; VGPRBlocks: 0
; NumSGPRsForWavesPerEU: 1
; NumVGPRsForWavesPerEU: 1
; Occupancy: 16
; WaveLimiterHint : 0
; COMPUTE_PGM_RSRC2:SCRATCH_EN: 0
; COMPUTE_PGM_RSRC2:USER_SGPR: 15
; COMPUTE_PGM_RSRC2:TRAP_HANDLER: 0
; COMPUTE_PGM_RSRC2:TGID_X_EN: 1
; COMPUTE_PGM_RSRC2:TGID_Y_EN: 0
; COMPUTE_PGM_RSRC2:TGID_Z_EN: 0
; COMPUTE_PGM_RSRC2:TIDIG_COMP_CNT: 0
	.section	.text._ZN7rocprim17ROCPRIM_400000_NS6detail17trampoline_kernelINS0_14default_configENS1_35adjacent_difference_config_selectorILb1EyEEZNS1_24adjacent_difference_implIS3_Lb1ELb0EPyS7_N6thrust23THRUST_200600_302600_NS4plusIyEEEE10hipError_tPvRmT2_T3_mT4_P12ihipStream_tbEUlT_E_NS1_11comp_targetILNS1_3genE3ELNS1_11target_archE908ELNS1_3gpuE7ELNS1_3repE0EEENS1_30default_config_static_selectorELNS0_4arch9wavefront6targetE0EEEvT1_,"axG",@progbits,_ZN7rocprim17ROCPRIM_400000_NS6detail17trampoline_kernelINS0_14default_configENS1_35adjacent_difference_config_selectorILb1EyEEZNS1_24adjacent_difference_implIS3_Lb1ELb0EPyS7_N6thrust23THRUST_200600_302600_NS4plusIyEEEE10hipError_tPvRmT2_T3_mT4_P12ihipStream_tbEUlT_E_NS1_11comp_targetILNS1_3genE3ELNS1_11target_archE908ELNS1_3gpuE7ELNS1_3repE0EEENS1_30default_config_static_selectorELNS0_4arch9wavefront6targetE0EEEvT1_,comdat
	.protected	_ZN7rocprim17ROCPRIM_400000_NS6detail17trampoline_kernelINS0_14default_configENS1_35adjacent_difference_config_selectorILb1EyEEZNS1_24adjacent_difference_implIS3_Lb1ELb0EPyS7_N6thrust23THRUST_200600_302600_NS4plusIyEEEE10hipError_tPvRmT2_T3_mT4_P12ihipStream_tbEUlT_E_NS1_11comp_targetILNS1_3genE3ELNS1_11target_archE908ELNS1_3gpuE7ELNS1_3repE0EEENS1_30default_config_static_selectorELNS0_4arch9wavefront6targetE0EEEvT1_ ; -- Begin function _ZN7rocprim17ROCPRIM_400000_NS6detail17trampoline_kernelINS0_14default_configENS1_35adjacent_difference_config_selectorILb1EyEEZNS1_24adjacent_difference_implIS3_Lb1ELb0EPyS7_N6thrust23THRUST_200600_302600_NS4plusIyEEEE10hipError_tPvRmT2_T3_mT4_P12ihipStream_tbEUlT_E_NS1_11comp_targetILNS1_3genE3ELNS1_11target_archE908ELNS1_3gpuE7ELNS1_3repE0EEENS1_30default_config_static_selectorELNS0_4arch9wavefront6targetE0EEEvT1_
	.globl	_ZN7rocprim17ROCPRIM_400000_NS6detail17trampoline_kernelINS0_14default_configENS1_35adjacent_difference_config_selectorILb1EyEEZNS1_24adjacent_difference_implIS3_Lb1ELb0EPyS7_N6thrust23THRUST_200600_302600_NS4plusIyEEEE10hipError_tPvRmT2_T3_mT4_P12ihipStream_tbEUlT_E_NS1_11comp_targetILNS1_3genE3ELNS1_11target_archE908ELNS1_3gpuE7ELNS1_3repE0EEENS1_30default_config_static_selectorELNS0_4arch9wavefront6targetE0EEEvT1_
	.p2align	8
	.type	_ZN7rocprim17ROCPRIM_400000_NS6detail17trampoline_kernelINS0_14default_configENS1_35adjacent_difference_config_selectorILb1EyEEZNS1_24adjacent_difference_implIS3_Lb1ELb0EPyS7_N6thrust23THRUST_200600_302600_NS4plusIyEEEE10hipError_tPvRmT2_T3_mT4_P12ihipStream_tbEUlT_E_NS1_11comp_targetILNS1_3genE3ELNS1_11target_archE908ELNS1_3gpuE7ELNS1_3repE0EEENS1_30default_config_static_selectorELNS0_4arch9wavefront6targetE0EEEvT1_,@function
_ZN7rocprim17ROCPRIM_400000_NS6detail17trampoline_kernelINS0_14default_configENS1_35adjacent_difference_config_selectorILb1EyEEZNS1_24adjacent_difference_implIS3_Lb1ELb0EPyS7_N6thrust23THRUST_200600_302600_NS4plusIyEEEE10hipError_tPvRmT2_T3_mT4_P12ihipStream_tbEUlT_E_NS1_11comp_targetILNS1_3genE3ELNS1_11target_archE908ELNS1_3gpuE7ELNS1_3repE0EEENS1_30default_config_static_selectorELNS0_4arch9wavefront6targetE0EEEvT1_: ; @_ZN7rocprim17ROCPRIM_400000_NS6detail17trampoline_kernelINS0_14default_configENS1_35adjacent_difference_config_selectorILb1EyEEZNS1_24adjacent_difference_implIS3_Lb1ELb0EPyS7_N6thrust23THRUST_200600_302600_NS4plusIyEEEE10hipError_tPvRmT2_T3_mT4_P12ihipStream_tbEUlT_E_NS1_11comp_targetILNS1_3genE3ELNS1_11target_archE908ELNS1_3gpuE7ELNS1_3repE0EEENS1_30default_config_static_selectorELNS0_4arch9wavefront6targetE0EEEvT1_
; %bb.0:
	.section	.rodata,"a",@progbits
	.p2align	6, 0x0
	.amdhsa_kernel _ZN7rocprim17ROCPRIM_400000_NS6detail17trampoline_kernelINS0_14default_configENS1_35adjacent_difference_config_selectorILb1EyEEZNS1_24adjacent_difference_implIS3_Lb1ELb0EPyS7_N6thrust23THRUST_200600_302600_NS4plusIyEEEE10hipError_tPvRmT2_T3_mT4_P12ihipStream_tbEUlT_E_NS1_11comp_targetILNS1_3genE3ELNS1_11target_archE908ELNS1_3gpuE7ELNS1_3repE0EEENS1_30default_config_static_selectorELNS0_4arch9wavefront6targetE0EEEvT1_
		.amdhsa_group_segment_fixed_size 0
		.amdhsa_private_segment_fixed_size 0
		.amdhsa_kernarg_size 56
		.amdhsa_user_sgpr_count 15
		.amdhsa_user_sgpr_dispatch_ptr 0
		.amdhsa_user_sgpr_queue_ptr 0
		.amdhsa_user_sgpr_kernarg_segment_ptr 1
		.amdhsa_user_sgpr_dispatch_id 0
		.amdhsa_user_sgpr_private_segment_size 0
		.amdhsa_wavefront_size32 1
		.amdhsa_uses_dynamic_stack 0
		.amdhsa_enable_private_segment 0
		.amdhsa_system_sgpr_workgroup_id_x 1
		.amdhsa_system_sgpr_workgroup_id_y 0
		.amdhsa_system_sgpr_workgroup_id_z 0
		.amdhsa_system_sgpr_workgroup_info 0
		.amdhsa_system_vgpr_workitem_id 0
		.amdhsa_next_free_vgpr 1
		.amdhsa_next_free_sgpr 1
		.amdhsa_reserve_vcc 0
		.amdhsa_float_round_mode_32 0
		.amdhsa_float_round_mode_16_64 0
		.amdhsa_float_denorm_mode_32 3
		.amdhsa_float_denorm_mode_16_64 3
		.amdhsa_dx10_clamp 1
		.amdhsa_ieee_mode 1
		.amdhsa_fp16_overflow 0
		.amdhsa_workgroup_processor_mode 1
		.amdhsa_memory_ordered 1
		.amdhsa_forward_progress 0
		.amdhsa_shared_vgpr_count 0
		.amdhsa_exception_fp_ieee_invalid_op 0
		.amdhsa_exception_fp_denorm_src 0
		.amdhsa_exception_fp_ieee_div_zero 0
		.amdhsa_exception_fp_ieee_overflow 0
		.amdhsa_exception_fp_ieee_underflow 0
		.amdhsa_exception_fp_ieee_inexact 0
		.amdhsa_exception_int_div_zero 0
	.end_amdhsa_kernel
	.section	.text._ZN7rocprim17ROCPRIM_400000_NS6detail17trampoline_kernelINS0_14default_configENS1_35adjacent_difference_config_selectorILb1EyEEZNS1_24adjacent_difference_implIS3_Lb1ELb0EPyS7_N6thrust23THRUST_200600_302600_NS4plusIyEEEE10hipError_tPvRmT2_T3_mT4_P12ihipStream_tbEUlT_E_NS1_11comp_targetILNS1_3genE3ELNS1_11target_archE908ELNS1_3gpuE7ELNS1_3repE0EEENS1_30default_config_static_selectorELNS0_4arch9wavefront6targetE0EEEvT1_,"axG",@progbits,_ZN7rocprim17ROCPRIM_400000_NS6detail17trampoline_kernelINS0_14default_configENS1_35adjacent_difference_config_selectorILb1EyEEZNS1_24adjacent_difference_implIS3_Lb1ELb0EPyS7_N6thrust23THRUST_200600_302600_NS4plusIyEEEE10hipError_tPvRmT2_T3_mT4_P12ihipStream_tbEUlT_E_NS1_11comp_targetILNS1_3genE3ELNS1_11target_archE908ELNS1_3gpuE7ELNS1_3repE0EEENS1_30default_config_static_selectorELNS0_4arch9wavefront6targetE0EEEvT1_,comdat
.Lfunc_end150:
	.size	_ZN7rocprim17ROCPRIM_400000_NS6detail17trampoline_kernelINS0_14default_configENS1_35adjacent_difference_config_selectorILb1EyEEZNS1_24adjacent_difference_implIS3_Lb1ELb0EPyS7_N6thrust23THRUST_200600_302600_NS4plusIyEEEE10hipError_tPvRmT2_T3_mT4_P12ihipStream_tbEUlT_E_NS1_11comp_targetILNS1_3genE3ELNS1_11target_archE908ELNS1_3gpuE7ELNS1_3repE0EEENS1_30default_config_static_selectorELNS0_4arch9wavefront6targetE0EEEvT1_, .Lfunc_end150-_ZN7rocprim17ROCPRIM_400000_NS6detail17trampoline_kernelINS0_14default_configENS1_35adjacent_difference_config_selectorILb1EyEEZNS1_24adjacent_difference_implIS3_Lb1ELb0EPyS7_N6thrust23THRUST_200600_302600_NS4plusIyEEEE10hipError_tPvRmT2_T3_mT4_P12ihipStream_tbEUlT_E_NS1_11comp_targetILNS1_3genE3ELNS1_11target_archE908ELNS1_3gpuE7ELNS1_3repE0EEENS1_30default_config_static_selectorELNS0_4arch9wavefront6targetE0EEEvT1_
                                        ; -- End function
	.section	.AMDGPU.csdata,"",@progbits
; Kernel info:
; codeLenInByte = 0
; NumSgprs: 0
; NumVgprs: 0
; ScratchSize: 0
; MemoryBound: 0
; FloatMode: 240
; IeeeMode: 1
; LDSByteSize: 0 bytes/workgroup (compile time only)
; SGPRBlocks: 0
; VGPRBlocks: 0
; NumSGPRsForWavesPerEU: 1
; NumVGPRsForWavesPerEU: 1
; Occupancy: 16
; WaveLimiterHint : 0
; COMPUTE_PGM_RSRC2:SCRATCH_EN: 0
; COMPUTE_PGM_RSRC2:USER_SGPR: 15
; COMPUTE_PGM_RSRC2:TRAP_HANDLER: 0
; COMPUTE_PGM_RSRC2:TGID_X_EN: 1
; COMPUTE_PGM_RSRC2:TGID_Y_EN: 0
; COMPUTE_PGM_RSRC2:TGID_Z_EN: 0
; COMPUTE_PGM_RSRC2:TIDIG_COMP_CNT: 0
	.section	.text._ZN7rocprim17ROCPRIM_400000_NS6detail17trampoline_kernelINS0_14default_configENS1_35adjacent_difference_config_selectorILb1EyEEZNS1_24adjacent_difference_implIS3_Lb1ELb0EPyS7_N6thrust23THRUST_200600_302600_NS4plusIyEEEE10hipError_tPvRmT2_T3_mT4_P12ihipStream_tbEUlT_E_NS1_11comp_targetILNS1_3genE2ELNS1_11target_archE906ELNS1_3gpuE6ELNS1_3repE0EEENS1_30default_config_static_selectorELNS0_4arch9wavefront6targetE0EEEvT1_,"axG",@progbits,_ZN7rocprim17ROCPRIM_400000_NS6detail17trampoline_kernelINS0_14default_configENS1_35adjacent_difference_config_selectorILb1EyEEZNS1_24adjacent_difference_implIS3_Lb1ELb0EPyS7_N6thrust23THRUST_200600_302600_NS4plusIyEEEE10hipError_tPvRmT2_T3_mT4_P12ihipStream_tbEUlT_E_NS1_11comp_targetILNS1_3genE2ELNS1_11target_archE906ELNS1_3gpuE6ELNS1_3repE0EEENS1_30default_config_static_selectorELNS0_4arch9wavefront6targetE0EEEvT1_,comdat
	.protected	_ZN7rocprim17ROCPRIM_400000_NS6detail17trampoline_kernelINS0_14default_configENS1_35adjacent_difference_config_selectorILb1EyEEZNS1_24adjacent_difference_implIS3_Lb1ELb0EPyS7_N6thrust23THRUST_200600_302600_NS4plusIyEEEE10hipError_tPvRmT2_T3_mT4_P12ihipStream_tbEUlT_E_NS1_11comp_targetILNS1_3genE2ELNS1_11target_archE906ELNS1_3gpuE6ELNS1_3repE0EEENS1_30default_config_static_selectorELNS0_4arch9wavefront6targetE0EEEvT1_ ; -- Begin function _ZN7rocprim17ROCPRIM_400000_NS6detail17trampoline_kernelINS0_14default_configENS1_35adjacent_difference_config_selectorILb1EyEEZNS1_24adjacent_difference_implIS3_Lb1ELb0EPyS7_N6thrust23THRUST_200600_302600_NS4plusIyEEEE10hipError_tPvRmT2_T3_mT4_P12ihipStream_tbEUlT_E_NS1_11comp_targetILNS1_3genE2ELNS1_11target_archE906ELNS1_3gpuE6ELNS1_3repE0EEENS1_30default_config_static_selectorELNS0_4arch9wavefront6targetE0EEEvT1_
	.globl	_ZN7rocprim17ROCPRIM_400000_NS6detail17trampoline_kernelINS0_14default_configENS1_35adjacent_difference_config_selectorILb1EyEEZNS1_24adjacent_difference_implIS3_Lb1ELb0EPyS7_N6thrust23THRUST_200600_302600_NS4plusIyEEEE10hipError_tPvRmT2_T3_mT4_P12ihipStream_tbEUlT_E_NS1_11comp_targetILNS1_3genE2ELNS1_11target_archE906ELNS1_3gpuE6ELNS1_3repE0EEENS1_30default_config_static_selectorELNS0_4arch9wavefront6targetE0EEEvT1_
	.p2align	8
	.type	_ZN7rocprim17ROCPRIM_400000_NS6detail17trampoline_kernelINS0_14default_configENS1_35adjacent_difference_config_selectorILb1EyEEZNS1_24adjacent_difference_implIS3_Lb1ELb0EPyS7_N6thrust23THRUST_200600_302600_NS4plusIyEEEE10hipError_tPvRmT2_T3_mT4_P12ihipStream_tbEUlT_E_NS1_11comp_targetILNS1_3genE2ELNS1_11target_archE906ELNS1_3gpuE6ELNS1_3repE0EEENS1_30default_config_static_selectorELNS0_4arch9wavefront6targetE0EEEvT1_,@function
_ZN7rocprim17ROCPRIM_400000_NS6detail17trampoline_kernelINS0_14default_configENS1_35adjacent_difference_config_selectorILb1EyEEZNS1_24adjacent_difference_implIS3_Lb1ELb0EPyS7_N6thrust23THRUST_200600_302600_NS4plusIyEEEE10hipError_tPvRmT2_T3_mT4_P12ihipStream_tbEUlT_E_NS1_11comp_targetILNS1_3genE2ELNS1_11target_archE906ELNS1_3gpuE6ELNS1_3repE0EEENS1_30default_config_static_selectorELNS0_4arch9wavefront6targetE0EEEvT1_: ; @_ZN7rocprim17ROCPRIM_400000_NS6detail17trampoline_kernelINS0_14default_configENS1_35adjacent_difference_config_selectorILb1EyEEZNS1_24adjacent_difference_implIS3_Lb1ELb0EPyS7_N6thrust23THRUST_200600_302600_NS4plusIyEEEE10hipError_tPvRmT2_T3_mT4_P12ihipStream_tbEUlT_E_NS1_11comp_targetILNS1_3genE2ELNS1_11target_archE906ELNS1_3gpuE6ELNS1_3repE0EEENS1_30default_config_static_selectorELNS0_4arch9wavefront6targetE0EEEvT1_
; %bb.0:
	.section	.rodata,"a",@progbits
	.p2align	6, 0x0
	.amdhsa_kernel _ZN7rocprim17ROCPRIM_400000_NS6detail17trampoline_kernelINS0_14default_configENS1_35adjacent_difference_config_selectorILb1EyEEZNS1_24adjacent_difference_implIS3_Lb1ELb0EPyS7_N6thrust23THRUST_200600_302600_NS4plusIyEEEE10hipError_tPvRmT2_T3_mT4_P12ihipStream_tbEUlT_E_NS1_11comp_targetILNS1_3genE2ELNS1_11target_archE906ELNS1_3gpuE6ELNS1_3repE0EEENS1_30default_config_static_selectorELNS0_4arch9wavefront6targetE0EEEvT1_
		.amdhsa_group_segment_fixed_size 0
		.amdhsa_private_segment_fixed_size 0
		.amdhsa_kernarg_size 56
		.amdhsa_user_sgpr_count 15
		.amdhsa_user_sgpr_dispatch_ptr 0
		.amdhsa_user_sgpr_queue_ptr 0
		.amdhsa_user_sgpr_kernarg_segment_ptr 1
		.amdhsa_user_sgpr_dispatch_id 0
		.amdhsa_user_sgpr_private_segment_size 0
		.amdhsa_wavefront_size32 1
		.amdhsa_uses_dynamic_stack 0
		.amdhsa_enable_private_segment 0
		.amdhsa_system_sgpr_workgroup_id_x 1
		.amdhsa_system_sgpr_workgroup_id_y 0
		.amdhsa_system_sgpr_workgroup_id_z 0
		.amdhsa_system_sgpr_workgroup_info 0
		.amdhsa_system_vgpr_workitem_id 0
		.amdhsa_next_free_vgpr 1
		.amdhsa_next_free_sgpr 1
		.amdhsa_reserve_vcc 0
		.amdhsa_float_round_mode_32 0
		.amdhsa_float_round_mode_16_64 0
		.amdhsa_float_denorm_mode_32 3
		.amdhsa_float_denorm_mode_16_64 3
		.amdhsa_dx10_clamp 1
		.amdhsa_ieee_mode 1
		.amdhsa_fp16_overflow 0
		.amdhsa_workgroup_processor_mode 1
		.amdhsa_memory_ordered 1
		.amdhsa_forward_progress 0
		.amdhsa_shared_vgpr_count 0
		.amdhsa_exception_fp_ieee_invalid_op 0
		.amdhsa_exception_fp_denorm_src 0
		.amdhsa_exception_fp_ieee_div_zero 0
		.amdhsa_exception_fp_ieee_overflow 0
		.amdhsa_exception_fp_ieee_underflow 0
		.amdhsa_exception_fp_ieee_inexact 0
		.amdhsa_exception_int_div_zero 0
	.end_amdhsa_kernel
	.section	.text._ZN7rocprim17ROCPRIM_400000_NS6detail17trampoline_kernelINS0_14default_configENS1_35adjacent_difference_config_selectorILb1EyEEZNS1_24adjacent_difference_implIS3_Lb1ELb0EPyS7_N6thrust23THRUST_200600_302600_NS4plusIyEEEE10hipError_tPvRmT2_T3_mT4_P12ihipStream_tbEUlT_E_NS1_11comp_targetILNS1_3genE2ELNS1_11target_archE906ELNS1_3gpuE6ELNS1_3repE0EEENS1_30default_config_static_selectorELNS0_4arch9wavefront6targetE0EEEvT1_,"axG",@progbits,_ZN7rocprim17ROCPRIM_400000_NS6detail17trampoline_kernelINS0_14default_configENS1_35adjacent_difference_config_selectorILb1EyEEZNS1_24adjacent_difference_implIS3_Lb1ELb0EPyS7_N6thrust23THRUST_200600_302600_NS4plusIyEEEE10hipError_tPvRmT2_T3_mT4_P12ihipStream_tbEUlT_E_NS1_11comp_targetILNS1_3genE2ELNS1_11target_archE906ELNS1_3gpuE6ELNS1_3repE0EEENS1_30default_config_static_selectorELNS0_4arch9wavefront6targetE0EEEvT1_,comdat
.Lfunc_end151:
	.size	_ZN7rocprim17ROCPRIM_400000_NS6detail17trampoline_kernelINS0_14default_configENS1_35adjacent_difference_config_selectorILb1EyEEZNS1_24adjacent_difference_implIS3_Lb1ELb0EPyS7_N6thrust23THRUST_200600_302600_NS4plusIyEEEE10hipError_tPvRmT2_T3_mT4_P12ihipStream_tbEUlT_E_NS1_11comp_targetILNS1_3genE2ELNS1_11target_archE906ELNS1_3gpuE6ELNS1_3repE0EEENS1_30default_config_static_selectorELNS0_4arch9wavefront6targetE0EEEvT1_, .Lfunc_end151-_ZN7rocprim17ROCPRIM_400000_NS6detail17trampoline_kernelINS0_14default_configENS1_35adjacent_difference_config_selectorILb1EyEEZNS1_24adjacent_difference_implIS3_Lb1ELb0EPyS7_N6thrust23THRUST_200600_302600_NS4plusIyEEEE10hipError_tPvRmT2_T3_mT4_P12ihipStream_tbEUlT_E_NS1_11comp_targetILNS1_3genE2ELNS1_11target_archE906ELNS1_3gpuE6ELNS1_3repE0EEENS1_30default_config_static_selectorELNS0_4arch9wavefront6targetE0EEEvT1_
                                        ; -- End function
	.section	.AMDGPU.csdata,"",@progbits
; Kernel info:
; codeLenInByte = 0
; NumSgprs: 0
; NumVgprs: 0
; ScratchSize: 0
; MemoryBound: 0
; FloatMode: 240
; IeeeMode: 1
; LDSByteSize: 0 bytes/workgroup (compile time only)
; SGPRBlocks: 0
; VGPRBlocks: 0
; NumSGPRsForWavesPerEU: 1
; NumVGPRsForWavesPerEU: 1
; Occupancy: 16
; WaveLimiterHint : 0
; COMPUTE_PGM_RSRC2:SCRATCH_EN: 0
; COMPUTE_PGM_RSRC2:USER_SGPR: 15
; COMPUTE_PGM_RSRC2:TRAP_HANDLER: 0
; COMPUTE_PGM_RSRC2:TGID_X_EN: 1
; COMPUTE_PGM_RSRC2:TGID_Y_EN: 0
; COMPUTE_PGM_RSRC2:TGID_Z_EN: 0
; COMPUTE_PGM_RSRC2:TIDIG_COMP_CNT: 0
	.section	.text._ZN7rocprim17ROCPRIM_400000_NS6detail17trampoline_kernelINS0_14default_configENS1_35adjacent_difference_config_selectorILb1EyEEZNS1_24adjacent_difference_implIS3_Lb1ELb0EPyS7_N6thrust23THRUST_200600_302600_NS4plusIyEEEE10hipError_tPvRmT2_T3_mT4_P12ihipStream_tbEUlT_E_NS1_11comp_targetILNS1_3genE9ELNS1_11target_archE1100ELNS1_3gpuE3ELNS1_3repE0EEENS1_30default_config_static_selectorELNS0_4arch9wavefront6targetE0EEEvT1_,"axG",@progbits,_ZN7rocprim17ROCPRIM_400000_NS6detail17trampoline_kernelINS0_14default_configENS1_35adjacent_difference_config_selectorILb1EyEEZNS1_24adjacent_difference_implIS3_Lb1ELb0EPyS7_N6thrust23THRUST_200600_302600_NS4plusIyEEEE10hipError_tPvRmT2_T3_mT4_P12ihipStream_tbEUlT_E_NS1_11comp_targetILNS1_3genE9ELNS1_11target_archE1100ELNS1_3gpuE3ELNS1_3repE0EEENS1_30default_config_static_selectorELNS0_4arch9wavefront6targetE0EEEvT1_,comdat
	.protected	_ZN7rocprim17ROCPRIM_400000_NS6detail17trampoline_kernelINS0_14default_configENS1_35adjacent_difference_config_selectorILb1EyEEZNS1_24adjacent_difference_implIS3_Lb1ELb0EPyS7_N6thrust23THRUST_200600_302600_NS4plusIyEEEE10hipError_tPvRmT2_T3_mT4_P12ihipStream_tbEUlT_E_NS1_11comp_targetILNS1_3genE9ELNS1_11target_archE1100ELNS1_3gpuE3ELNS1_3repE0EEENS1_30default_config_static_selectorELNS0_4arch9wavefront6targetE0EEEvT1_ ; -- Begin function _ZN7rocprim17ROCPRIM_400000_NS6detail17trampoline_kernelINS0_14default_configENS1_35adjacent_difference_config_selectorILb1EyEEZNS1_24adjacent_difference_implIS3_Lb1ELb0EPyS7_N6thrust23THRUST_200600_302600_NS4plusIyEEEE10hipError_tPvRmT2_T3_mT4_P12ihipStream_tbEUlT_E_NS1_11comp_targetILNS1_3genE9ELNS1_11target_archE1100ELNS1_3gpuE3ELNS1_3repE0EEENS1_30default_config_static_selectorELNS0_4arch9wavefront6targetE0EEEvT1_
	.globl	_ZN7rocprim17ROCPRIM_400000_NS6detail17trampoline_kernelINS0_14default_configENS1_35adjacent_difference_config_selectorILb1EyEEZNS1_24adjacent_difference_implIS3_Lb1ELb0EPyS7_N6thrust23THRUST_200600_302600_NS4plusIyEEEE10hipError_tPvRmT2_T3_mT4_P12ihipStream_tbEUlT_E_NS1_11comp_targetILNS1_3genE9ELNS1_11target_archE1100ELNS1_3gpuE3ELNS1_3repE0EEENS1_30default_config_static_selectorELNS0_4arch9wavefront6targetE0EEEvT1_
	.p2align	8
	.type	_ZN7rocprim17ROCPRIM_400000_NS6detail17trampoline_kernelINS0_14default_configENS1_35adjacent_difference_config_selectorILb1EyEEZNS1_24adjacent_difference_implIS3_Lb1ELb0EPyS7_N6thrust23THRUST_200600_302600_NS4plusIyEEEE10hipError_tPvRmT2_T3_mT4_P12ihipStream_tbEUlT_E_NS1_11comp_targetILNS1_3genE9ELNS1_11target_archE1100ELNS1_3gpuE3ELNS1_3repE0EEENS1_30default_config_static_selectorELNS0_4arch9wavefront6targetE0EEEvT1_,@function
_ZN7rocprim17ROCPRIM_400000_NS6detail17trampoline_kernelINS0_14default_configENS1_35adjacent_difference_config_selectorILb1EyEEZNS1_24adjacent_difference_implIS3_Lb1ELb0EPyS7_N6thrust23THRUST_200600_302600_NS4plusIyEEEE10hipError_tPvRmT2_T3_mT4_P12ihipStream_tbEUlT_E_NS1_11comp_targetILNS1_3genE9ELNS1_11target_archE1100ELNS1_3gpuE3ELNS1_3repE0EEENS1_30default_config_static_selectorELNS0_4arch9wavefront6targetE0EEEvT1_: ; @_ZN7rocprim17ROCPRIM_400000_NS6detail17trampoline_kernelINS0_14default_configENS1_35adjacent_difference_config_selectorILb1EyEEZNS1_24adjacent_difference_implIS3_Lb1ELb0EPyS7_N6thrust23THRUST_200600_302600_NS4plusIyEEEE10hipError_tPvRmT2_T3_mT4_P12ihipStream_tbEUlT_E_NS1_11comp_targetILNS1_3genE9ELNS1_11target_archE1100ELNS1_3gpuE3ELNS1_3repE0EEENS1_30default_config_static_selectorELNS0_4arch9wavefront6targetE0EEEvT1_
; %bb.0:
	s_load_b256 s[4:11], s[0:1], 0x0
	s_mov_b32 s2, 0x411a7a30
	s_mov_b32 s16, s15
	s_waitcnt lgkmcnt(0)
	s_lshl_b64 s[6:7], s[6:7], 3
	s_delay_alu instid0(SALU_CYCLE_1) | instskip(SKIP_4) | instid1(VALU_DEP_1)
	s_add_u32 s23, s4, s6
	s_addc_u32 s24, s5, s7
	s_add_u32 s2, 0x76, s2
	s_addc_u32 s3, 0, 0
	v_add_co_u32 v1, s2, 0x20000000, s2
	s_cmp_lg_u32 s2, 0
	s_addc_u32 s3, s3, 0x11a7b9
	s_delay_alu instid0(VALU_DEP_1) | instskip(SKIP_1) | instid1(VALU_DEP_1)
	v_readfirstlane_b32 s2, v1
	s_mul_i32 s4, s3, 0xfffff180
	s_mul_hi_u32 s5, s2, 0xfffff180
	s_mul_i32 s12, s2, 0xfffff180
	s_sub_i32 s5, s5, s2
	s_mul_hi_u32 s13, s2, s12
	s_add_i32 s5, s5, s4
	s_mul_hi_u32 s14, s3, s12
	s_mul_i32 s4, s3, s12
	s_mul_hi_u32 s12, s2, s5
	s_mul_i32 s2, s2, s5
	s_mul_hi_u32 s15, s3, s5
	s_add_u32 s2, s13, s2
	s_addc_u32 s12, 0, s12
	s_add_u32 s2, s2, s4
	s_mul_i32 s5, s3, s5
	s_addc_u32 s2, s12, s14
	s_addc_u32 s4, s15, 0
	s_add_u32 s2, s2, s5
	s_addc_u32 s4, 0, s4
	v_add_co_u32 v1, s2, v1, s2
	s_delay_alu instid0(VALU_DEP_1) | instskip(SKIP_1) | instid1(VALU_DEP_1)
	s_cmp_lg_u32 s2, 0
	s_addc_u32 s2, s3, s4
	v_readfirstlane_b32 s3, v1
	s_mul_i32 s5, s10, s2
	s_mul_hi_u32 s4, s10, s2
	s_mul_hi_u32 s12, s11, s2
	s_mul_i32 s2, s11, s2
	s_mul_hi_u32 s13, s10, s3
	s_mul_hi_u32 s14, s11, s3
	s_mul_i32 s3, s11, s3
	s_add_u32 s5, s13, s5
	s_addc_u32 s4, 0, s4
	s_add_u32 s3, s5, s3
	s_addc_u32 s3, s4, s14
	s_addc_u32 s4, s12, 0
	s_add_u32 s5, s3, s2
	s_addc_u32 s4, 0, s4
	s_mul_i32 s3, s5, 0xe80
	s_add_u32 s2, s5, 1
	v_sub_co_u32 v1, s3, s10, s3
	s_mul_hi_u32 s12, s5, 0xe80
	s_addc_u32 s13, s4, 0
	s_mul_i32 s14, s4, 0xe80
	s_delay_alu instid0(VALU_DEP_1)
	v_subrev_co_u32 v2, s15, 0xe80, v1
	s_add_u32 s17, s5, 2
	s_addc_u32 s18, s4, 0
	s_add_i32 s12, s12, s14
	s_cmp_lg_u32 s3, 0
	v_readfirstlane_b32 s3, v2
	s_subb_u32 s12, s11, s12
	s_cmp_lg_u32 s15, 0
	s_subb_u32 s14, s12, 0
	s_delay_alu instid0(VALU_DEP_1) | instskip(SKIP_4) | instid1(SALU_CYCLE_1)
	s_cmpk_gt_u32 s3, 0xe7f
	s_cselect_b32 s3, -1, 0
	s_cmp_eq_u32 s14, 0
	v_readfirstlane_b32 s14, v1
	s_cselect_b32 s3, s3, -1
	s_cmp_lg_u32 s3, 0
	s_cselect_b32 s15, s17, s2
	s_cselect_b32 s13, s18, s13
	s_cmpk_gt_u32 s14, 0xe7f
	s_mov_b32 s17, 0
	s_cselect_b32 s2, -1, 0
	s_cmp_eq_u32 s12, 0
	s_cselect_b32 s2, s2, -1
	s_delay_alu instid0(SALU_CYCLE_1)
	s_cmp_lg_u32 s2, 0
	s_load_b128 s[0:3], s[0:1], 0x28
	s_cselect_b32 s13, s13, s4
	s_cselect_b32 s12, s15, s5
	s_mul_i32 s4, s13, 0xe80
	s_mul_hi_u32 s5, s12, 0xe80
	s_mul_i32 s14, s12, 0xe80
	s_add_i32 s5, s5, s4
	s_sub_u32 s4, s10, s14
	s_subb_u32 s5, s11, s5
	s_delay_alu instid0(SALU_CYCLE_1) | instskip(SKIP_2) | instid1(SALU_CYCLE_1)
	s_cmp_lg_u64 s[4:5], 0
	s_mov_b32 s5, -1
	s_cselect_b32 s4, -1, 0
	v_cndmask_b32_e64 v1, 0, 1, s4
	s_delay_alu instid0(VALU_DEP_1) | instskip(NEXT) | instid1(VALU_DEP_1)
	v_readfirstlane_b32 s4, v1
	s_add_u32 s12, s12, s4
	s_addc_u32 s13, s13, 0
	s_waitcnt lgkmcnt(0)
	s_add_u32 s14, s2, s16
	s_addc_u32 s15, s3, 0
	s_add_u32 s18, s12, -1
	s_addc_u32 s19, s13, -1
	s_mul_i32 s4, s16, 0xe80
	v_cmp_ge_u64_e64 s22, s[14:15], s[18:19]
	s_mul_i32 s11, s18, 0xfffff180
	s_delay_alu instid0(VALU_DEP_1)
	s_and_b32 vcc_lo, exec_lo, s22
	s_cbranch_vccz .LBB152_60
; %bb.1:
	s_mov_b32 s5, s17
	s_add_i32 s25, s11, s10
	s_lshl_b64 s[20:21], s[4:5], 3
	s_mov_b32 s5, exec_lo
	s_add_u32 s20, s23, s20
	s_addc_u32 s21, s24, s21
                                        ; implicit-def: $vgpr1_vgpr2
	v_cmpx_gt_u32_e64 s25, v0
	s_cbranch_execz .LBB152_3
; %bb.2:
	v_lshlrev_b32_e32 v1, 3, v0
	global_load_b64 v[1:2], v1, s[20:21]
.LBB152_3:
	s_or_b32 exec_lo, exec_lo, s5
	v_or_b32_e32 v3, 0x80, v0
	s_delay_alu instid0(VALU_DEP_1)
	v_cmp_gt_u32_e32 vcc_lo, s25, v3
                                        ; implicit-def: $vgpr3_vgpr4
	s_and_saveexec_b32 s5, vcc_lo
	s_cbranch_execz .LBB152_5
; %bb.4:
	v_lshlrev_b32_e32 v3, 3, v0
	global_load_b64 v[3:4], v3, s[20:21] offset:1024
.LBB152_5:
	s_or_b32 exec_lo, exec_lo, s5
	v_or_b32_e32 v5, 0x100, v0
	s_delay_alu instid0(VALU_DEP_1)
	v_cmp_gt_u32_e32 vcc_lo, s25, v5
                                        ; implicit-def: $vgpr5_vgpr6
	s_and_saveexec_b32 s5, vcc_lo
	s_cbranch_execz .LBB152_7
; %bb.6:
	v_lshlrev_b32_e32 v5, 3, v0
	global_load_b64 v[5:6], v5, s[20:21] offset:2048
.LBB152_7:
	s_or_b32 exec_lo, exec_lo, s5
	v_or_b32_e32 v7, 0x180, v0
	s_delay_alu instid0(VALU_DEP_1)
	v_cmp_gt_u32_e32 vcc_lo, s25, v7
                                        ; implicit-def: $vgpr7_vgpr8
	s_and_saveexec_b32 s5, vcc_lo
	s_cbranch_execz .LBB152_9
; %bb.8:
	v_lshlrev_b32_e32 v7, 3, v0
	global_load_b64 v[7:8], v7, s[20:21] offset:3072
.LBB152_9:
	s_or_b32 exec_lo, exec_lo, s5
	v_or_b32_e32 v11, 0x200, v0
	s_mov_b32 s5, exec_lo
                                        ; implicit-def: $vgpr9_vgpr10
	s_delay_alu instid0(VALU_DEP_1)
	v_cmpx_gt_u32_e64 s25, v11
	s_cbranch_execz .LBB152_11
; %bb.10:
	v_lshlrev_b32_e32 v9, 3, v11
	global_load_b64 v[9:10], v9, s[20:21]
.LBB152_11:
	s_or_b32 exec_lo, exec_lo, s5
	v_or_b32_e32 v13, 0x280, v0
	s_mov_b32 s5, exec_lo
                                        ; implicit-def: $vgpr11_vgpr12
	s_delay_alu instid0(VALU_DEP_1)
	v_cmpx_gt_u32_e64 s25, v13
	s_cbranch_execz .LBB152_13
; %bb.12:
	v_lshlrev_b32_e32 v11, 3, v13
	global_load_b64 v[11:12], v11, s[20:21]
.LBB152_13:
	s_or_b32 exec_lo, exec_lo, s5
	v_or_b32_e32 v15, 0x300, v0
	s_mov_b32 s5, exec_lo
                                        ; implicit-def: $vgpr13_vgpr14
	s_delay_alu instid0(VALU_DEP_1)
	v_cmpx_gt_u32_e64 s25, v15
	s_cbranch_execz .LBB152_15
; %bb.14:
	v_lshlrev_b32_e32 v13, 3, v15
	global_load_b64 v[13:14], v13, s[20:21]
.LBB152_15:
	s_or_b32 exec_lo, exec_lo, s5
	v_or_b32_e32 v17, 0x380, v0
	s_mov_b32 s5, exec_lo
                                        ; implicit-def: $vgpr15_vgpr16
	s_delay_alu instid0(VALU_DEP_1)
	v_cmpx_gt_u32_e64 s25, v17
	s_cbranch_execz .LBB152_17
; %bb.16:
	v_lshlrev_b32_e32 v15, 3, v17
	global_load_b64 v[15:16], v15, s[20:21]
.LBB152_17:
	s_or_b32 exec_lo, exec_lo, s5
	v_or_b32_e32 v19, 0x400, v0
	s_mov_b32 s5, exec_lo
                                        ; implicit-def: $vgpr17_vgpr18
	s_delay_alu instid0(VALU_DEP_1)
	v_cmpx_gt_u32_e64 s25, v19
	s_cbranch_execz .LBB152_19
; %bb.18:
	v_lshlrev_b32_e32 v17, 3, v19
	global_load_b64 v[17:18], v17, s[20:21]
.LBB152_19:
	s_or_b32 exec_lo, exec_lo, s5
	v_or_b32_e32 v21, 0x480, v0
	s_mov_b32 s5, exec_lo
                                        ; implicit-def: $vgpr19_vgpr20
	s_delay_alu instid0(VALU_DEP_1)
	v_cmpx_gt_u32_e64 s25, v21
	s_cbranch_execz .LBB152_21
; %bb.20:
	v_lshlrev_b32_e32 v19, 3, v21
	global_load_b64 v[19:20], v19, s[20:21]
.LBB152_21:
	s_or_b32 exec_lo, exec_lo, s5
	v_or_b32_e32 v23, 0x500, v0
	s_mov_b32 s5, exec_lo
                                        ; implicit-def: $vgpr21_vgpr22
	s_delay_alu instid0(VALU_DEP_1)
	v_cmpx_gt_u32_e64 s25, v23
	s_cbranch_execz .LBB152_23
; %bb.22:
	v_lshlrev_b32_e32 v21, 3, v23
	global_load_b64 v[21:22], v21, s[20:21]
.LBB152_23:
	s_or_b32 exec_lo, exec_lo, s5
	v_or_b32_e32 v25, 0x580, v0
	s_mov_b32 s5, exec_lo
                                        ; implicit-def: $vgpr23_vgpr24
	s_delay_alu instid0(VALU_DEP_1)
	v_cmpx_gt_u32_e64 s25, v25
	s_cbranch_execz .LBB152_25
; %bb.24:
	v_lshlrev_b32_e32 v23, 3, v25
	global_load_b64 v[23:24], v23, s[20:21]
.LBB152_25:
	s_or_b32 exec_lo, exec_lo, s5
	v_or_b32_e32 v27, 0x600, v0
	s_mov_b32 s5, exec_lo
                                        ; implicit-def: $vgpr25_vgpr26
	s_delay_alu instid0(VALU_DEP_1)
	v_cmpx_gt_u32_e64 s25, v27
	s_cbranch_execz .LBB152_27
; %bb.26:
	v_lshlrev_b32_e32 v25, 3, v27
	global_load_b64 v[25:26], v25, s[20:21]
.LBB152_27:
	s_or_b32 exec_lo, exec_lo, s5
	v_or_b32_e32 v29, 0x680, v0
	s_mov_b32 s5, exec_lo
                                        ; implicit-def: $vgpr27_vgpr28
	s_delay_alu instid0(VALU_DEP_1)
	v_cmpx_gt_u32_e64 s25, v29
	s_cbranch_execz .LBB152_29
; %bb.28:
	v_lshlrev_b32_e32 v27, 3, v29
	global_load_b64 v[27:28], v27, s[20:21]
.LBB152_29:
	s_or_b32 exec_lo, exec_lo, s5
	v_or_b32_e32 v31, 0x700, v0
	s_mov_b32 s5, exec_lo
                                        ; implicit-def: $vgpr29_vgpr30
	s_delay_alu instid0(VALU_DEP_1)
	v_cmpx_gt_u32_e64 s25, v31
	s_cbranch_execz .LBB152_31
; %bb.30:
	v_lshlrev_b32_e32 v29, 3, v31
	global_load_b64 v[29:30], v29, s[20:21]
.LBB152_31:
	s_or_b32 exec_lo, exec_lo, s5
	v_or_b32_e32 v33, 0x780, v0
	s_mov_b32 s5, exec_lo
                                        ; implicit-def: $vgpr31_vgpr32
	s_delay_alu instid0(VALU_DEP_1)
	v_cmpx_gt_u32_e64 s25, v33
	s_cbranch_execz .LBB152_33
; %bb.32:
	v_lshlrev_b32_e32 v31, 3, v33
	global_load_b64 v[31:32], v31, s[20:21]
.LBB152_33:
	s_or_b32 exec_lo, exec_lo, s5
	v_or_b32_e32 v35, 0x800, v0
	s_mov_b32 s5, exec_lo
                                        ; implicit-def: $vgpr33_vgpr34
	s_delay_alu instid0(VALU_DEP_1)
	v_cmpx_gt_u32_e64 s25, v35
	s_cbranch_execz .LBB152_35
; %bb.34:
	v_lshlrev_b32_e32 v33, 3, v35
	global_load_b64 v[33:34], v33, s[20:21]
.LBB152_35:
	s_or_b32 exec_lo, exec_lo, s5
	v_or_b32_e32 v37, 0x880, v0
	s_mov_b32 s5, exec_lo
                                        ; implicit-def: $vgpr35_vgpr36
	s_delay_alu instid0(VALU_DEP_1)
	v_cmpx_gt_u32_e64 s25, v37
	s_cbranch_execz .LBB152_37
; %bb.36:
	v_lshlrev_b32_e32 v35, 3, v37
	global_load_b64 v[35:36], v35, s[20:21]
.LBB152_37:
	s_or_b32 exec_lo, exec_lo, s5
	v_or_b32_e32 v39, 0x900, v0
	s_mov_b32 s5, exec_lo
                                        ; implicit-def: $vgpr37_vgpr38
	s_delay_alu instid0(VALU_DEP_1)
	v_cmpx_gt_u32_e64 s25, v39
	s_cbranch_execz .LBB152_39
; %bb.38:
	v_lshlrev_b32_e32 v37, 3, v39
	global_load_b64 v[37:38], v37, s[20:21]
.LBB152_39:
	s_or_b32 exec_lo, exec_lo, s5
	v_or_b32_e32 v41, 0x980, v0
	s_mov_b32 s5, exec_lo
                                        ; implicit-def: $vgpr39_vgpr40
	s_delay_alu instid0(VALU_DEP_1)
	v_cmpx_gt_u32_e64 s25, v41
	s_cbranch_execz .LBB152_41
; %bb.40:
	v_lshlrev_b32_e32 v39, 3, v41
	global_load_b64 v[39:40], v39, s[20:21]
.LBB152_41:
	s_or_b32 exec_lo, exec_lo, s5
	v_or_b32_e32 v43, 0xa00, v0
	s_mov_b32 s5, exec_lo
                                        ; implicit-def: $vgpr41_vgpr42
	s_delay_alu instid0(VALU_DEP_1)
	v_cmpx_gt_u32_e64 s25, v43
	s_cbranch_execz .LBB152_43
; %bb.42:
	v_lshlrev_b32_e32 v41, 3, v43
	global_load_b64 v[41:42], v41, s[20:21]
.LBB152_43:
	s_or_b32 exec_lo, exec_lo, s5
	v_or_b32_e32 v45, 0xa80, v0
	s_mov_b32 s5, exec_lo
                                        ; implicit-def: $vgpr43_vgpr44
	s_delay_alu instid0(VALU_DEP_1)
	v_cmpx_gt_u32_e64 s25, v45
	s_cbranch_execz .LBB152_45
; %bb.44:
	v_lshlrev_b32_e32 v43, 3, v45
	global_load_b64 v[43:44], v43, s[20:21]
.LBB152_45:
	s_or_b32 exec_lo, exec_lo, s5
	v_or_b32_e32 v47, 0xb00, v0
	s_mov_b32 s5, exec_lo
                                        ; implicit-def: $vgpr45_vgpr46
	s_delay_alu instid0(VALU_DEP_1)
	v_cmpx_gt_u32_e64 s25, v47
	s_cbranch_execz .LBB152_47
; %bb.46:
	v_lshlrev_b32_e32 v45, 3, v47
	global_load_b64 v[45:46], v45, s[20:21]
.LBB152_47:
	s_or_b32 exec_lo, exec_lo, s5
	v_or_b32_e32 v49, 0xb80, v0
	s_mov_b32 s5, exec_lo
                                        ; implicit-def: $vgpr47_vgpr48
	s_delay_alu instid0(VALU_DEP_1)
	v_cmpx_gt_u32_e64 s25, v49
	s_cbranch_execz .LBB152_49
; %bb.48:
	v_lshlrev_b32_e32 v47, 3, v49
	global_load_b64 v[47:48], v47, s[20:21]
.LBB152_49:
	s_or_b32 exec_lo, exec_lo, s5
	v_or_b32_e32 v51, 0xc00, v0
	s_mov_b32 s5, exec_lo
                                        ; implicit-def: $vgpr49_vgpr50
	s_delay_alu instid0(VALU_DEP_1)
	v_cmpx_gt_u32_e64 s25, v51
	s_cbranch_execz .LBB152_51
; %bb.50:
	v_lshlrev_b32_e32 v49, 3, v51
	global_load_b64 v[49:50], v49, s[20:21]
.LBB152_51:
	s_or_b32 exec_lo, exec_lo, s5
	v_or_b32_e32 v53, 0xc80, v0
	s_mov_b32 s5, exec_lo
                                        ; implicit-def: $vgpr51_vgpr52
	s_delay_alu instid0(VALU_DEP_1)
	v_cmpx_gt_u32_e64 s25, v53
	s_cbranch_execz .LBB152_53
; %bb.52:
	v_lshlrev_b32_e32 v51, 3, v53
	global_load_b64 v[51:52], v51, s[20:21]
.LBB152_53:
	s_or_b32 exec_lo, exec_lo, s5
	v_or_b32_e32 v55, 0xd00, v0
	s_mov_b32 s5, exec_lo
                                        ; implicit-def: $vgpr53_vgpr54
	s_delay_alu instid0(VALU_DEP_1)
	v_cmpx_gt_u32_e64 s25, v55
	s_cbranch_execz .LBB152_55
; %bb.54:
	v_lshlrev_b32_e32 v53, 3, v55
	global_load_b64 v[53:54], v53, s[20:21]
.LBB152_55:
	s_or_b32 exec_lo, exec_lo, s5
	v_or_b32_e32 v57, 0xd80, v0
	s_mov_b32 s5, exec_lo
                                        ; implicit-def: $vgpr55_vgpr56
	s_delay_alu instid0(VALU_DEP_1)
	v_cmpx_gt_u32_e64 s25, v57
	s_cbranch_execz .LBB152_57
; %bb.56:
	v_lshlrev_b32_e32 v55, 3, v57
	global_load_b64 v[55:56], v55, s[20:21]
.LBB152_57:
	s_or_b32 exec_lo, exec_lo, s5
	v_or_b32_e32 v59, 0xe00, v0
	s_mov_b32 s5, exec_lo
                                        ; implicit-def: $vgpr57_vgpr58
	s_delay_alu instid0(VALU_DEP_1)
	v_cmpx_gt_u32_e64 s25, v59
	s_cbranch_execz .LBB152_59
; %bb.58:
	v_lshlrev_b32_e32 v57, 3, v59
	global_load_b64 v[57:58], v57, s[20:21]
.LBB152_59:
	s_or_b32 exec_lo, exec_lo, s5
	v_lshlrev_b32_e32 v59, 3, v0
	s_mov_b32 s5, 0
	s_waitcnt vmcnt(0)
	ds_store_2addr_stride64_b64 v59, v[1:2], v[3:4] offset1:2
	ds_store_2addr_stride64_b64 v59, v[5:6], v[7:8] offset0:4 offset1:6
	ds_store_2addr_stride64_b64 v59, v[9:10], v[11:12] offset0:8 offset1:10
	;; [unrolled: 1-line block ×13, first 2 shown]
	ds_store_b64 v59, v[57:58] offset:28672
	s_waitcnt lgkmcnt(0)
	s_barrier
.LBB152_60:
	v_lshlrev_b32_e32 v117, 3, v0
	s_and_b32 vcc_lo, exec_lo, s5
	s_cbranch_vccz .LBB152_62
; %bb.61:
	s_mov_b32 s5, 0
	s_delay_alu instid0(SALU_CYCLE_1) | instskip(NEXT) | instid1(SALU_CYCLE_1)
	s_lshl_b64 s[20:21], s[4:5], 3
	s_add_u32 s20, s23, s20
	s_addc_u32 s21, s24, s21
	v_add_co_u32 v49, s5, s20, v117
	s_delay_alu instid0(VALU_DEP_1)
	v_add_co_ci_u32_e64 v50, null, s21, 0, s5
	s_clause 0x3
	global_load_b64 v[1:2], v117, s[20:21]
	global_load_b64 v[3:4], v117, s[20:21] offset:1024
	global_load_b64 v[5:6], v117, s[20:21] offset:2048
	;; [unrolled: 1-line block ×3, first 2 shown]
	v_add_co_u32 v9, vcc_lo, 0x1000, v49
	v_add_co_ci_u32_e32 v10, vcc_lo, 0, v50, vcc_lo
	v_add_co_u32 v11, vcc_lo, v49, 0x2000
	v_add_co_ci_u32_e32 v12, vcc_lo, 0, v50, vcc_lo
	;; [unrolled: 2-line block ×10, first 2 shown]
	s_clause 0x18
	global_load_b64 v[15:16], v[11:12], off offset:-4096
	global_load_b64 v[17:18], v[9:10], off offset:1024
	global_load_b64 v[19:20], v[9:10], off offset:2048
	;; [unrolled: 1-line block ×12, first 2 shown]
	global_load_b64 v[11:12], v[11:12], off
	global_load_b64 v[43:44], v[25:26], off offset:-4096
	global_load_b64 v[25:26], v[25:26], off
	global_load_b64 v[45:46], v[39:40], off offset:-4096
	global_load_b64 v[39:40], v[39:40], off
	global_load_b64 v[51:52], v[41:42], off offset:1024
	global_load_b64 v[53:54], v[41:42], off offset:2048
	global_load_b64 v[41:42], v[41:42], off offset:3072
	global_load_b64 v[55:56], v[47:48], off offset:1024
	global_load_b64 v[57:58], v[47:48], off offset:2048
	global_load_b64 v[47:48], v[47:48], off offset:3072
	global_load_b64 v[49:50], v[49:50], off
	s_waitcnt vmcnt(27)
	ds_store_2addr_stride64_b64 v117, v[1:2], v[3:4] offset1:2
	s_waitcnt vmcnt(25)
	ds_store_2addr_stride64_b64 v117, v[5:6], v[7:8] offset0:4 offset1:6
	s_waitcnt vmcnt(23)
	ds_store_2addr_stride64_b64 v117, v[15:16], v[17:18] offset0:8 offset1:10
	;; [unrolled: 2-line block ×4, first 2 shown]
	ds_store_2addr_stride64_b64 v117, v[29:30], v[13:14] offset0:20 offset1:22
	s_waitcnt vmcnt(10)
	ds_store_2addr_stride64_b64 v117, v[43:44], v[31:32] offset0:24 offset1:26
	ds_store_2addr_stride64_b64 v117, v[33:34], v[23:24] offset0:28 offset1:30
	s_waitcnt vmcnt(9)
	ds_store_2addr_stride64_b64 v117, v[25:26], v[35:36] offset0:32 offset1:34
	;; [unrolled: 3-line block ×3, first 2 shown]
	s_waitcnt vmcnt(4)
	ds_store_2addr_stride64_b64 v117, v[53:54], v[41:42] offset0:44 offset1:46
	s_waitcnt vmcnt(3)
	ds_store_2addr_stride64_b64 v117, v[39:40], v[55:56] offset0:48 offset1:50
	;; [unrolled: 2-line block ×3, first 2 shown]
	s_waitcnt vmcnt(0)
	ds_store_b64 v117, v[49:50] offset:28672
	s_waitcnt lgkmcnt(0)
	s_barrier
.LBB152_62:
	v_mul_u32_u24_e32 v1, 29, v0
	buffer_gl0_inv
	s_cmp_eq_u64 s[14:15], 0
	v_lshlrev_b32_e32 v53, 3, v1
	ds_load_b64 v[57:58], v53 offset:224
	ds_load_2addr_b64 v[1:4], v53 offset0:26 offset1:27
	ds_load_2addr_b64 v[5:8], v53 offset0:24 offset1:25
	ds_load_2addr_b64 v[9:12], v53 offset1:1
	ds_load_2addr_b64 v[13:16], v53 offset0:2 offset1:3
	ds_load_2addr_b64 v[17:20], v53 offset0:4 offset1:5
	;; [unrolled: 1-line block ×11, first 2 shown]
	s_waitcnt lgkmcnt(0)
	s_barrier
	buffer_gl0_inv
	s_cbranch_scc1 .LBB152_67
; %bb.63:
	s_lshl_b64 s[2:3], s[2:3], 3
	s_delay_alu instid0(SALU_CYCLE_1) | instskip(SKIP_2) | instid1(SALU_CYCLE_1)
	s_add_u32 s2, s0, s2
	s_addc_u32 s3, s1, s3
	s_lshl_b64 s[0:1], s[16:17], 3
	s_add_u32 s0, s2, s0
	s_addc_u32 s1, s3, s1
	s_add_u32 s0, s0, -8
	s_addc_u32 s1, s1, -1
	s_cmp_eq_u64 s[14:15], s[18:19]
	s_load_b64 s[0:1], s[0:1], 0x0
	s_cbranch_scc1 .LBB152_68
; %bb.64:
	s_waitcnt lgkmcnt(0)
	v_dual_mov_b32 v60, s1 :: v_dual_mov_b32 v59, s0
	s_mov_b32 s2, 0
	s_mov_b32 s3, exec_lo
	ds_store_b64 v117, v[57:58]
	s_waitcnt lgkmcnt(0)
	s_barrier
	buffer_gl0_inv
	v_cmpx_ne_u32_e32 0, v0
	s_cbranch_execz .LBB152_66
; %bb.65:
	v_add_nc_u32_e32 v59, -8, v117
	ds_load_b64 v[59:60], v59
.LBB152_66:
	s_or_b32 exec_lo, exec_lo, s3
	s_waitcnt lgkmcnt(0)
	v_add_co_u32 v59, vcc_lo, v59, v9
	v_add_co_ci_u32_e32 v60, vcc_lo, v60, v10, vcc_lo
	s_branch .LBB152_69
.LBB152_67:
                                        ; implicit-def: $vgpr59_vgpr60
                                        ; implicit-def: $vgpr115_vgpr116
                                        ; implicit-def: $vgpr109_vgpr110
                                        ; implicit-def: $vgpr113_vgpr114
                                        ; implicit-def: $vgpr103_vgpr104
                                        ; implicit-def: $vgpr111_vgpr112
                                        ; implicit-def: $vgpr99_vgpr100
                                        ; implicit-def: $vgpr107_vgpr108
                                        ; implicit-def: $vgpr97_vgpr98
                                        ; implicit-def: $vgpr105_vgpr106
                                        ; implicit-def: $vgpr95_vgpr96
                                        ; implicit-def: $vgpr101_vgpr102
                                        ; implicit-def: $vgpr93_vgpr94
                                        ; implicit-def: $vgpr91_vgpr92
                                        ; implicit-def: $vgpr89_vgpr90
                                        ; implicit-def: $vgpr87_vgpr88
                                        ; implicit-def: $vgpr85_vgpr86
                                        ; implicit-def: $vgpr83_vgpr84
                                        ; implicit-def: $vgpr81_vgpr82
                                        ; implicit-def: $vgpr79_vgpr80
                                        ; implicit-def: $vgpr77_vgpr78
                                        ; implicit-def: $vgpr75_vgpr76
                                        ; implicit-def: $vgpr73_vgpr74
                                        ; implicit-def: $vgpr69_vgpr70
                                        ; implicit-def: $vgpr67_vgpr68
                                        ; implicit-def: $vgpr65_vgpr66
                                        ; implicit-def: $vgpr63_vgpr64
                                        ; implicit-def: $vgpr61_vgpr62
                                        ; implicit-def: $vgpr71_vgpr72
	s_branch .LBB152_74
.LBB152_68:
	s_mov_b32 s2, -1
                                        ; implicit-def: $vgpr59_vgpr60
.LBB152_69:
	v_dual_mov_b32 v116, v10 :: v_dual_mov_b32 v115, v9
	v_dual_mov_b32 v110, v12 :: v_dual_mov_b32 v109, v11
	;; [unrolled: 1-line block ×28, first 2 shown]
	s_and_b32 vcc_lo, exec_lo, s2
	s_cbranch_vccz .LBB152_73
; %bb.70:
	v_mul_u32_u24_e32 v109, 29, v0
	s_waitcnt lgkmcnt(0)
	v_dual_mov_b32 v60, s1 :: v_dual_mov_b32 v59, s0
	s_mov_b32 s0, exec_lo
	ds_store_b64 v117, v[57:58]
	s_waitcnt lgkmcnt(0)
	s_barrier
	buffer_gl0_inv
	v_cmpx_ne_u32_e32 0, v0
	s_cbranch_execz .LBB152_72
; %bb.71:
	v_add_nc_u32_e32 v59, -8, v117
	ds_load_b64 v[59:60], v59
.LBB152_72:
	s_or_b32 exec_lo, exec_lo, s0
	v_add_nc_u32_e32 v61, 28, v109
	s_mul_i32 s1, s14, 0xfffff180
	v_add_nc_u32_e32 v63, 26, v109
	s_add_i32 s1, s1, s10
	v_add_nc_u32_e32 v67, 24, v109
	v_cmp_gt_u32_e32 vcc_lo, s1, v61
	v_add_nc_u32_e32 v62, 27, v109
	v_add_nc_u32_e32 v73, 22, v109
	;; [unrolled: 1-line block ×3, first 2 shown]
	v_dual_cndmask_b32 v72, 0, v4 :: v_dual_add_nc_u32 v81, 18, v109
	v_cndmask_b32_e32 v71, 0, v3, vcc_lo
	v_cmp_gt_u32_e32 vcc_lo, s1, v63
	v_add_nc_u32_e32 v85, 16, v109
	v_cmp_gt_u32_e64 s0, s1, v62
	v_add_nc_u32_e32 v89, 14, v109
	v_dual_cndmask_b32 v64, 0, v8 :: v_dual_add_nc_u32 v93, 12, v109
	v_cndmask_b32_e32 v63, 0, v7, vcc_lo
	v_cmp_gt_u32_e32 vcc_lo, s1, v67
	v_add_nc_u32_e32 v65, 25, v109
	v_cndmask_b32_e64 v62, 0, v2, s0
	v_cndmask_b32_e64 v61, 0, v1, s0
	v_dual_cndmask_b32 v68, 0, v56 :: v_dual_add_nc_u32 v79, 19, v109
	v_cndmask_b32_e32 v67, 0, v55, vcc_lo
	v_cmp_gt_u32_e32 vcc_lo, s1, v73
	v_cmp_gt_u32_e64 s0, s1, v65
	v_add_nc_u32_e32 v83, 17, v109
	v_add_nc_u32_e32 v87, 15, v109
	v_dual_cndmask_b32 v74, 0, v52 :: v_dual_add_nc_u32 v91, 13, v109
	v_dual_cndmask_b32 v73, 0, v51 :: v_dual_add_nc_u32 v96, 10, v109
	v_cmp_gt_u32_e32 vcc_lo, s1, v77
	v_cndmask_b32_e64 v66, 0, v6, s0
	v_cndmask_b32_e64 v65, 0, v5, s0
	v_add_nc_u32_e32 v95, 11, v109
	v_dual_cndmask_b32 v78, 0, v48 :: v_dual_add_nc_u32 v97, 8, v109
	v_dual_cndmask_b32 v77, 0, v47 :: v_dual_add_nc_u32 v100, 6, v109
	v_cmp_gt_u32_e32 vcc_lo, s1, v81
	v_add_nc_u32_e32 v69, 23, v109
	v_add_nc_u32_e32 v99, 7, v109
	;; [unrolled: 1-line block ×4, first 2 shown]
	v_dual_cndmask_b32 v82, 0, v44 :: v_dual_cndmask_b32 v81, 0, v43
	v_cmp_gt_u32_e32 vcc_lo, s1, v85
	v_cmp_gt_u32_e64 s0, s1, v69
	v_dual_cndmask_b32 v86, 0, v40 :: v_dual_add_nc_u32 v115, 1, v109
	v_cndmask_b32_e32 v85, 0, v39, vcc_lo
	v_cmp_gt_u32_e32 vcc_lo, s1, v89
	s_delay_alu instid0(VALU_DEP_4) | instskip(SKIP_4) | instid1(VALU_DEP_1)
	v_cndmask_b32_e64 v70, 0, v54, s0
	v_cndmask_b32_e64 v69, 0, v53, s0
	v_dual_cndmask_b32 v90, 0, v36 :: v_dual_cndmask_b32 v89, 0, v35
	v_cmp_gt_u32_e32 vcc_lo, s1, v93
	v_dual_cndmask_b32 v94, 0, v32 :: v_dual_add_nc_u32 v75, 21, v109
	v_cmp_gt_u32_e64 s0, s1, v75
	v_cndmask_b32_e32 v93, 0, v31, vcc_lo
	v_cmp_gt_u32_e32 vcc_lo, s1, v96
	s_delay_alu instid0(VALU_DEP_3) | instskip(SKIP_3) | instid1(VALU_DEP_2)
	v_cndmask_b32_e64 v76, 0, v50, s0
	v_cndmask_b32_e64 v75, 0, v49, s0
	v_cmp_gt_u32_e64 s0, s1, v79
	v_cndmask_b32_e32 v96, 0, v28, vcc_lo
	v_cndmask_b32_e64 v80, 0, v46, s0
	v_cndmask_b32_e64 v79, 0, v45, s0
	v_cmp_gt_u32_e64 s0, s1, v83
	s_delay_alu instid0(VALU_DEP_1) | instskip(SKIP_2) | instid1(VALU_DEP_1)
	v_cndmask_b32_e64 v84, 0, v42, s0
	v_cndmask_b32_e64 v83, 0, v41, s0
	v_cmp_gt_u32_e64 s0, s1, v87
	v_cndmask_b32_e64 v88, 0, v38, s0
	v_cndmask_b32_e64 v87, 0, v37, s0
	v_cmp_gt_u32_e64 s0, s1, v91
	s_delay_alu instid0(VALU_DEP_1) | instskip(SKIP_3) | instid1(VALU_DEP_2)
	v_cndmask_b32_e64 v92, 0, v34, s0
	v_cndmask_b32_e64 v91, 0, v33, s0
	v_cmp_gt_u32_e64 s0, s1, v95
	v_add_nc_u32_e32 v95, 9, v109
	v_cndmask_b32_e64 v102, 0, v30, s0
	v_cndmask_b32_e64 v101, 0, v29, s0
	s_delay_alu instid0(VALU_DEP_3) | instskip(SKIP_2) | instid1(VALU_DEP_3)
	v_cmp_gt_u32_e64 s0, s1, v95
	v_cndmask_b32_e32 v95, 0, v27, vcc_lo
	v_cmp_gt_u32_e32 vcc_lo, s1, v97
	v_cndmask_b32_e64 v106, 0, v26, s0
	v_cndmask_b32_e64 v105, 0, v25, s0
	v_cndmask_b32_e32 v98, 0, v24, vcc_lo
	v_cmp_gt_u32_e64 s0, s1, v99
	v_cndmask_b32_e32 v97, 0, v23, vcc_lo
	v_add_nc_u32_e32 v99, 5, v109
	v_cmp_gt_u32_e32 vcc_lo, s1, v100
	s_delay_alu instid0(VALU_DEP_4) | instskip(SKIP_1) | instid1(VALU_DEP_4)
	v_cndmask_b32_e64 v108, 0, v22, s0
	v_cndmask_b32_e64 v107, 0, v21, s0
	v_cmp_gt_u32_e64 s0, s1, v99
	v_dual_cndmask_b32 v100, 0, v20 :: v_dual_cndmask_b32 v99, 0, v19
	v_cmp_gt_u32_e32 vcc_lo, s1, v103
	s_delay_alu instid0(VALU_DEP_3)
	v_cndmask_b32_e64 v112, 0, v18, s0
	v_cndmask_b32_e64 v111, 0, v17, s0
	v_cmp_gt_u32_e64 s0, s1, v110
	v_dual_cndmask_b32 v104, 0, v16 :: v_dual_cndmask_b32 v103, 0, v15
	v_cmp_gt_u32_e32 vcc_lo, s1, v109
	v_add_nc_u32_e32 v110, 2, v109
	s_delay_alu instid0(VALU_DEP_4)
	v_cndmask_b32_e64 v114, 0, v14, s0
	v_cndmask_b32_e64 v113, 0, v13, s0
	s_waitcnt lgkmcnt(0)
	v_cndmask_b32_e32 v59, 0, v59, vcc_lo
	v_cmp_gt_u32_e64 s0, s1, v110
	v_cmp_gt_u32_e64 s1, s1, v115
	v_cndmask_b32_e32 v60, 0, v60, vcc_lo
	s_delay_alu instid0(VALU_DEP_4) | instskip(NEXT) | instid1(VALU_DEP_4)
	v_add_co_u32 v59, vcc_lo, v59, v9
	v_cndmask_b32_e64 v110, 0, v12, s0
	v_cndmask_b32_e64 v109, 0, v11, s0
	;; [unrolled: 1-line block ×4, first 2 shown]
	v_add_co_ci_u32_e32 v60, vcc_lo, v60, v10, vcc_lo
.LBB152_73:
	s_waitcnt lgkmcnt(0)
	s_cbranch_execnz .LBB152_84
.LBB152_74:
	v_cmp_ne_u32_e32 vcc_lo, 0, v0
	s_cmp_eq_u64 s[12:13], 1
	s_cbranch_scc1 .LBB152_78
; %bb.75:
	v_dual_mov_b32 v60, v10 :: v_dual_mov_b32 v59, v9
	s_mov_b32 s0, 0
	ds_store_b64 v117, v[57:58]
	s_waitcnt lgkmcnt(0)
	s_barrier
	buffer_gl0_inv
	s_and_saveexec_b32 s1, vcc_lo
	s_cbranch_execz .LBB152_77
; %bb.76:
	v_add_nc_u32_e32 v59, -8, v117
	ds_load_b64 v[59:60], v59
	s_waitcnt lgkmcnt(0)
	v_add_co_u32 v59, vcc_lo, v59, v9
	v_add_co_ci_u32_e32 v60, vcc_lo, v60, v10, vcc_lo
.LBB152_77:
	s_or_b32 exec_lo, exec_lo, s1
	s_branch .LBB152_79
.LBB152_78:
	s_mov_b32 s0, -1
                                        ; implicit-def: $vgpr59_vgpr60
.LBB152_79:
	v_dual_mov_b32 v110, v12 :: v_dual_mov_b32 v109, v11
	v_dual_mov_b32 v114, v14 :: v_dual_mov_b32 v113, v13
	;; [unrolled: 1-line block ×27, first 2 shown]
	s_and_not1_b32 vcc_lo, exec_lo, s0
	s_cbranch_vccnz .LBB152_83
; %bb.80:
	v_mad_u32_u24 v59, v0, 29, 28
	v_mad_u32_u24 v60, v0, 29, 27
	;; [unrolled: 1-line block ×3, first 2 shown]
	v_mul_u32_u24_e32 v115, 29, v0
	ds_store_b64 v117, v[57:58]
	v_cmp_gt_u32_e32 vcc_lo, s10, v59
	v_mad_u32_u24 v59, v0, 29, 25
	v_cmp_gt_u32_e64 s0, s10, v60
	v_mad_u32_u24 v60, v0, 29, 24
	v_cmp_gt_u32_e64 s1, s10, v115
	v_dual_cndmask_b32 v72, 0, v4 :: v_dual_cndmask_b32 v71, 0, v3
	v_cmp_gt_u32_e32 vcc_lo, s10, v61
	v_cndmask_b32_e64 v62, 0, v2, s0
	v_cndmask_b32_e64 v61, 0, v1, s0
	v_cmp_gt_u32_e64 s0, s10, v59
	v_mad_u32_u24 v59, v0, 29, 23
	v_dual_cndmask_b32 v64, 0, v8 :: v_dual_cndmask_b32 v63, 0, v7
	v_cmp_gt_u32_e32 vcc_lo, s10, v60
	v_mad_u32_u24 v60, v0, 29, 22
	v_cndmask_b32_e64 v66, 0, v6, s0
	v_cndmask_b32_e64 v65, 0, v5, s0
	v_cmp_gt_u32_e64 s0, s10, v59
	v_mad_u32_u24 v59, v0, 29, 21
	v_dual_cndmask_b32 v68, 0, v56 :: v_dual_cndmask_b32 v67, 0, v55
	v_cmp_gt_u32_e32 vcc_lo, s10, v60
	v_mad_u32_u24 v60, v0, 29, 20
	;; [unrolled: 7-line block ×11, first 2 shown]
	v_cndmask_b32_e64 v112, 0, v18, s0
	v_cndmask_b32_e64 v111, 0, v17, s0
	v_cmp_gt_u32_e64 s0, s10, v59
	v_mad_u32_u24 v59, v0, 29, 1
	v_dual_cndmask_b32 v104, 0, v16 :: v_dual_cndmask_b32 v103, 0, v15
	v_cmp_gt_u32_e32 vcc_lo, s10, v60
	s_delay_alu instid0(VALU_DEP_4)
	v_cndmask_b32_e64 v114, 0, v14, s0
	v_cndmask_b32_e64 v113, 0, v13, s0
	v_cmp_gt_u32_e64 s0, s10, v59
	s_waitcnt lgkmcnt(0)
	v_dual_cndmask_b32 v110, 0, v12 :: v_dual_cndmask_b32 v109, 0, v11
	v_cmp_ne_u32_e32 vcc_lo, 0, v0
	s_delay_alu instid0(VALU_DEP_3) | instskip(SKIP_4) | instid1(SALU_CYCLE_1)
	v_cndmask_b32_e64 v116, 0, v10, s0
	v_cndmask_b32_e64 v115, 0, v9, s0
	s_barrier
	buffer_gl0_inv
	s_and_b32 s1, vcc_lo, s1
	s_and_saveexec_b32 s0, s1
	s_cbranch_execz .LBB152_82
; %bb.81:
	v_add_nc_u32_e32 v59, -8, v117
	ds_load_b64 v[59:60], v59
	s_waitcnt lgkmcnt(0)
	v_add_co_u32 v9, vcc_lo, v59, v9
	v_add_co_ci_u32_e32 v10, vcc_lo, v60, v10, vcc_lo
.LBB152_82:
	s_or_b32 exec_lo, exec_lo, s0
	s_delay_alu instid0(VALU_DEP_1)
	v_dual_mov_b32 v60, v10 :: v_dual_mov_b32 v59, v9
	v_dual_mov_b32 v9, v115 :: v_dual_mov_b32 v10, v116
.LBB152_83:
	s_delay_alu instid0(VALU_DEP_1)
	v_dual_mov_b32 v116, v10 :: v_dual_mov_b32 v115, v9
.LBB152_84:
	s_delay_alu instid0(VALU_DEP_2) | instskip(SKIP_1) | instid1(VALU_DEP_3)
	v_add_co_u32 v57, vcc_lo, v71, v57
	v_add_co_ci_u32_e32 v58, vcc_lo, v72, v58, vcc_lo
	v_add_co_u32 v115, vcc_lo, v115, v11
	s_delay_alu instid0(VALU_DEP_4)
	v_add_co_ci_u32_e32 v116, vcc_lo, v116, v12, vcc_lo
	v_add_co_u32 v109, vcc_lo, v109, v13
	v_add_co_ci_u32_e32 v110, vcc_lo, v110, v14, vcc_lo
	v_add_co_u32 v113, vcc_lo, v113, v15
	;; [unrolled: 2-line block ×26, first 2 shown]
	v_add_co_ci_u32_e32 v62, vcc_lo, v62, v4, vcc_lo
	v_mul_u32_u24_e32 v118, 0xe8, v0
	v_mul_i32_i24_e32 v119, 0xffffff20, v0
	s_add_u32 s1, s8, s6
	s_addc_u32 s0, s9, s7
	s_and_b32 vcc_lo, exec_lo, s22
	s_barrier
	buffer_gl0_inv
	s_cbranch_vccz .LBB152_142
; %bb.85:
	v_mad_u32_u24 v1, 0xe8, v0, v119
	ds_store_2addr_b64 v118, v[59:60], v[115:116] offset1:1
	ds_store_2addr_b64 v118, v[109:110], v[113:114] offset0:2 offset1:3
	ds_store_2addr_b64 v118, v[103:104], v[111:112] offset0:4 offset1:5
	;; [unrolled: 1-line block ×13, first 2 shown]
	ds_store_b64 v118, v[57:58] offset:224
	s_waitcnt lgkmcnt(0)
	s_barrier
	buffer_gl0_inv
	ds_load_2addr_stride64_b64 v[53:56], v1 offset0:2 offset1:4
	ds_load_2addr_stride64_b64 v[49:52], v1 offset0:6 offset1:8
	;; [unrolled: 1-line block ×14, first 2 shown]
	s_mov_b32 s5, 0
	s_add_i32 s11, s11, s10
	s_lshl_b64 s[2:3], s[4:5], 3
	s_delay_alu instid0(SALU_CYCLE_1) | instskip(SKIP_2) | instid1(VALU_DEP_1)
	s_add_u32 s2, s1, s2
	s_addc_u32 s3, s0, s3
	v_add_co_u32 v73, s2, s2, v117
	v_add_co_ci_u32_e64 v74, null, s3, 0, s2
	s_mov_b32 s2, exec_lo
	v_cmpx_gt_u32_e64 s11, v0
	s_cbranch_execz .LBB152_87
; %bb.86:
	v_add_nc_u32_e32 v120, v118, v119
	ds_load_b64 v[120:121], v120
	s_waitcnt lgkmcnt(0)
	global_store_b64 v[73:74], v[120:121], off
.LBB152_87:
	s_or_b32 exec_lo, exec_lo, s2
	v_or_b32_e32 v120, 0x80, v0
	s_mov_b32 s2, exec_lo
	s_delay_alu instid0(VALU_DEP_1)
	v_cmpx_gt_u32_e64 s11, v120
	s_cbranch_execz .LBB152_89
; %bb.88:
	s_waitcnt lgkmcnt(13)
	global_store_b64 v[73:74], v[53:54], off offset:1024
.LBB152_89:
	s_or_b32 exec_lo, exec_lo, s2
	s_waitcnt lgkmcnt(13)
	v_or_b32_e32 v53, 0x100, v0
	s_mov_b32 s2, exec_lo
	s_delay_alu instid0(VALU_DEP_1)
	v_cmpx_gt_u32_e64 s11, v53
	s_cbranch_execz .LBB152_91
; %bb.90:
	global_store_b64 v[73:74], v[55:56], off offset:2048
.LBB152_91:
	s_or_b32 exec_lo, exec_lo, s2
	v_or_b32_e32 v53, 0x180, v0
	s_mov_b32 s2, exec_lo
	s_delay_alu instid0(VALU_DEP_1)
	v_cmpx_gt_u32_e64 s11, v53
	s_cbranch_execz .LBB152_93
; %bb.92:
	s_waitcnt lgkmcnt(12)
	global_store_b64 v[73:74], v[49:50], off offset:3072
.LBB152_93:
	s_or_b32 exec_lo, exec_lo, s2
	s_waitcnt lgkmcnt(12)
	v_or_b32_e32 v49, 0x200, v0
	s_mov_b32 s2, exec_lo
	s_delay_alu instid0(VALU_DEP_1)
	v_cmpx_gt_u32_e64 s11, v49
	s_cbranch_execz .LBB152_95
; %bb.94:
	v_add_co_u32 v49, vcc_lo, 0x1000, v73
	v_add_co_ci_u32_e32 v50, vcc_lo, 0, v74, vcc_lo
	global_store_b64 v[49:50], v[51:52], off
.LBB152_95:
	s_or_b32 exec_lo, exec_lo, s2
	v_or_b32_e32 v49, 0x280, v0
	s_mov_b32 s2, exec_lo
	s_delay_alu instid0(VALU_DEP_1)
	v_cmpx_gt_u32_e64 s11, v49
	s_cbranch_execz .LBB152_97
; %bb.96:
	v_add_co_u32 v49, vcc_lo, 0x1000, v73
	v_add_co_ci_u32_e32 v50, vcc_lo, 0, v74, vcc_lo
	s_waitcnt lgkmcnt(11)
	global_store_b64 v[49:50], v[45:46], off offset:1024
.LBB152_97:
	s_or_b32 exec_lo, exec_lo, s2
	s_waitcnt lgkmcnt(11)
	v_or_b32_e32 v45, 0x300, v0
	s_mov_b32 s2, exec_lo
	s_delay_alu instid0(VALU_DEP_1)
	v_cmpx_gt_u32_e64 s11, v45
	s_cbranch_execz .LBB152_99
; %bb.98:
	v_add_co_u32 v45, vcc_lo, 0x1000, v73
	v_add_co_ci_u32_e32 v46, vcc_lo, 0, v74, vcc_lo
	global_store_b64 v[45:46], v[47:48], off offset:2048
.LBB152_99:
	s_or_b32 exec_lo, exec_lo, s2
	v_or_b32_e32 v45, 0x380, v0
	s_mov_b32 s2, exec_lo
	s_delay_alu instid0(VALU_DEP_1)
	v_cmpx_gt_u32_e64 s11, v45
	s_cbranch_execz .LBB152_101
; %bb.100:
	v_add_co_u32 v45, vcc_lo, 0x1000, v73
	v_add_co_ci_u32_e32 v46, vcc_lo, 0, v74, vcc_lo
	s_waitcnt lgkmcnt(10)
	global_store_b64 v[45:46], v[41:42], off offset:3072
.LBB152_101:
	s_or_b32 exec_lo, exec_lo, s2
	s_waitcnt lgkmcnt(10)
	v_or_b32_e32 v41, 0x400, v0
	s_mov_b32 s2, exec_lo
	s_delay_alu instid0(VALU_DEP_1)
	v_cmpx_gt_u32_e64 s11, v41
	s_cbranch_execz .LBB152_103
; %bb.102:
	v_add_co_u32 v41, vcc_lo, 0x2000, v73
	v_add_co_ci_u32_e32 v42, vcc_lo, 0, v74, vcc_lo
	global_store_b64 v[41:42], v[43:44], off
.LBB152_103:
	s_or_b32 exec_lo, exec_lo, s2
	v_or_b32_e32 v41, 0x480, v0
	s_mov_b32 s2, exec_lo
	s_delay_alu instid0(VALU_DEP_1)
	v_cmpx_gt_u32_e64 s11, v41
	s_cbranch_execz .LBB152_105
; %bb.104:
	v_add_co_u32 v41, vcc_lo, 0x2000, v73
	v_add_co_ci_u32_e32 v42, vcc_lo, 0, v74, vcc_lo
	s_waitcnt lgkmcnt(9)
	global_store_b64 v[41:42], v[37:38], off offset:1024
.LBB152_105:
	s_or_b32 exec_lo, exec_lo, s2
	s_waitcnt lgkmcnt(9)
	v_or_b32_e32 v37, 0x500, v0
	s_mov_b32 s2, exec_lo
	s_delay_alu instid0(VALU_DEP_1)
	v_cmpx_gt_u32_e64 s11, v37
	s_cbranch_execz .LBB152_107
; %bb.106:
	v_add_co_u32 v37, vcc_lo, 0x2000, v73
	v_add_co_ci_u32_e32 v38, vcc_lo, 0, v74, vcc_lo
	global_store_b64 v[37:38], v[39:40], off offset:2048
.LBB152_107:
	s_or_b32 exec_lo, exec_lo, s2
	v_or_b32_e32 v37, 0x580, v0
	s_mov_b32 s2, exec_lo
	s_delay_alu instid0(VALU_DEP_1)
	v_cmpx_gt_u32_e64 s11, v37
	s_cbranch_execz .LBB152_109
; %bb.108:
	v_add_co_u32 v37, vcc_lo, 0x2000, v73
	v_add_co_ci_u32_e32 v38, vcc_lo, 0, v74, vcc_lo
	s_waitcnt lgkmcnt(8)
	global_store_b64 v[37:38], v[33:34], off offset:3072
.LBB152_109:
	;; [unrolled: 48-line block ×6, first 2 shown]
	s_or_b32 exec_lo, exec_lo, s2
	s_waitcnt lgkmcnt(0)
	v_or_b32_e32 v1, 0xe00, v0
	s_delay_alu instid0(VALU_DEP_1)
	v_cmp_gt_u32_e64 s2, s11, v1
	s_branch .LBB152_144
.LBB152_142:
	s_mov_b32 s2, 0
                                        ; implicit-def: $vgpr3_vgpr4
                                        ; implicit-def: $vgpr73_vgpr74
	s_cbranch_execz .LBB152_144
; %bb.143:
	v_mad_u32_u24 v0, 0xe8, v0, v119
	ds_store_2addr_b64 v118, v[59:60], v[115:116] offset1:1
	ds_store_2addr_b64 v118, v[109:110], v[113:114] offset0:2 offset1:3
	ds_store_2addr_b64 v118, v[103:104], v[111:112] offset0:4 offset1:5
	;; [unrolled: 1-line block ×13, first 2 shown]
	ds_store_b64 v118, v[57:58] offset:224
	s_waitcnt lgkmcnt(0)
	s_waitcnt_vscnt null, 0x0
	s_barrier
	buffer_gl0_inv
	ds_load_2addr_stride64_b64 v[5:8], v0 offset1:2
	s_mov_b32 s5, 0
	ds_load_2addr_stride64_b64 v[9:12], v0 offset0:4 offset1:6
	ds_load_2addr_stride64_b64 v[13:16], v0 offset0:8 offset1:10
	;; [unrolled: 1-line block ×13, first 2 shown]
	ds_load_b64 v[3:4], v0 offset:28672
	s_lshl_b64 s[4:5], s[4:5], 3
	s_delay_alu instid0(SALU_CYCLE_1) | instskip(SKIP_2) | instid1(VALU_DEP_1)
	s_add_u32 s4, s1, s4
	s_addc_u32 s5, s0, s5
	v_add_co_u32 v73, s0, s4, v117
	v_add_co_ci_u32_e64 v74, null, s5, 0, s0
	s_or_b32 s2, s2, exec_lo
	s_delay_alu instid0(VALU_DEP_2) | instskip(NEXT) | instid1(VALU_DEP_2)
	v_add_co_u32 v0, vcc_lo, 0x1000, v73
	v_add_co_ci_u32_e32 v1, vcc_lo, 0, v74, vcc_lo
	s_waitcnt lgkmcnt(14)
	s_clause 0x1
	global_store_b64 v117, v[5:6], s[4:5]
	global_store_b64 v117, v[7:8], s[4:5] offset:1024
	s_waitcnt lgkmcnt(13)
	s_clause 0x1
	global_store_b64 v117, v[9:10], s[4:5] offset:2048
	global_store_b64 v117, v[11:12], s[4:5] offset:3072
	v_add_co_u32 v5, vcc_lo, v73, 0x2000
	v_add_co_ci_u32_e32 v6, vcc_lo, 0, v74, vcc_lo
	v_add_co_u32 v7, vcc_lo, 0x2000, v73
	v_add_co_ci_u32_e32 v8, vcc_lo, 0, v74, vcc_lo
	s_waitcnt lgkmcnt(10)
	s_clause 0x4
	global_store_b64 v[5:6], v[21:22], off
	global_store_b64 v[0:1], v[15:16], off offset:1024
	global_store_b64 v[0:1], v[17:18], off offset:2048
	;; [unrolled: 1-line block ×4, first 2 shown]
	v_add_co_u32 v0, vcc_lo, 0x3000, v73
	v_add_co_ci_u32_e32 v1, vcc_lo, 0, v74, vcc_lo
	v_add_co_u32 v9, vcc_lo, v73, 0x4000
	v_add_co_ci_u32_e32 v10, vcc_lo, 0, v74, vcc_lo
	;; [unrolled: 2-line block ×3, first 2 shown]
	s_waitcnt lgkmcnt(9)
	s_clause 0x1
	global_store_b64 v[7:8], v[25:26], off offset:2048
	global_store_b64 v[7:8], v[27:28], off offset:3072
	s_waitcnt lgkmcnt(8)
	global_store_b64 v[0:1], v[31:32], off offset:1024
	s_waitcnt lgkmcnt(7)
	s_clause 0x1
	global_store_b64 v[0:1], v[33:34], off offset:2048
	global_store_b64 v[0:1], v[35:36], off offset:3072
	s_waitcnt lgkmcnt(6)
	global_store_b64 v[11:12], v[39:40], off offset:1024
	s_waitcnt lgkmcnt(5)
	s_clause 0x1
	global_store_b64 v[11:12], v[41:42], off offset:2048
	global_store_b64 v[11:12], v[43:44], off offset:3072
	v_add_co_u32 v0, vcc_lo, 0x5000, v73
	v_add_co_ci_u32_e32 v1, vcc_lo, 0, v74, vcc_lo
	v_add_co_u32 v7, vcc_lo, v73, 0x6000
	v_add_co_ci_u32_e32 v8, vcc_lo, 0, v74, vcc_lo
	;; [unrolled: 2-line block ×3, first 2 shown]
	s_clause 0x1
	global_store_b64 v[9:10], v[29:30], off offset:-4096
	global_store_b64 v[9:10], v[37:38], off
	s_waitcnt lgkmcnt(4)
	global_store_b64 v[7:8], v[45:46], off offset:-4096
	s_waitcnt lgkmcnt(2)
	s_clause 0x4
	global_store_b64 v[7:8], v[53:54], off
	global_store_b64 v[0:1], v[47:48], off offset:1024
	global_store_b64 v[0:1], v[49:50], off offset:2048
	;; [unrolled: 1-line block ×4, first 2 shown]
	s_waitcnt lgkmcnt(1)
	s_clause 0x2
	global_store_b64 v[11:12], v[57:58], off offset:2048
	global_store_b64 v[5:6], v[13:14], off offset:-4096
	global_store_b64 v[11:12], v[59:60], off offset:3072
.LBB152_144:
	s_delay_alu instid0(VALU_DEP_1)
	s_and_saveexec_b32 s0, s2
	s_cbranch_execnz .LBB152_146
; %bb.145:
	s_nop 0
	s_sendmsg sendmsg(MSG_DEALLOC_VGPRS)
	s_endpgm
.LBB152_146:
	v_add_co_u32 v0, vcc_lo, 0x7000, v73
	v_add_co_ci_u32_e32 v1, vcc_lo, 0, v74, vcc_lo
	s_waitcnt lgkmcnt(0)
	global_store_b64 v[0:1], v[3:4], off
	s_nop 0
	s_sendmsg sendmsg(MSG_DEALLOC_VGPRS)
	s_endpgm
	.section	.rodata,"a",@progbits
	.p2align	6, 0x0
	.amdhsa_kernel _ZN7rocprim17ROCPRIM_400000_NS6detail17trampoline_kernelINS0_14default_configENS1_35adjacent_difference_config_selectorILb1EyEEZNS1_24adjacent_difference_implIS3_Lb1ELb0EPyS7_N6thrust23THRUST_200600_302600_NS4plusIyEEEE10hipError_tPvRmT2_T3_mT4_P12ihipStream_tbEUlT_E_NS1_11comp_targetILNS1_3genE9ELNS1_11target_archE1100ELNS1_3gpuE3ELNS1_3repE0EEENS1_30default_config_static_selectorELNS0_4arch9wavefront6targetE0EEEvT1_
		.amdhsa_group_segment_fixed_size 29696
		.amdhsa_private_segment_fixed_size 0
		.amdhsa_kernarg_size 56
		.amdhsa_user_sgpr_count 15
		.amdhsa_user_sgpr_dispatch_ptr 0
		.amdhsa_user_sgpr_queue_ptr 0
		.amdhsa_user_sgpr_kernarg_segment_ptr 1
		.amdhsa_user_sgpr_dispatch_id 0
		.amdhsa_user_sgpr_private_segment_size 0
		.amdhsa_wavefront_size32 1
		.amdhsa_uses_dynamic_stack 0
		.amdhsa_enable_private_segment 0
		.amdhsa_system_sgpr_workgroup_id_x 1
		.amdhsa_system_sgpr_workgroup_id_y 0
		.amdhsa_system_sgpr_workgroup_id_z 0
		.amdhsa_system_sgpr_workgroup_info 0
		.amdhsa_system_vgpr_workitem_id 0
		.amdhsa_next_free_vgpr 122
		.amdhsa_next_free_sgpr 26
		.amdhsa_reserve_vcc 1
		.amdhsa_float_round_mode_32 0
		.amdhsa_float_round_mode_16_64 0
		.amdhsa_float_denorm_mode_32 3
		.amdhsa_float_denorm_mode_16_64 3
		.amdhsa_dx10_clamp 1
		.amdhsa_ieee_mode 1
		.amdhsa_fp16_overflow 0
		.amdhsa_workgroup_processor_mode 1
		.amdhsa_memory_ordered 1
		.amdhsa_forward_progress 0
		.amdhsa_shared_vgpr_count 0
		.amdhsa_exception_fp_ieee_invalid_op 0
		.amdhsa_exception_fp_denorm_src 0
		.amdhsa_exception_fp_ieee_div_zero 0
		.amdhsa_exception_fp_ieee_overflow 0
		.amdhsa_exception_fp_ieee_underflow 0
		.amdhsa_exception_fp_ieee_inexact 0
		.amdhsa_exception_int_div_zero 0
	.end_amdhsa_kernel
	.section	.text._ZN7rocprim17ROCPRIM_400000_NS6detail17trampoline_kernelINS0_14default_configENS1_35adjacent_difference_config_selectorILb1EyEEZNS1_24adjacent_difference_implIS3_Lb1ELb0EPyS7_N6thrust23THRUST_200600_302600_NS4plusIyEEEE10hipError_tPvRmT2_T3_mT4_P12ihipStream_tbEUlT_E_NS1_11comp_targetILNS1_3genE9ELNS1_11target_archE1100ELNS1_3gpuE3ELNS1_3repE0EEENS1_30default_config_static_selectorELNS0_4arch9wavefront6targetE0EEEvT1_,"axG",@progbits,_ZN7rocprim17ROCPRIM_400000_NS6detail17trampoline_kernelINS0_14default_configENS1_35adjacent_difference_config_selectorILb1EyEEZNS1_24adjacent_difference_implIS3_Lb1ELb0EPyS7_N6thrust23THRUST_200600_302600_NS4plusIyEEEE10hipError_tPvRmT2_T3_mT4_P12ihipStream_tbEUlT_E_NS1_11comp_targetILNS1_3genE9ELNS1_11target_archE1100ELNS1_3gpuE3ELNS1_3repE0EEENS1_30default_config_static_selectorELNS0_4arch9wavefront6targetE0EEEvT1_,comdat
.Lfunc_end152:
	.size	_ZN7rocprim17ROCPRIM_400000_NS6detail17trampoline_kernelINS0_14default_configENS1_35adjacent_difference_config_selectorILb1EyEEZNS1_24adjacent_difference_implIS3_Lb1ELb0EPyS7_N6thrust23THRUST_200600_302600_NS4plusIyEEEE10hipError_tPvRmT2_T3_mT4_P12ihipStream_tbEUlT_E_NS1_11comp_targetILNS1_3genE9ELNS1_11target_archE1100ELNS1_3gpuE3ELNS1_3repE0EEENS1_30default_config_static_selectorELNS0_4arch9wavefront6targetE0EEEvT1_, .Lfunc_end152-_ZN7rocprim17ROCPRIM_400000_NS6detail17trampoline_kernelINS0_14default_configENS1_35adjacent_difference_config_selectorILb1EyEEZNS1_24adjacent_difference_implIS3_Lb1ELb0EPyS7_N6thrust23THRUST_200600_302600_NS4plusIyEEEE10hipError_tPvRmT2_T3_mT4_P12ihipStream_tbEUlT_E_NS1_11comp_targetILNS1_3genE9ELNS1_11target_archE1100ELNS1_3gpuE3ELNS1_3repE0EEENS1_30default_config_static_selectorELNS0_4arch9wavefront6targetE0EEEvT1_
                                        ; -- End function
	.section	.AMDGPU.csdata,"",@progbits
; Kernel info:
; codeLenInByte = 8252
; NumSgprs: 28
; NumVgprs: 122
; ScratchSize: 0
; MemoryBound: 0
; FloatMode: 240
; IeeeMode: 1
; LDSByteSize: 29696 bytes/workgroup (compile time only)
; SGPRBlocks: 3
; VGPRBlocks: 15
; NumSGPRsForWavesPerEU: 28
; NumVGPRsForWavesPerEU: 122
; Occupancy: 4
; WaveLimiterHint : 1
; COMPUTE_PGM_RSRC2:SCRATCH_EN: 0
; COMPUTE_PGM_RSRC2:USER_SGPR: 15
; COMPUTE_PGM_RSRC2:TRAP_HANDLER: 0
; COMPUTE_PGM_RSRC2:TGID_X_EN: 1
; COMPUTE_PGM_RSRC2:TGID_Y_EN: 0
; COMPUTE_PGM_RSRC2:TGID_Z_EN: 0
; COMPUTE_PGM_RSRC2:TIDIG_COMP_CNT: 0
	.section	.text._ZN7rocprim17ROCPRIM_400000_NS6detail17trampoline_kernelINS0_14default_configENS1_35adjacent_difference_config_selectorILb1EyEEZNS1_24adjacent_difference_implIS3_Lb1ELb0EPyS7_N6thrust23THRUST_200600_302600_NS4plusIyEEEE10hipError_tPvRmT2_T3_mT4_P12ihipStream_tbEUlT_E_NS1_11comp_targetILNS1_3genE8ELNS1_11target_archE1030ELNS1_3gpuE2ELNS1_3repE0EEENS1_30default_config_static_selectorELNS0_4arch9wavefront6targetE0EEEvT1_,"axG",@progbits,_ZN7rocprim17ROCPRIM_400000_NS6detail17trampoline_kernelINS0_14default_configENS1_35adjacent_difference_config_selectorILb1EyEEZNS1_24adjacent_difference_implIS3_Lb1ELb0EPyS7_N6thrust23THRUST_200600_302600_NS4plusIyEEEE10hipError_tPvRmT2_T3_mT4_P12ihipStream_tbEUlT_E_NS1_11comp_targetILNS1_3genE8ELNS1_11target_archE1030ELNS1_3gpuE2ELNS1_3repE0EEENS1_30default_config_static_selectorELNS0_4arch9wavefront6targetE0EEEvT1_,comdat
	.protected	_ZN7rocprim17ROCPRIM_400000_NS6detail17trampoline_kernelINS0_14default_configENS1_35adjacent_difference_config_selectorILb1EyEEZNS1_24adjacent_difference_implIS3_Lb1ELb0EPyS7_N6thrust23THRUST_200600_302600_NS4plusIyEEEE10hipError_tPvRmT2_T3_mT4_P12ihipStream_tbEUlT_E_NS1_11comp_targetILNS1_3genE8ELNS1_11target_archE1030ELNS1_3gpuE2ELNS1_3repE0EEENS1_30default_config_static_selectorELNS0_4arch9wavefront6targetE0EEEvT1_ ; -- Begin function _ZN7rocprim17ROCPRIM_400000_NS6detail17trampoline_kernelINS0_14default_configENS1_35adjacent_difference_config_selectorILb1EyEEZNS1_24adjacent_difference_implIS3_Lb1ELb0EPyS7_N6thrust23THRUST_200600_302600_NS4plusIyEEEE10hipError_tPvRmT2_T3_mT4_P12ihipStream_tbEUlT_E_NS1_11comp_targetILNS1_3genE8ELNS1_11target_archE1030ELNS1_3gpuE2ELNS1_3repE0EEENS1_30default_config_static_selectorELNS0_4arch9wavefront6targetE0EEEvT1_
	.globl	_ZN7rocprim17ROCPRIM_400000_NS6detail17trampoline_kernelINS0_14default_configENS1_35adjacent_difference_config_selectorILb1EyEEZNS1_24adjacent_difference_implIS3_Lb1ELb0EPyS7_N6thrust23THRUST_200600_302600_NS4plusIyEEEE10hipError_tPvRmT2_T3_mT4_P12ihipStream_tbEUlT_E_NS1_11comp_targetILNS1_3genE8ELNS1_11target_archE1030ELNS1_3gpuE2ELNS1_3repE0EEENS1_30default_config_static_selectorELNS0_4arch9wavefront6targetE0EEEvT1_
	.p2align	8
	.type	_ZN7rocprim17ROCPRIM_400000_NS6detail17trampoline_kernelINS0_14default_configENS1_35adjacent_difference_config_selectorILb1EyEEZNS1_24adjacent_difference_implIS3_Lb1ELb0EPyS7_N6thrust23THRUST_200600_302600_NS4plusIyEEEE10hipError_tPvRmT2_T3_mT4_P12ihipStream_tbEUlT_E_NS1_11comp_targetILNS1_3genE8ELNS1_11target_archE1030ELNS1_3gpuE2ELNS1_3repE0EEENS1_30default_config_static_selectorELNS0_4arch9wavefront6targetE0EEEvT1_,@function
_ZN7rocprim17ROCPRIM_400000_NS6detail17trampoline_kernelINS0_14default_configENS1_35adjacent_difference_config_selectorILb1EyEEZNS1_24adjacent_difference_implIS3_Lb1ELb0EPyS7_N6thrust23THRUST_200600_302600_NS4plusIyEEEE10hipError_tPvRmT2_T3_mT4_P12ihipStream_tbEUlT_E_NS1_11comp_targetILNS1_3genE8ELNS1_11target_archE1030ELNS1_3gpuE2ELNS1_3repE0EEENS1_30default_config_static_selectorELNS0_4arch9wavefront6targetE0EEEvT1_: ; @_ZN7rocprim17ROCPRIM_400000_NS6detail17trampoline_kernelINS0_14default_configENS1_35adjacent_difference_config_selectorILb1EyEEZNS1_24adjacent_difference_implIS3_Lb1ELb0EPyS7_N6thrust23THRUST_200600_302600_NS4plusIyEEEE10hipError_tPvRmT2_T3_mT4_P12ihipStream_tbEUlT_E_NS1_11comp_targetILNS1_3genE8ELNS1_11target_archE1030ELNS1_3gpuE2ELNS1_3repE0EEENS1_30default_config_static_selectorELNS0_4arch9wavefront6targetE0EEEvT1_
; %bb.0:
	.section	.rodata,"a",@progbits
	.p2align	6, 0x0
	.amdhsa_kernel _ZN7rocprim17ROCPRIM_400000_NS6detail17trampoline_kernelINS0_14default_configENS1_35adjacent_difference_config_selectorILb1EyEEZNS1_24adjacent_difference_implIS3_Lb1ELb0EPyS7_N6thrust23THRUST_200600_302600_NS4plusIyEEEE10hipError_tPvRmT2_T3_mT4_P12ihipStream_tbEUlT_E_NS1_11comp_targetILNS1_3genE8ELNS1_11target_archE1030ELNS1_3gpuE2ELNS1_3repE0EEENS1_30default_config_static_selectorELNS0_4arch9wavefront6targetE0EEEvT1_
		.amdhsa_group_segment_fixed_size 0
		.amdhsa_private_segment_fixed_size 0
		.amdhsa_kernarg_size 56
		.amdhsa_user_sgpr_count 15
		.amdhsa_user_sgpr_dispatch_ptr 0
		.amdhsa_user_sgpr_queue_ptr 0
		.amdhsa_user_sgpr_kernarg_segment_ptr 1
		.amdhsa_user_sgpr_dispatch_id 0
		.amdhsa_user_sgpr_private_segment_size 0
		.amdhsa_wavefront_size32 1
		.amdhsa_uses_dynamic_stack 0
		.amdhsa_enable_private_segment 0
		.amdhsa_system_sgpr_workgroup_id_x 1
		.amdhsa_system_sgpr_workgroup_id_y 0
		.amdhsa_system_sgpr_workgroup_id_z 0
		.amdhsa_system_sgpr_workgroup_info 0
		.amdhsa_system_vgpr_workitem_id 0
		.amdhsa_next_free_vgpr 1
		.amdhsa_next_free_sgpr 1
		.amdhsa_reserve_vcc 0
		.amdhsa_float_round_mode_32 0
		.amdhsa_float_round_mode_16_64 0
		.amdhsa_float_denorm_mode_32 3
		.amdhsa_float_denorm_mode_16_64 3
		.amdhsa_dx10_clamp 1
		.amdhsa_ieee_mode 1
		.amdhsa_fp16_overflow 0
		.amdhsa_workgroup_processor_mode 1
		.amdhsa_memory_ordered 1
		.amdhsa_forward_progress 0
		.amdhsa_shared_vgpr_count 0
		.amdhsa_exception_fp_ieee_invalid_op 0
		.amdhsa_exception_fp_denorm_src 0
		.amdhsa_exception_fp_ieee_div_zero 0
		.amdhsa_exception_fp_ieee_overflow 0
		.amdhsa_exception_fp_ieee_underflow 0
		.amdhsa_exception_fp_ieee_inexact 0
		.amdhsa_exception_int_div_zero 0
	.end_amdhsa_kernel
	.section	.text._ZN7rocprim17ROCPRIM_400000_NS6detail17trampoline_kernelINS0_14default_configENS1_35adjacent_difference_config_selectorILb1EyEEZNS1_24adjacent_difference_implIS3_Lb1ELb0EPyS7_N6thrust23THRUST_200600_302600_NS4plusIyEEEE10hipError_tPvRmT2_T3_mT4_P12ihipStream_tbEUlT_E_NS1_11comp_targetILNS1_3genE8ELNS1_11target_archE1030ELNS1_3gpuE2ELNS1_3repE0EEENS1_30default_config_static_selectorELNS0_4arch9wavefront6targetE0EEEvT1_,"axG",@progbits,_ZN7rocprim17ROCPRIM_400000_NS6detail17trampoline_kernelINS0_14default_configENS1_35adjacent_difference_config_selectorILb1EyEEZNS1_24adjacent_difference_implIS3_Lb1ELb0EPyS7_N6thrust23THRUST_200600_302600_NS4plusIyEEEE10hipError_tPvRmT2_T3_mT4_P12ihipStream_tbEUlT_E_NS1_11comp_targetILNS1_3genE8ELNS1_11target_archE1030ELNS1_3gpuE2ELNS1_3repE0EEENS1_30default_config_static_selectorELNS0_4arch9wavefront6targetE0EEEvT1_,comdat
.Lfunc_end153:
	.size	_ZN7rocprim17ROCPRIM_400000_NS6detail17trampoline_kernelINS0_14default_configENS1_35adjacent_difference_config_selectorILb1EyEEZNS1_24adjacent_difference_implIS3_Lb1ELb0EPyS7_N6thrust23THRUST_200600_302600_NS4plusIyEEEE10hipError_tPvRmT2_T3_mT4_P12ihipStream_tbEUlT_E_NS1_11comp_targetILNS1_3genE8ELNS1_11target_archE1030ELNS1_3gpuE2ELNS1_3repE0EEENS1_30default_config_static_selectorELNS0_4arch9wavefront6targetE0EEEvT1_, .Lfunc_end153-_ZN7rocprim17ROCPRIM_400000_NS6detail17trampoline_kernelINS0_14default_configENS1_35adjacent_difference_config_selectorILb1EyEEZNS1_24adjacent_difference_implIS3_Lb1ELb0EPyS7_N6thrust23THRUST_200600_302600_NS4plusIyEEEE10hipError_tPvRmT2_T3_mT4_P12ihipStream_tbEUlT_E_NS1_11comp_targetILNS1_3genE8ELNS1_11target_archE1030ELNS1_3gpuE2ELNS1_3repE0EEENS1_30default_config_static_selectorELNS0_4arch9wavefront6targetE0EEEvT1_
                                        ; -- End function
	.section	.AMDGPU.csdata,"",@progbits
; Kernel info:
; codeLenInByte = 0
; NumSgprs: 0
; NumVgprs: 0
; ScratchSize: 0
; MemoryBound: 0
; FloatMode: 240
; IeeeMode: 1
; LDSByteSize: 0 bytes/workgroup (compile time only)
; SGPRBlocks: 0
; VGPRBlocks: 0
; NumSGPRsForWavesPerEU: 1
; NumVGPRsForWavesPerEU: 1
; Occupancy: 16
; WaveLimiterHint : 0
; COMPUTE_PGM_RSRC2:SCRATCH_EN: 0
; COMPUTE_PGM_RSRC2:USER_SGPR: 15
; COMPUTE_PGM_RSRC2:TRAP_HANDLER: 0
; COMPUTE_PGM_RSRC2:TGID_X_EN: 1
; COMPUTE_PGM_RSRC2:TGID_Y_EN: 0
; COMPUTE_PGM_RSRC2:TGID_Z_EN: 0
; COMPUTE_PGM_RSRC2:TIDIG_COMP_CNT: 0
	.section	.text._ZN6thrust23THRUST_200600_302600_NS11hip_rocprim14__parallel_for6kernelILj256ENS1_20__uninitialized_fill7functorINS0_10device_ptrIjEEjEEmLj1EEEvT0_T1_SA_,"axG",@progbits,_ZN6thrust23THRUST_200600_302600_NS11hip_rocprim14__parallel_for6kernelILj256ENS1_20__uninitialized_fill7functorINS0_10device_ptrIjEEjEEmLj1EEEvT0_T1_SA_,comdat
	.protected	_ZN6thrust23THRUST_200600_302600_NS11hip_rocprim14__parallel_for6kernelILj256ENS1_20__uninitialized_fill7functorINS0_10device_ptrIjEEjEEmLj1EEEvT0_T1_SA_ ; -- Begin function _ZN6thrust23THRUST_200600_302600_NS11hip_rocprim14__parallel_for6kernelILj256ENS1_20__uninitialized_fill7functorINS0_10device_ptrIjEEjEEmLj1EEEvT0_T1_SA_
	.globl	_ZN6thrust23THRUST_200600_302600_NS11hip_rocprim14__parallel_for6kernelILj256ENS1_20__uninitialized_fill7functorINS0_10device_ptrIjEEjEEmLj1EEEvT0_T1_SA_
	.p2align	8
	.type	_ZN6thrust23THRUST_200600_302600_NS11hip_rocprim14__parallel_for6kernelILj256ENS1_20__uninitialized_fill7functorINS0_10device_ptrIjEEjEEmLj1EEEvT0_T1_SA_,@function
_ZN6thrust23THRUST_200600_302600_NS11hip_rocprim14__parallel_for6kernelILj256ENS1_20__uninitialized_fill7functorINS0_10device_ptrIjEEjEEmLj1EEEvT0_T1_SA_: ; @_ZN6thrust23THRUST_200600_302600_NS11hip_rocprim14__parallel_for6kernelILj256ENS1_20__uninitialized_fill7functorINS0_10device_ptrIjEEjEEmLj1EEEvT0_T1_SA_
; %bb.0:
	s_load_b128 s[4:7], s[0:1], 0x10
	s_lshl_b32 s2, s15, 8
	s_waitcnt lgkmcnt(0)
	s_add_u32 s2, s2, s6
	s_addc_u32 s3, 0, s7
	s_sub_u32 s4, s4, s2
	s_subb_u32 s5, s5, s3
	s_delay_alu instid0(SALU_CYCLE_1) | instskip(NEXT) | instid1(VALU_DEP_1)
	v_cmp_gt_u64_e64 s5, 0x100, s[4:5]
	s_and_b32 vcc_lo, exec_lo, s5
	s_mov_b32 s5, 0
	s_cbranch_vccz .LBB154_2
; %bb.1:
	v_cmp_gt_u32_e32 vcc_lo, s4, v0
	s_and_b32 s5, vcc_lo, exec_lo
	s_cbranch_execz .LBB154_3
	s_branch .LBB154_4
.LBB154_2:
.LBB154_3:
	s_or_b32 s5, s5, exec_lo
.LBB154_4:
	s_delay_alu instid0(SALU_CYCLE_1)
	s_and_saveexec_b32 s4, s5
	s_cbranch_execnz .LBB154_6
; %bb.5:
	s_endpgm
.LBB154_6:
	s_clause 0x1
	s_load_b64 s[4:5], s[0:1], 0x0
	s_load_b32 s6, s[0:1], 0x8
	v_mov_b32_e32 v1, 0
	s_lshl_b64 s[0:1], s[2:3], 2
	s_waitcnt lgkmcnt(0)
	s_add_u32 s0, s4, s0
	v_mov_b32_e32 v2, s6
	v_lshlrev_b64 v[0:1], 2, v[0:1]
	s_addc_u32 s1, s5, s1
	s_delay_alu instid0(VALU_DEP_1) | instskip(NEXT) | instid1(VALU_DEP_2)
	v_add_co_u32 v0, vcc_lo, s0, v0
	v_add_co_ci_u32_e32 v1, vcc_lo, s1, v1, vcc_lo
	flat_store_b32 v[0:1], v2
	s_endpgm
	.section	.rodata,"a",@progbits
	.p2align	6, 0x0
	.amdhsa_kernel _ZN6thrust23THRUST_200600_302600_NS11hip_rocprim14__parallel_for6kernelILj256ENS1_20__uninitialized_fill7functorINS0_10device_ptrIjEEjEEmLj1EEEvT0_T1_SA_
		.amdhsa_group_segment_fixed_size 0
		.amdhsa_private_segment_fixed_size 0
		.amdhsa_kernarg_size 32
		.amdhsa_user_sgpr_count 15
		.amdhsa_user_sgpr_dispatch_ptr 0
		.amdhsa_user_sgpr_queue_ptr 0
		.amdhsa_user_sgpr_kernarg_segment_ptr 1
		.amdhsa_user_sgpr_dispatch_id 0
		.amdhsa_user_sgpr_private_segment_size 0
		.amdhsa_wavefront_size32 1
		.amdhsa_uses_dynamic_stack 0
		.amdhsa_enable_private_segment 0
		.amdhsa_system_sgpr_workgroup_id_x 1
		.amdhsa_system_sgpr_workgroup_id_y 0
		.amdhsa_system_sgpr_workgroup_id_z 0
		.amdhsa_system_sgpr_workgroup_info 0
		.amdhsa_system_vgpr_workitem_id 0
		.amdhsa_next_free_vgpr 3
		.amdhsa_next_free_sgpr 16
		.amdhsa_reserve_vcc 1
		.amdhsa_float_round_mode_32 0
		.amdhsa_float_round_mode_16_64 0
		.amdhsa_float_denorm_mode_32 3
		.amdhsa_float_denorm_mode_16_64 3
		.amdhsa_dx10_clamp 1
		.amdhsa_ieee_mode 1
		.amdhsa_fp16_overflow 0
		.amdhsa_workgroup_processor_mode 1
		.amdhsa_memory_ordered 1
		.amdhsa_forward_progress 0
		.amdhsa_shared_vgpr_count 0
		.amdhsa_exception_fp_ieee_invalid_op 0
		.amdhsa_exception_fp_denorm_src 0
		.amdhsa_exception_fp_ieee_div_zero 0
		.amdhsa_exception_fp_ieee_overflow 0
		.amdhsa_exception_fp_ieee_underflow 0
		.amdhsa_exception_fp_ieee_inexact 0
		.amdhsa_exception_int_div_zero 0
	.end_amdhsa_kernel
	.section	.text._ZN6thrust23THRUST_200600_302600_NS11hip_rocprim14__parallel_for6kernelILj256ENS1_20__uninitialized_fill7functorINS0_10device_ptrIjEEjEEmLj1EEEvT0_T1_SA_,"axG",@progbits,_ZN6thrust23THRUST_200600_302600_NS11hip_rocprim14__parallel_for6kernelILj256ENS1_20__uninitialized_fill7functorINS0_10device_ptrIjEEjEEmLj1EEEvT0_T1_SA_,comdat
.Lfunc_end154:
	.size	_ZN6thrust23THRUST_200600_302600_NS11hip_rocprim14__parallel_for6kernelILj256ENS1_20__uninitialized_fill7functorINS0_10device_ptrIjEEjEEmLj1EEEvT0_T1_SA_, .Lfunc_end154-_ZN6thrust23THRUST_200600_302600_NS11hip_rocprim14__parallel_for6kernelILj256ENS1_20__uninitialized_fill7functorINS0_10device_ptrIjEEjEEmLj1EEEvT0_T1_SA_
                                        ; -- End function
	.section	.AMDGPU.csdata,"",@progbits
; Kernel info:
; codeLenInByte = 176
; NumSgprs: 18
; NumVgprs: 3
; ScratchSize: 0
; MemoryBound: 0
; FloatMode: 240
; IeeeMode: 1
; LDSByteSize: 0 bytes/workgroup (compile time only)
; SGPRBlocks: 2
; VGPRBlocks: 0
; NumSGPRsForWavesPerEU: 18
; NumVGPRsForWavesPerEU: 3
; Occupancy: 16
; WaveLimiterHint : 0
; COMPUTE_PGM_RSRC2:SCRATCH_EN: 0
; COMPUTE_PGM_RSRC2:USER_SGPR: 15
; COMPUTE_PGM_RSRC2:TRAP_HANDLER: 0
; COMPUTE_PGM_RSRC2:TGID_X_EN: 1
; COMPUTE_PGM_RSRC2:TGID_Y_EN: 0
; COMPUTE_PGM_RSRC2:TGID_Z_EN: 0
; COMPUTE_PGM_RSRC2:TIDIG_COMP_CNT: 0
	.section	.text._ZN7rocprim17ROCPRIM_400000_NS6detail17trampoline_kernelINS0_14default_configENS1_35adjacent_difference_config_selectorILb0EjEEZNS1_24adjacent_difference_implIS3_Lb0ELb0EPjS7_N6thrust23THRUST_200600_302600_NS5minusIjEEEE10hipError_tPvRmT2_T3_mT4_P12ihipStream_tbEUlT_E_NS1_11comp_targetILNS1_3genE0ELNS1_11target_archE4294967295ELNS1_3gpuE0ELNS1_3repE0EEENS1_30default_config_static_selectorELNS0_4arch9wavefront6targetE0EEEvT1_,"axG",@progbits,_ZN7rocprim17ROCPRIM_400000_NS6detail17trampoline_kernelINS0_14default_configENS1_35adjacent_difference_config_selectorILb0EjEEZNS1_24adjacent_difference_implIS3_Lb0ELb0EPjS7_N6thrust23THRUST_200600_302600_NS5minusIjEEEE10hipError_tPvRmT2_T3_mT4_P12ihipStream_tbEUlT_E_NS1_11comp_targetILNS1_3genE0ELNS1_11target_archE4294967295ELNS1_3gpuE0ELNS1_3repE0EEENS1_30default_config_static_selectorELNS0_4arch9wavefront6targetE0EEEvT1_,comdat
	.protected	_ZN7rocprim17ROCPRIM_400000_NS6detail17trampoline_kernelINS0_14default_configENS1_35adjacent_difference_config_selectorILb0EjEEZNS1_24adjacent_difference_implIS3_Lb0ELb0EPjS7_N6thrust23THRUST_200600_302600_NS5minusIjEEEE10hipError_tPvRmT2_T3_mT4_P12ihipStream_tbEUlT_E_NS1_11comp_targetILNS1_3genE0ELNS1_11target_archE4294967295ELNS1_3gpuE0ELNS1_3repE0EEENS1_30default_config_static_selectorELNS0_4arch9wavefront6targetE0EEEvT1_ ; -- Begin function _ZN7rocprim17ROCPRIM_400000_NS6detail17trampoline_kernelINS0_14default_configENS1_35adjacent_difference_config_selectorILb0EjEEZNS1_24adjacent_difference_implIS3_Lb0ELb0EPjS7_N6thrust23THRUST_200600_302600_NS5minusIjEEEE10hipError_tPvRmT2_T3_mT4_P12ihipStream_tbEUlT_E_NS1_11comp_targetILNS1_3genE0ELNS1_11target_archE4294967295ELNS1_3gpuE0ELNS1_3repE0EEENS1_30default_config_static_selectorELNS0_4arch9wavefront6targetE0EEEvT1_
	.globl	_ZN7rocprim17ROCPRIM_400000_NS6detail17trampoline_kernelINS0_14default_configENS1_35adjacent_difference_config_selectorILb0EjEEZNS1_24adjacent_difference_implIS3_Lb0ELb0EPjS7_N6thrust23THRUST_200600_302600_NS5minusIjEEEE10hipError_tPvRmT2_T3_mT4_P12ihipStream_tbEUlT_E_NS1_11comp_targetILNS1_3genE0ELNS1_11target_archE4294967295ELNS1_3gpuE0ELNS1_3repE0EEENS1_30default_config_static_selectorELNS0_4arch9wavefront6targetE0EEEvT1_
	.p2align	8
	.type	_ZN7rocprim17ROCPRIM_400000_NS6detail17trampoline_kernelINS0_14default_configENS1_35adjacent_difference_config_selectorILb0EjEEZNS1_24adjacent_difference_implIS3_Lb0ELb0EPjS7_N6thrust23THRUST_200600_302600_NS5minusIjEEEE10hipError_tPvRmT2_T3_mT4_P12ihipStream_tbEUlT_E_NS1_11comp_targetILNS1_3genE0ELNS1_11target_archE4294967295ELNS1_3gpuE0ELNS1_3repE0EEENS1_30default_config_static_selectorELNS0_4arch9wavefront6targetE0EEEvT1_,@function
_ZN7rocprim17ROCPRIM_400000_NS6detail17trampoline_kernelINS0_14default_configENS1_35adjacent_difference_config_selectorILb0EjEEZNS1_24adjacent_difference_implIS3_Lb0ELb0EPjS7_N6thrust23THRUST_200600_302600_NS5minusIjEEEE10hipError_tPvRmT2_T3_mT4_P12ihipStream_tbEUlT_E_NS1_11comp_targetILNS1_3genE0ELNS1_11target_archE4294967295ELNS1_3gpuE0ELNS1_3repE0EEENS1_30default_config_static_selectorELNS0_4arch9wavefront6targetE0EEEvT1_: ; @_ZN7rocprim17ROCPRIM_400000_NS6detail17trampoline_kernelINS0_14default_configENS1_35adjacent_difference_config_selectorILb0EjEEZNS1_24adjacent_difference_implIS3_Lb0ELb0EPjS7_N6thrust23THRUST_200600_302600_NS5minusIjEEEE10hipError_tPvRmT2_T3_mT4_P12ihipStream_tbEUlT_E_NS1_11comp_targetILNS1_3genE0ELNS1_11target_archE4294967295ELNS1_3gpuE0ELNS1_3repE0EEENS1_30default_config_static_selectorELNS0_4arch9wavefront6targetE0EEEvT1_
; %bb.0:
	.section	.rodata,"a",@progbits
	.p2align	6, 0x0
	.amdhsa_kernel _ZN7rocprim17ROCPRIM_400000_NS6detail17trampoline_kernelINS0_14default_configENS1_35adjacent_difference_config_selectorILb0EjEEZNS1_24adjacent_difference_implIS3_Lb0ELb0EPjS7_N6thrust23THRUST_200600_302600_NS5minusIjEEEE10hipError_tPvRmT2_T3_mT4_P12ihipStream_tbEUlT_E_NS1_11comp_targetILNS1_3genE0ELNS1_11target_archE4294967295ELNS1_3gpuE0ELNS1_3repE0EEENS1_30default_config_static_selectorELNS0_4arch9wavefront6targetE0EEEvT1_
		.amdhsa_group_segment_fixed_size 0
		.amdhsa_private_segment_fixed_size 0
		.amdhsa_kernarg_size 56
		.amdhsa_user_sgpr_count 15
		.amdhsa_user_sgpr_dispatch_ptr 0
		.amdhsa_user_sgpr_queue_ptr 0
		.amdhsa_user_sgpr_kernarg_segment_ptr 1
		.amdhsa_user_sgpr_dispatch_id 0
		.amdhsa_user_sgpr_private_segment_size 0
		.amdhsa_wavefront_size32 1
		.amdhsa_uses_dynamic_stack 0
		.amdhsa_enable_private_segment 0
		.amdhsa_system_sgpr_workgroup_id_x 1
		.amdhsa_system_sgpr_workgroup_id_y 0
		.amdhsa_system_sgpr_workgroup_id_z 0
		.amdhsa_system_sgpr_workgroup_info 0
		.amdhsa_system_vgpr_workitem_id 0
		.amdhsa_next_free_vgpr 1
		.amdhsa_next_free_sgpr 1
		.amdhsa_reserve_vcc 0
		.amdhsa_float_round_mode_32 0
		.amdhsa_float_round_mode_16_64 0
		.amdhsa_float_denorm_mode_32 3
		.amdhsa_float_denorm_mode_16_64 3
		.amdhsa_dx10_clamp 1
		.amdhsa_ieee_mode 1
		.amdhsa_fp16_overflow 0
		.amdhsa_workgroup_processor_mode 1
		.amdhsa_memory_ordered 1
		.amdhsa_forward_progress 0
		.amdhsa_shared_vgpr_count 0
		.amdhsa_exception_fp_ieee_invalid_op 0
		.amdhsa_exception_fp_denorm_src 0
		.amdhsa_exception_fp_ieee_div_zero 0
		.amdhsa_exception_fp_ieee_overflow 0
		.amdhsa_exception_fp_ieee_underflow 0
		.amdhsa_exception_fp_ieee_inexact 0
		.amdhsa_exception_int_div_zero 0
	.end_amdhsa_kernel
	.section	.text._ZN7rocprim17ROCPRIM_400000_NS6detail17trampoline_kernelINS0_14default_configENS1_35adjacent_difference_config_selectorILb0EjEEZNS1_24adjacent_difference_implIS3_Lb0ELb0EPjS7_N6thrust23THRUST_200600_302600_NS5minusIjEEEE10hipError_tPvRmT2_T3_mT4_P12ihipStream_tbEUlT_E_NS1_11comp_targetILNS1_3genE0ELNS1_11target_archE4294967295ELNS1_3gpuE0ELNS1_3repE0EEENS1_30default_config_static_selectorELNS0_4arch9wavefront6targetE0EEEvT1_,"axG",@progbits,_ZN7rocprim17ROCPRIM_400000_NS6detail17trampoline_kernelINS0_14default_configENS1_35adjacent_difference_config_selectorILb0EjEEZNS1_24adjacent_difference_implIS3_Lb0ELb0EPjS7_N6thrust23THRUST_200600_302600_NS5minusIjEEEE10hipError_tPvRmT2_T3_mT4_P12ihipStream_tbEUlT_E_NS1_11comp_targetILNS1_3genE0ELNS1_11target_archE4294967295ELNS1_3gpuE0ELNS1_3repE0EEENS1_30default_config_static_selectorELNS0_4arch9wavefront6targetE0EEEvT1_,comdat
.Lfunc_end155:
	.size	_ZN7rocprim17ROCPRIM_400000_NS6detail17trampoline_kernelINS0_14default_configENS1_35adjacent_difference_config_selectorILb0EjEEZNS1_24adjacent_difference_implIS3_Lb0ELb0EPjS7_N6thrust23THRUST_200600_302600_NS5minusIjEEEE10hipError_tPvRmT2_T3_mT4_P12ihipStream_tbEUlT_E_NS1_11comp_targetILNS1_3genE0ELNS1_11target_archE4294967295ELNS1_3gpuE0ELNS1_3repE0EEENS1_30default_config_static_selectorELNS0_4arch9wavefront6targetE0EEEvT1_, .Lfunc_end155-_ZN7rocprim17ROCPRIM_400000_NS6detail17trampoline_kernelINS0_14default_configENS1_35adjacent_difference_config_selectorILb0EjEEZNS1_24adjacent_difference_implIS3_Lb0ELb0EPjS7_N6thrust23THRUST_200600_302600_NS5minusIjEEEE10hipError_tPvRmT2_T3_mT4_P12ihipStream_tbEUlT_E_NS1_11comp_targetILNS1_3genE0ELNS1_11target_archE4294967295ELNS1_3gpuE0ELNS1_3repE0EEENS1_30default_config_static_selectorELNS0_4arch9wavefront6targetE0EEEvT1_
                                        ; -- End function
	.section	.AMDGPU.csdata,"",@progbits
; Kernel info:
; codeLenInByte = 0
; NumSgprs: 0
; NumVgprs: 0
; ScratchSize: 0
; MemoryBound: 0
; FloatMode: 240
; IeeeMode: 1
; LDSByteSize: 0 bytes/workgroup (compile time only)
; SGPRBlocks: 0
; VGPRBlocks: 0
; NumSGPRsForWavesPerEU: 1
; NumVGPRsForWavesPerEU: 1
; Occupancy: 16
; WaveLimiterHint : 0
; COMPUTE_PGM_RSRC2:SCRATCH_EN: 0
; COMPUTE_PGM_RSRC2:USER_SGPR: 15
; COMPUTE_PGM_RSRC2:TRAP_HANDLER: 0
; COMPUTE_PGM_RSRC2:TGID_X_EN: 1
; COMPUTE_PGM_RSRC2:TGID_Y_EN: 0
; COMPUTE_PGM_RSRC2:TGID_Z_EN: 0
; COMPUTE_PGM_RSRC2:TIDIG_COMP_CNT: 0
	.section	.text._ZN7rocprim17ROCPRIM_400000_NS6detail17trampoline_kernelINS0_14default_configENS1_35adjacent_difference_config_selectorILb0EjEEZNS1_24adjacent_difference_implIS3_Lb0ELb0EPjS7_N6thrust23THRUST_200600_302600_NS5minusIjEEEE10hipError_tPvRmT2_T3_mT4_P12ihipStream_tbEUlT_E_NS1_11comp_targetILNS1_3genE10ELNS1_11target_archE1201ELNS1_3gpuE5ELNS1_3repE0EEENS1_30default_config_static_selectorELNS0_4arch9wavefront6targetE0EEEvT1_,"axG",@progbits,_ZN7rocprim17ROCPRIM_400000_NS6detail17trampoline_kernelINS0_14default_configENS1_35adjacent_difference_config_selectorILb0EjEEZNS1_24adjacent_difference_implIS3_Lb0ELb0EPjS7_N6thrust23THRUST_200600_302600_NS5minusIjEEEE10hipError_tPvRmT2_T3_mT4_P12ihipStream_tbEUlT_E_NS1_11comp_targetILNS1_3genE10ELNS1_11target_archE1201ELNS1_3gpuE5ELNS1_3repE0EEENS1_30default_config_static_selectorELNS0_4arch9wavefront6targetE0EEEvT1_,comdat
	.protected	_ZN7rocprim17ROCPRIM_400000_NS6detail17trampoline_kernelINS0_14default_configENS1_35adjacent_difference_config_selectorILb0EjEEZNS1_24adjacent_difference_implIS3_Lb0ELb0EPjS7_N6thrust23THRUST_200600_302600_NS5minusIjEEEE10hipError_tPvRmT2_T3_mT4_P12ihipStream_tbEUlT_E_NS1_11comp_targetILNS1_3genE10ELNS1_11target_archE1201ELNS1_3gpuE5ELNS1_3repE0EEENS1_30default_config_static_selectorELNS0_4arch9wavefront6targetE0EEEvT1_ ; -- Begin function _ZN7rocprim17ROCPRIM_400000_NS6detail17trampoline_kernelINS0_14default_configENS1_35adjacent_difference_config_selectorILb0EjEEZNS1_24adjacent_difference_implIS3_Lb0ELb0EPjS7_N6thrust23THRUST_200600_302600_NS5minusIjEEEE10hipError_tPvRmT2_T3_mT4_P12ihipStream_tbEUlT_E_NS1_11comp_targetILNS1_3genE10ELNS1_11target_archE1201ELNS1_3gpuE5ELNS1_3repE0EEENS1_30default_config_static_selectorELNS0_4arch9wavefront6targetE0EEEvT1_
	.globl	_ZN7rocprim17ROCPRIM_400000_NS6detail17trampoline_kernelINS0_14default_configENS1_35adjacent_difference_config_selectorILb0EjEEZNS1_24adjacent_difference_implIS3_Lb0ELb0EPjS7_N6thrust23THRUST_200600_302600_NS5minusIjEEEE10hipError_tPvRmT2_T3_mT4_P12ihipStream_tbEUlT_E_NS1_11comp_targetILNS1_3genE10ELNS1_11target_archE1201ELNS1_3gpuE5ELNS1_3repE0EEENS1_30default_config_static_selectorELNS0_4arch9wavefront6targetE0EEEvT1_
	.p2align	8
	.type	_ZN7rocprim17ROCPRIM_400000_NS6detail17trampoline_kernelINS0_14default_configENS1_35adjacent_difference_config_selectorILb0EjEEZNS1_24adjacent_difference_implIS3_Lb0ELb0EPjS7_N6thrust23THRUST_200600_302600_NS5minusIjEEEE10hipError_tPvRmT2_T3_mT4_P12ihipStream_tbEUlT_E_NS1_11comp_targetILNS1_3genE10ELNS1_11target_archE1201ELNS1_3gpuE5ELNS1_3repE0EEENS1_30default_config_static_selectorELNS0_4arch9wavefront6targetE0EEEvT1_,@function
_ZN7rocprim17ROCPRIM_400000_NS6detail17trampoline_kernelINS0_14default_configENS1_35adjacent_difference_config_selectorILb0EjEEZNS1_24adjacent_difference_implIS3_Lb0ELb0EPjS7_N6thrust23THRUST_200600_302600_NS5minusIjEEEE10hipError_tPvRmT2_T3_mT4_P12ihipStream_tbEUlT_E_NS1_11comp_targetILNS1_3genE10ELNS1_11target_archE1201ELNS1_3gpuE5ELNS1_3repE0EEENS1_30default_config_static_selectorELNS0_4arch9wavefront6targetE0EEEvT1_: ; @_ZN7rocprim17ROCPRIM_400000_NS6detail17trampoline_kernelINS0_14default_configENS1_35adjacent_difference_config_selectorILb0EjEEZNS1_24adjacent_difference_implIS3_Lb0ELb0EPjS7_N6thrust23THRUST_200600_302600_NS5minusIjEEEE10hipError_tPvRmT2_T3_mT4_P12ihipStream_tbEUlT_E_NS1_11comp_targetILNS1_3genE10ELNS1_11target_archE1201ELNS1_3gpuE5ELNS1_3repE0EEENS1_30default_config_static_selectorELNS0_4arch9wavefront6targetE0EEEvT1_
; %bb.0:
	.section	.rodata,"a",@progbits
	.p2align	6, 0x0
	.amdhsa_kernel _ZN7rocprim17ROCPRIM_400000_NS6detail17trampoline_kernelINS0_14default_configENS1_35adjacent_difference_config_selectorILb0EjEEZNS1_24adjacent_difference_implIS3_Lb0ELb0EPjS7_N6thrust23THRUST_200600_302600_NS5minusIjEEEE10hipError_tPvRmT2_T3_mT4_P12ihipStream_tbEUlT_E_NS1_11comp_targetILNS1_3genE10ELNS1_11target_archE1201ELNS1_3gpuE5ELNS1_3repE0EEENS1_30default_config_static_selectorELNS0_4arch9wavefront6targetE0EEEvT1_
		.amdhsa_group_segment_fixed_size 0
		.amdhsa_private_segment_fixed_size 0
		.amdhsa_kernarg_size 56
		.amdhsa_user_sgpr_count 15
		.amdhsa_user_sgpr_dispatch_ptr 0
		.amdhsa_user_sgpr_queue_ptr 0
		.amdhsa_user_sgpr_kernarg_segment_ptr 1
		.amdhsa_user_sgpr_dispatch_id 0
		.amdhsa_user_sgpr_private_segment_size 0
		.amdhsa_wavefront_size32 1
		.amdhsa_uses_dynamic_stack 0
		.amdhsa_enable_private_segment 0
		.amdhsa_system_sgpr_workgroup_id_x 1
		.amdhsa_system_sgpr_workgroup_id_y 0
		.amdhsa_system_sgpr_workgroup_id_z 0
		.amdhsa_system_sgpr_workgroup_info 0
		.amdhsa_system_vgpr_workitem_id 0
		.amdhsa_next_free_vgpr 1
		.amdhsa_next_free_sgpr 1
		.amdhsa_reserve_vcc 0
		.amdhsa_float_round_mode_32 0
		.amdhsa_float_round_mode_16_64 0
		.amdhsa_float_denorm_mode_32 3
		.amdhsa_float_denorm_mode_16_64 3
		.amdhsa_dx10_clamp 1
		.amdhsa_ieee_mode 1
		.amdhsa_fp16_overflow 0
		.amdhsa_workgroup_processor_mode 1
		.amdhsa_memory_ordered 1
		.amdhsa_forward_progress 0
		.amdhsa_shared_vgpr_count 0
		.amdhsa_exception_fp_ieee_invalid_op 0
		.amdhsa_exception_fp_denorm_src 0
		.amdhsa_exception_fp_ieee_div_zero 0
		.amdhsa_exception_fp_ieee_overflow 0
		.amdhsa_exception_fp_ieee_underflow 0
		.amdhsa_exception_fp_ieee_inexact 0
		.amdhsa_exception_int_div_zero 0
	.end_amdhsa_kernel
	.section	.text._ZN7rocprim17ROCPRIM_400000_NS6detail17trampoline_kernelINS0_14default_configENS1_35adjacent_difference_config_selectorILb0EjEEZNS1_24adjacent_difference_implIS3_Lb0ELb0EPjS7_N6thrust23THRUST_200600_302600_NS5minusIjEEEE10hipError_tPvRmT2_T3_mT4_P12ihipStream_tbEUlT_E_NS1_11comp_targetILNS1_3genE10ELNS1_11target_archE1201ELNS1_3gpuE5ELNS1_3repE0EEENS1_30default_config_static_selectorELNS0_4arch9wavefront6targetE0EEEvT1_,"axG",@progbits,_ZN7rocprim17ROCPRIM_400000_NS6detail17trampoline_kernelINS0_14default_configENS1_35adjacent_difference_config_selectorILb0EjEEZNS1_24adjacent_difference_implIS3_Lb0ELb0EPjS7_N6thrust23THRUST_200600_302600_NS5minusIjEEEE10hipError_tPvRmT2_T3_mT4_P12ihipStream_tbEUlT_E_NS1_11comp_targetILNS1_3genE10ELNS1_11target_archE1201ELNS1_3gpuE5ELNS1_3repE0EEENS1_30default_config_static_selectorELNS0_4arch9wavefront6targetE0EEEvT1_,comdat
.Lfunc_end156:
	.size	_ZN7rocprim17ROCPRIM_400000_NS6detail17trampoline_kernelINS0_14default_configENS1_35adjacent_difference_config_selectorILb0EjEEZNS1_24adjacent_difference_implIS3_Lb0ELb0EPjS7_N6thrust23THRUST_200600_302600_NS5minusIjEEEE10hipError_tPvRmT2_T3_mT4_P12ihipStream_tbEUlT_E_NS1_11comp_targetILNS1_3genE10ELNS1_11target_archE1201ELNS1_3gpuE5ELNS1_3repE0EEENS1_30default_config_static_selectorELNS0_4arch9wavefront6targetE0EEEvT1_, .Lfunc_end156-_ZN7rocprim17ROCPRIM_400000_NS6detail17trampoline_kernelINS0_14default_configENS1_35adjacent_difference_config_selectorILb0EjEEZNS1_24adjacent_difference_implIS3_Lb0ELb0EPjS7_N6thrust23THRUST_200600_302600_NS5minusIjEEEE10hipError_tPvRmT2_T3_mT4_P12ihipStream_tbEUlT_E_NS1_11comp_targetILNS1_3genE10ELNS1_11target_archE1201ELNS1_3gpuE5ELNS1_3repE0EEENS1_30default_config_static_selectorELNS0_4arch9wavefront6targetE0EEEvT1_
                                        ; -- End function
	.section	.AMDGPU.csdata,"",@progbits
; Kernel info:
; codeLenInByte = 0
; NumSgprs: 0
; NumVgprs: 0
; ScratchSize: 0
; MemoryBound: 0
; FloatMode: 240
; IeeeMode: 1
; LDSByteSize: 0 bytes/workgroup (compile time only)
; SGPRBlocks: 0
; VGPRBlocks: 0
; NumSGPRsForWavesPerEU: 1
; NumVGPRsForWavesPerEU: 1
; Occupancy: 16
; WaveLimiterHint : 0
; COMPUTE_PGM_RSRC2:SCRATCH_EN: 0
; COMPUTE_PGM_RSRC2:USER_SGPR: 15
; COMPUTE_PGM_RSRC2:TRAP_HANDLER: 0
; COMPUTE_PGM_RSRC2:TGID_X_EN: 1
; COMPUTE_PGM_RSRC2:TGID_Y_EN: 0
; COMPUTE_PGM_RSRC2:TGID_Z_EN: 0
; COMPUTE_PGM_RSRC2:TIDIG_COMP_CNT: 0
	.section	.text._ZN7rocprim17ROCPRIM_400000_NS6detail17trampoline_kernelINS0_14default_configENS1_35adjacent_difference_config_selectorILb0EjEEZNS1_24adjacent_difference_implIS3_Lb0ELb0EPjS7_N6thrust23THRUST_200600_302600_NS5minusIjEEEE10hipError_tPvRmT2_T3_mT4_P12ihipStream_tbEUlT_E_NS1_11comp_targetILNS1_3genE5ELNS1_11target_archE942ELNS1_3gpuE9ELNS1_3repE0EEENS1_30default_config_static_selectorELNS0_4arch9wavefront6targetE0EEEvT1_,"axG",@progbits,_ZN7rocprim17ROCPRIM_400000_NS6detail17trampoline_kernelINS0_14default_configENS1_35adjacent_difference_config_selectorILb0EjEEZNS1_24adjacent_difference_implIS3_Lb0ELb0EPjS7_N6thrust23THRUST_200600_302600_NS5minusIjEEEE10hipError_tPvRmT2_T3_mT4_P12ihipStream_tbEUlT_E_NS1_11comp_targetILNS1_3genE5ELNS1_11target_archE942ELNS1_3gpuE9ELNS1_3repE0EEENS1_30default_config_static_selectorELNS0_4arch9wavefront6targetE0EEEvT1_,comdat
	.protected	_ZN7rocprim17ROCPRIM_400000_NS6detail17trampoline_kernelINS0_14default_configENS1_35adjacent_difference_config_selectorILb0EjEEZNS1_24adjacent_difference_implIS3_Lb0ELb0EPjS7_N6thrust23THRUST_200600_302600_NS5minusIjEEEE10hipError_tPvRmT2_T3_mT4_P12ihipStream_tbEUlT_E_NS1_11comp_targetILNS1_3genE5ELNS1_11target_archE942ELNS1_3gpuE9ELNS1_3repE0EEENS1_30default_config_static_selectorELNS0_4arch9wavefront6targetE0EEEvT1_ ; -- Begin function _ZN7rocprim17ROCPRIM_400000_NS6detail17trampoline_kernelINS0_14default_configENS1_35adjacent_difference_config_selectorILb0EjEEZNS1_24adjacent_difference_implIS3_Lb0ELb0EPjS7_N6thrust23THRUST_200600_302600_NS5minusIjEEEE10hipError_tPvRmT2_T3_mT4_P12ihipStream_tbEUlT_E_NS1_11comp_targetILNS1_3genE5ELNS1_11target_archE942ELNS1_3gpuE9ELNS1_3repE0EEENS1_30default_config_static_selectorELNS0_4arch9wavefront6targetE0EEEvT1_
	.globl	_ZN7rocprim17ROCPRIM_400000_NS6detail17trampoline_kernelINS0_14default_configENS1_35adjacent_difference_config_selectorILb0EjEEZNS1_24adjacent_difference_implIS3_Lb0ELb0EPjS7_N6thrust23THRUST_200600_302600_NS5minusIjEEEE10hipError_tPvRmT2_T3_mT4_P12ihipStream_tbEUlT_E_NS1_11comp_targetILNS1_3genE5ELNS1_11target_archE942ELNS1_3gpuE9ELNS1_3repE0EEENS1_30default_config_static_selectorELNS0_4arch9wavefront6targetE0EEEvT1_
	.p2align	8
	.type	_ZN7rocprim17ROCPRIM_400000_NS6detail17trampoline_kernelINS0_14default_configENS1_35adjacent_difference_config_selectorILb0EjEEZNS1_24adjacent_difference_implIS3_Lb0ELb0EPjS7_N6thrust23THRUST_200600_302600_NS5minusIjEEEE10hipError_tPvRmT2_T3_mT4_P12ihipStream_tbEUlT_E_NS1_11comp_targetILNS1_3genE5ELNS1_11target_archE942ELNS1_3gpuE9ELNS1_3repE0EEENS1_30default_config_static_selectorELNS0_4arch9wavefront6targetE0EEEvT1_,@function
_ZN7rocprim17ROCPRIM_400000_NS6detail17trampoline_kernelINS0_14default_configENS1_35adjacent_difference_config_selectorILb0EjEEZNS1_24adjacent_difference_implIS3_Lb0ELb0EPjS7_N6thrust23THRUST_200600_302600_NS5minusIjEEEE10hipError_tPvRmT2_T3_mT4_P12ihipStream_tbEUlT_E_NS1_11comp_targetILNS1_3genE5ELNS1_11target_archE942ELNS1_3gpuE9ELNS1_3repE0EEENS1_30default_config_static_selectorELNS0_4arch9wavefront6targetE0EEEvT1_: ; @_ZN7rocprim17ROCPRIM_400000_NS6detail17trampoline_kernelINS0_14default_configENS1_35adjacent_difference_config_selectorILb0EjEEZNS1_24adjacent_difference_implIS3_Lb0ELb0EPjS7_N6thrust23THRUST_200600_302600_NS5minusIjEEEE10hipError_tPvRmT2_T3_mT4_P12ihipStream_tbEUlT_E_NS1_11comp_targetILNS1_3genE5ELNS1_11target_archE942ELNS1_3gpuE9ELNS1_3repE0EEENS1_30default_config_static_selectorELNS0_4arch9wavefront6targetE0EEEvT1_
; %bb.0:
	.section	.rodata,"a",@progbits
	.p2align	6, 0x0
	.amdhsa_kernel _ZN7rocprim17ROCPRIM_400000_NS6detail17trampoline_kernelINS0_14default_configENS1_35adjacent_difference_config_selectorILb0EjEEZNS1_24adjacent_difference_implIS3_Lb0ELb0EPjS7_N6thrust23THRUST_200600_302600_NS5minusIjEEEE10hipError_tPvRmT2_T3_mT4_P12ihipStream_tbEUlT_E_NS1_11comp_targetILNS1_3genE5ELNS1_11target_archE942ELNS1_3gpuE9ELNS1_3repE0EEENS1_30default_config_static_selectorELNS0_4arch9wavefront6targetE0EEEvT1_
		.amdhsa_group_segment_fixed_size 0
		.amdhsa_private_segment_fixed_size 0
		.amdhsa_kernarg_size 56
		.amdhsa_user_sgpr_count 15
		.amdhsa_user_sgpr_dispatch_ptr 0
		.amdhsa_user_sgpr_queue_ptr 0
		.amdhsa_user_sgpr_kernarg_segment_ptr 1
		.amdhsa_user_sgpr_dispatch_id 0
		.amdhsa_user_sgpr_private_segment_size 0
		.amdhsa_wavefront_size32 1
		.amdhsa_uses_dynamic_stack 0
		.amdhsa_enable_private_segment 0
		.amdhsa_system_sgpr_workgroup_id_x 1
		.amdhsa_system_sgpr_workgroup_id_y 0
		.amdhsa_system_sgpr_workgroup_id_z 0
		.amdhsa_system_sgpr_workgroup_info 0
		.amdhsa_system_vgpr_workitem_id 0
		.amdhsa_next_free_vgpr 1
		.amdhsa_next_free_sgpr 1
		.amdhsa_reserve_vcc 0
		.amdhsa_float_round_mode_32 0
		.amdhsa_float_round_mode_16_64 0
		.amdhsa_float_denorm_mode_32 3
		.amdhsa_float_denorm_mode_16_64 3
		.amdhsa_dx10_clamp 1
		.amdhsa_ieee_mode 1
		.amdhsa_fp16_overflow 0
		.amdhsa_workgroup_processor_mode 1
		.amdhsa_memory_ordered 1
		.amdhsa_forward_progress 0
		.amdhsa_shared_vgpr_count 0
		.amdhsa_exception_fp_ieee_invalid_op 0
		.amdhsa_exception_fp_denorm_src 0
		.amdhsa_exception_fp_ieee_div_zero 0
		.amdhsa_exception_fp_ieee_overflow 0
		.amdhsa_exception_fp_ieee_underflow 0
		.amdhsa_exception_fp_ieee_inexact 0
		.amdhsa_exception_int_div_zero 0
	.end_amdhsa_kernel
	.section	.text._ZN7rocprim17ROCPRIM_400000_NS6detail17trampoline_kernelINS0_14default_configENS1_35adjacent_difference_config_selectorILb0EjEEZNS1_24adjacent_difference_implIS3_Lb0ELb0EPjS7_N6thrust23THRUST_200600_302600_NS5minusIjEEEE10hipError_tPvRmT2_T3_mT4_P12ihipStream_tbEUlT_E_NS1_11comp_targetILNS1_3genE5ELNS1_11target_archE942ELNS1_3gpuE9ELNS1_3repE0EEENS1_30default_config_static_selectorELNS0_4arch9wavefront6targetE0EEEvT1_,"axG",@progbits,_ZN7rocprim17ROCPRIM_400000_NS6detail17trampoline_kernelINS0_14default_configENS1_35adjacent_difference_config_selectorILb0EjEEZNS1_24adjacent_difference_implIS3_Lb0ELb0EPjS7_N6thrust23THRUST_200600_302600_NS5minusIjEEEE10hipError_tPvRmT2_T3_mT4_P12ihipStream_tbEUlT_E_NS1_11comp_targetILNS1_3genE5ELNS1_11target_archE942ELNS1_3gpuE9ELNS1_3repE0EEENS1_30default_config_static_selectorELNS0_4arch9wavefront6targetE0EEEvT1_,comdat
.Lfunc_end157:
	.size	_ZN7rocprim17ROCPRIM_400000_NS6detail17trampoline_kernelINS0_14default_configENS1_35adjacent_difference_config_selectorILb0EjEEZNS1_24adjacent_difference_implIS3_Lb0ELb0EPjS7_N6thrust23THRUST_200600_302600_NS5minusIjEEEE10hipError_tPvRmT2_T3_mT4_P12ihipStream_tbEUlT_E_NS1_11comp_targetILNS1_3genE5ELNS1_11target_archE942ELNS1_3gpuE9ELNS1_3repE0EEENS1_30default_config_static_selectorELNS0_4arch9wavefront6targetE0EEEvT1_, .Lfunc_end157-_ZN7rocprim17ROCPRIM_400000_NS6detail17trampoline_kernelINS0_14default_configENS1_35adjacent_difference_config_selectorILb0EjEEZNS1_24adjacent_difference_implIS3_Lb0ELb0EPjS7_N6thrust23THRUST_200600_302600_NS5minusIjEEEE10hipError_tPvRmT2_T3_mT4_P12ihipStream_tbEUlT_E_NS1_11comp_targetILNS1_3genE5ELNS1_11target_archE942ELNS1_3gpuE9ELNS1_3repE0EEENS1_30default_config_static_selectorELNS0_4arch9wavefront6targetE0EEEvT1_
                                        ; -- End function
	.section	.AMDGPU.csdata,"",@progbits
; Kernel info:
; codeLenInByte = 0
; NumSgprs: 0
; NumVgprs: 0
; ScratchSize: 0
; MemoryBound: 0
; FloatMode: 240
; IeeeMode: 1
; LDSByteSize: 0 bytes/workgroup (compile time only)
; SGPRBlocks: 0
; VGPRBlocks: 0
; NumSGPRsForWavesPerEU: 1
; NumVGPRsForWavesPerEU: 1
; Occupancy: 16
; WaveLimiterHint : 0
; COMPUTE_PGM_RSRC2:SCRATCH_EN: 0
; COMPUTE_PGM_RSRC2:USER_SGPR: 15
; COMPUTE_PGM_RSRC2:TRAP_HANDLER: 0
; COMPUTE_PGM_RSRC2:TGID_X_EN: 1
; COMPUTE_PGM_RSRC2:TGID_Y_EN: 0
; COMPUTE_PGM_RSRC2:TGID_Z_EN: 0
; COMPUTE_PGM_RSRC2:TIDIG_COMP_CNT: 0
	.section	.text._ZN7rocprim17ROCPRIM_400000_NS6detail17trampoline_kernelINS0_14default_configENS1_35adjacent_difference_config_selectorILb0EjEEZNS1_24adjacent_difference_implIS3_Lb0ELb0EPjS7_N6thrust23THRUST_200600_302600_NS5minusIjEEEE10hipError_tPvRmT2_T3_mT4_P12ihipStream_tbEUlT_E_NS1_11comp_targetILNS1_3genE4ELNS1_11target_archE910ELNS1_3gpuE8ELNS1_3repE0EEENS1_30default_config_static_selectorELNS0_4arch9wavefront6targetE0EEEvT1_,"axG",@progbits,_ZN7rocprim17ROCPRIM_400000_NS6detail17trampoline_kernelINS0_14default_configENS1_35adjacent_difference_config_selectorILb0EjEEZNS1_24adjacent_difference_implIS3_Lb0ELb0EPjS7_N6thrust23THRUST_200600_302600_NS5minusIjEEEE10hipError_tPvRmT2_T3_mT4_P12ihipStream_tbEUlT_E_NS1_11comp_targetILNS1_3genE4ELNS1_11target_archE910ELNS1_3gpuE8ELNS1_3repE0EEENS1_30default_config_static_selectorELNS0_4arch9wavefront6targetE0EEEvT1_,comdat
	.protected	_ZN7rocprim17ROCPRIM_400000_NS6detail17trampoline_kernelINS0_14default_configENS1_35adjacent_difference_config_selectorILb0EjEEZNS1_24adjacent_difference_implIS3_Lb0ELb0EPjS7_N6thrust23THRUST_200600_302600_NS5minusIjEEEE10hipError_tPvRmT2_T3_mT4_P12ihipStream_tbEUlT_E_NS1_11comp_targetILNS1_3genE4ELNS1_11target_archE910ELNS1_3gpuE8ELNS1_3repE0EEENS1_30default_config_static_selectorELNS0_4arch9wavefront6targetE0EEEvT1_ ; -- Begin function _ZN7rocprim17ROCPRIM_400000_NS6detail17trampoline_kernelINS0_14default_configENS1_35adjacent_difference_config_selectorILb0EjEEZNS1_24adjacent_difference_implIS3_Lb0ELb0EPjS7_N6thrust23THRUST_200600_302600_NS5minusIjEEEE10hipError_tPvRmT2_T3_mT4_P12ihipStream_tbEUlT_E_NS1_11comp_targetILNS1_3genE4ELNS1_11target_archE910ELNS1_3gpuE8ELNS1_3repE0EEENS1_30default_config_static_selectorELNS0_4arch9wavefront6targetE0EEEvT1_
	.globl	_ZN7rocprim17ROCPRIM_400000_NS6detail17trampoline_kernelINS0_14default_configENS1_35adjacent_difference_config_selectorILb0EjEEZNS1_24adjacent_difference_implIS3_Lb0ELb0EPjS7_N6thrust23THRUST_200600_302600_NS5minusIjEEEE10hipError_tPvRmT2_T3_mT4_P12ihipStream_tbEUlT_E_NS1_11comp_targetILNS1_3genE4ELNS1_11target_archE910ELNS1_3gpuE8ELNS1_3repE0EEENS1_30default_config_static_selectorELNS0_4arch9wavefront6targetE0EEEvT1_
	.p2align	8
	.type	_ZN7rocprim17ROCPRIM_400000_NS6detail17trampoline_kernelINS0_14default_configENS1_35adjacent_difference_config_selectorILb0EjEEZNS1_24adjacent_difference_implIS3_Lb0ELb0EPjS7_N6thrust23THRUST_200600_302600_NS5minusIjEEEE10hipError_tPvRmT2_T3_mT4_P12ihipStream_tbEUlT_E_NS1_11comp_targetILNS1_3genE4ELNS1_11target_archE910ELNS1_3gpuE8ELNS1_3repE0EEENS1_30default_config_static_selectorELNS0_4arch9wavefront6targetE0EEEvT1_,@function
_ZN7rocprim17ROCPRIM_400000_NS6detail17trampoline_kernelINS0_14default_configENS1_35adjacent_difference_config_selectorILb0EjEEZNS1_24adjacent_difference_implIS3_Lb0ELb0EPjS7_N6thrust23THRUST_200600_302600_NS5minusIjEEEE10hipError_tPvRmT2_T3_mT4_P12ihipStream_tbEUlT_E_NS1_11comp_targetILNS1_3genE4ELNS1_11target_archE910ELNS1_3gpuE8ELNS1_3repE0EEENS1_30default_config_static_selectorELNS0_4arch9wavefront6targetE0EEEvT1_: ; @_ZN7rocprim17ROCPRIM_400000_NS6detail17trampoline_kernelINS0_14default_configENS1_35adjacent_difference_config_selectorILb0EjEEZNS1_24adjacent_difference_implIS3_Lb0ELb0EPjS7_N6thrust23THRUST_200600_302600_NS5minusIjEEEE10hipError_tPvRmT2_T3_mT4_P12ihipStream_tbEUlT_E_NS1_11comp_targetILNS1_3genE4ELNS1_11target_archE910ELNS1_3gpuE8ELNS1_3repE0EEENS1_30default_config_static_selectorELNS0_4arch9wavefront6targetE0EEEvT1_
; %bb.0:
	.section	.rodata,"a",@progbits
	.p2align	6, 0x0
	.amdhsa_kernel _ZN7rocprim17ROCPRIM_400000_NS6detail17trampoline_kernelINS0_14default_configENS1_35adjacent_difference_config_selectorILb0EjEEZNS1_24adjacent_difference_implIS3_Lb0ELb0EPjS7_N6thrust23THRUST_200600_302600_NS5minusIjEEEE10hipError_tPvRmT2_T3_mT4_P12ihipStream_tbEUlT_E_NS1_11comp_targetILNS1_3genE4ELNS1_11target_archE910ELNS1_3gpuE8ELNS1_3repE0EEENS1_30default_config_static_selectorELNS0_4arch9wavefront6targetE0EEEvT1_
		.amdhsa_group_segment_fixed_size 0
		.amdhsa_private_segment_fixed_size 0
		.amdhsa_kernarg_size 56
		.amdhsa_user_sgpr_count 15
		.amdhsa_user_sgpr_dispatch_ptr 0
		.amdhsa_user_sgpr_queue_ptr 0
		.amdhsa_user_sgpr_kernarg_segment_ptr 1
		.amdhsa_user_sgpr_dispatch_id 0
		.amdhsa_user_sgpr_private_segment_size 0
		.amdhsa_wavefront_size32 1
		.amdhsa_uses_dynamic_stack 0
		.amdhsa_enable_private_segment 0
		.amdhsa_system_sgpr_workgroup_id_x 1
		.amdhsa_system_sgpr_workgroup_id_y 0
		.amdhsa_system_sgpr_workgroup_id_z 0
		.amdhsa_system_sgpr_workgroup_info 0
		.amdhsa_system_vgpr_workitem_id 0
		.amdhsa_next_free_vgpr 1
		.amdhsa_next_free_sgpr 1
		.amdhsa_reserve_vcc 0
		.amdhsa_float_round_mode_32 0
		.amdhsa_float_round_mode_16_64 0
		.amdhsa_float_denorm_mode_32 3
		.amdhsa_float_denorm_mode_16_64 3
		.amdhsa_dx10_clamp 1
		.amdhsa_ieee_mode 1
		.amdhsa_fp16_overflow 0
		.amdhsa_workgroup_processor_mode 1
		.amdhsa_memory_ordered 1
		.amdhsa_forward_progress 0
		.amdhsa_shared_vgpr_count 0
		.amdhsa_exception_fp_ieee_invalid_op 0
		.amdhsa_exception_fp_denorm_src 0
		.amdhsa_exception_fp_ieee_div_zero 0
		.amdhsa_exception_fp_ieee_overflow 0
		.amdhsa_exception_fp_ieee_underflow 0
		.amdhsa_exception_fp_ieee_inexact 0
		.amdhsa_exception_int_div_zero 0
	.end_amdhsa_kernel
	.section	.text._ZN7rocprim17ROCPRIM_400000_NS6detail17trampoline_kernelINS0_14default_configENS1_35adjacent_difference_config_selectorILb0EjEEZNS1_24adjacent_difference_implIS3_Lb0ELb0EPjS7_N6thrust23THRUST_200600_302600_NS5minusIjEEEE10hipError_tPvRmT2_T3_mT4_P12ihipStream_tbEUlT_E_NS1_11comp_targetILNS1_3genE4ELNS1_11target_archE910ELNS1_3gpuE8ELNS1_3repE0EEENS1_30default_config_static_selectorELNS0_4arch9wavefront6targetE0EEEvT1_,"axG",@progbits,_ZN7rocprim17ROCPRIM_400000_NS6detail17trampoline_kernelINS0_14default_configENS1_35adjacent_difference_config_selectorILb0EjEEZNS1_24adjacent_difference_implIS3_Lb0ELb0EPjS7_N6thrust23THRUST_200600_302600_NS5minusIjEEEE10hipError_tPvRmT2_T3_mT4_P12ihipStream_tbEUlT_E_NS1_11comp_targetILNS1_3genE4ELNS1_11target_archE910ELNS1_3gpuE8ELNS1_3repE0EEENS1_30default_config_static_selectorELNS0_4arch9wavefront6targetE0EEEvT1_,comdat
.Lfunc_end158:
	.size	_ZN7rocprim17ROCPRIM_400000_NS6detail17trampoline_kernelINS0_14default_configENS1_35adjacent_difference_config_selectorILb0EjEEZNS1_24adjacent_difference_implIS3_Lb0ELb0EPjS7_N6thrust23THRUST_200600_302600_NS5minusIjEEEE10hipError_tPvRmT2_T3_mT4_P12ihipStream_tbEUlT_E_NS1_11comp_targetILNS1_3genE4ELNS1_11target_archE910ELNS1_3gpuE8ELNS1_3repE0EEENS1_30default_config_static_selectorELNS0_4arch9wavefront6targetE0EEEvT1_, .Lfunc_end158-_ZN7rocprim17ROCPRIM_400000_NS6detail17trampoline_kernelINS0_14default_configENS1_35adjacent_difference_config_selectorILb0EjEEZNS1_24adjacent_difference_implIS3_Lb0ELb0EPjS7_N6thrust23THRUST_200600_302600_NS5minusIjEEEE10hipError_tPvRmT2_T3_mT4_P12ihipStream_tbEUlT_E_NS1_11comp_targetILNS1_3genE4ELNS1_11target_archE910ELNS1_3gpuE8ELNS1_3repE0EEENS1_30default_config_static_selectorELNS0_4arch9wavefront6targetE0EEEvT1_
                                        ; -- End function
	.section	.AMDGPU.csdata,"",@progbits
; Kernel info:
; codeLenInByte = 0
; NumSgprs: 0
; NumVgprs: 0
; ScratchSize: 0
; MemoryBound: 0
; FloatMode: 240
; IeeeMode: 1
; LDSByteSize: 0 bytes/workgroup (compile time only)
; SGPRBlocks: 0
; VGPRBlocks: 0
; NumSGPRsForWavesPerEU: 1
; NumVGPRsForWavesPerEU: 1
; Occupancy: 16
; WaveLimiterHint : 0
; COMPUTE_PGM_RSRC2:SCRATCH_EN: 0
; COMPUTE_PGM_RSRC2:USER_SGPR: 15
; COMPUTE_PGM_RSRC2:TRAP_HANDLER: 0
; COMPUTE_PGM_RSRC2:TGID_X_EN: 1
; COMPUTE_PGM_RSRC2:TGID_Y_EN: 0
; COMPUTE_PGM_RSRC2:TGID_Z_EN: 0
; COMPUTE_PGM_RSRC2:TIDIG_COMP_CNT: 0
	.section	.text._ZN7rocprim17ROCPRIM_400000_NS6detail17trampoline_kernelINS0_14default_configENS1_35adjacent_difference_config_selectorILb0EjEEZNS1_24adjacent_difference_implIS3_Lb0ELb0EPjS7_N6thrust23THRUST_200600_302600_NS5minusIjEEEE10hipError_tPvRmT2_T3_mT4_P12ihipStream_tbEUlT_E_NS1_11comp_targetILNS1_3genE3ELNS1_11target_archE908ELNS1_3gpuE7ELNS1_3repE0EEENS1_30default_config_static_selectorELNS0_4arch9wavefront6targetE0EEEvT1_,"axG",@progbits,_ZN7rocprim17ROCPRIM_400000_NS6detail17trampoline_kernelINS0_14default_configENS1_35adjacent_difference_config_selectorILb0EjEEZNS1_24adjacent_difference_implIS3_Lb0ELb0EPjS7_N6thrust23THRUST_200600_302600_NS5minusIjEEEE10hipError_tPvRmT2_T3_mT4_P12ihipStream_tbEUlT_E_NS1_11comp_targetILNS1_3genE3ELNS1_11target_archE908ELNS1_3gpuE7ELNS1_3repE0EEENS1_30default_config_static_selectorELNS0_4arch9wavefront6targetE0EEEvT1_,comdat
	.protected	_ZN7rocprim17ROCPRIM_400000_NS6detail17trampoline_kernelINS0_14default_configENS1_35adjacent_difference_config_selectorILb0EjEEZNS1_24adjacent_difference_implIS3_Lb0ELb0EPjS7_N6thrust23THRUST_200600_302600_NS5minusIjEEEE10hipError_tPvRmT2_T3_mT4_P12ihipStream_tbEUlT_E_NS1_11comp_targetILNS1_3genE3ELNS1_11target_archE908ELNS1_3gpuE7ELNS1_3repE0EEENS1_30default_config_static_selectorELNS0_4arch9wavefront6targetE0EEEvT1_ ; -- Begin function _ZN7rocprim17ROCPRIM_400000_NS6detail17trampoline_kernelINS0_14default_configENS1_35adjacent_difference_config_selectorILb0EjEEZNS1_24adjacent_difference_implIS3_Lb0ELb0EPjS7_N6thrust23THRUST_200600_302600_NS5minusIjEEEE10hipError_tPvRmT2_T3_mT4_P12ihipStream_tbEUlT_E_NS1_11comp_targetILNS1_3genE3ELNS1_11target_archE908ELNS1_3gpuE7ELNS1_3repE0EEENS1_30default_config_static_selectorELNS0_4arch9wavefront6targetE0EEEvT1_
	.globl	_ZN7rocprim17ROCPRIM_400000_NS6detail17trampoline_kernelINS0_14default_configENS1_35adjacent_difference_config_selectorILb0EjEEZNS1_24adjacent_difference_implIS3_Lb0ELb0EPjS7_N6thrust23THRUST_200600_302600_NS5minusIjEEEE10hipError_tPvRmT2_T3_mT4_P12ihipStream_tbEUlT_E_NS1_11comp_targetILNS1_3genE3ELNS1_11target_archE908ELNS1_3gpuE7ELNS1_3repE0EEENS1_30default_config_static_selectorELNS0_4arch9wavefront6targetE0EEEvT1_
	.p2align	8
	.type	_ZN7rocprim17ROCPRIM_400000_NS6detail17trampoline_kernelINS0_14default_configENS1_35adjacent_difference_config_selectorILb0EjEEZNS1_24adjacent_difference_implIS3_Lb0ELb0EPjS7_N6thrust23THRUST_200600_302600_NS5minusIjEEEE10hipError_tPvRmT2_T3_mT4_P12ihipStream_tbEUlT_E_NS1_11comp_targetILNS1_3genE3ELNS1_11target_archE908ELNS1_3gpuE7ELNS1_3repE0EEENS1_30default_config_static_selectorELNS0_4arch9wavefront6targetE0EEEvT1_,@function
_ZN7rocprim17ROCPRIM_400000_NS6detail17trampoline_kernelINS0_14default_configENS1_35adjacent_difference_config_selectorILb0EjEEZNS1_24adjacent_difference_implIS3_Lb0ELb0EPjS7_N6thrust23THRUST_200600_302600_NS5minusIjEEEE10hipError_tPvRmT2_T3_mT4_P12ihipStream_tbEUlT_E_NS1_11comp_targetILNS1_3genE3ELNS1_11target_archE908ELNS1_3gpuE7ELNS1_3repE0EEENS1_30default_config_static_selectorELNS0_4arch9wavefront6targetE0EEEvT1_: ; @_ZN7rocprim17ROCPRIM_400000_NS6detail17trampoline_kernelINS0_14default_configENS1_35adjacent_difference_config_selectorILb0EjEEZNS1_24adjacent_difference_implIS3_Lb0ELb0EPjS7_N6thrust23THRUST_200600_302600_NS5minusIjEEEE10hipError_tPvRmT2_T3_mT4_P12ihipStream_tbEUlT_E_NS1_11comp_targetILNS1_3genE3ELNS1_11target_archE908ELNS1_3gpuE7ELNS1_3repE0EEENS1_30default_config_static_selectorELNS0_4arch9wavefront6targetE0EEEvT1_
; %bb.0:
	.section	.rodata,"a",@progbits
	.p2align	6, 0x0
	.amdhsa_kernel _ZN7rocprim17ROCPRIM_400000_NS6detail17trampoline_kernelINS0_14default_configENS1_35adjacent_difference_config_selectorILb0EjEEZNS1_24adjacent_difference_implIS3_Lb0ELb0EPjS7_N6thrust23THRUST_200600_302600_NS5minusIjEEEE10hipError_tPvRmT2_T3_mT4_P12ihipStream_tbEUlT_E_NS1_11comp_targetILNS1_3genE3ELNS1_11target_archE908ELNS1_3gpuE7ELNS1_3repE0EEENS1_30default_config_static_selectorELNS0_4arch9wavefront6targetE0EEEvT1_
		.amdhsa_group_segment_fixed_size 0
		.amdhsa_private_segment_fixed_size 0
		.amdhsa_kernarg_size 56
		.amdhsa_user_sgpr_count 15
		.amdhsa_user_sgpr_dispatch_ptr 0
		.amdhsa_user_sgpr_queue_ptr 0
		.amdhsa_user_sgpr_kernarg_segment_ptr 1
		.amdhsa_user_sgpr_dispatch_id 0
		.amdhsa_user_sgpr_private_segment_size 0
		.amdhsa_wavefront_size32 1
		.amdhsa_uses_dynamic_stack 0
		.amdhsa_enable_private_segment 0
		.amdhsa_system_sgpr_workgroup_id_x 1
		.amdhsa_system_sgpr_workgroup_id_y 0
		.amdhsa_system_sgpr_workgroup_id_z 0
		.amdhsa_system_sgpr_workgroup_info 0
		.amdhsa_system_vgpr_workitem_id 0
		.amdhsa_next_free_vgpr 1
		.amdhsa_next_free_sgpr 1
		.amdhsa_reserve_vcc 0
		.amdhsa_float_round_mode_32 0
		.amdhsa_float_round_mode_16_64 0
		.amdhsa_float_denorm_mode_32 3
		.amdhsa_float_denorm_mode_16_64 3
		.amdhsa_dx10_clamp 1
		.amdhsa_ieee_mode 1
		.amdhsa_fp16_overflow 0
		.amdhsa_workgroup_processor_mode 1
		.amdhsa_memory_ordered 1
		.amdhsa_forward_progress 0
		.amdhsa_shared_vgpr_count 0
		.amdhsa_exception_fp_ieee_invalid_op 0
		.amdhsa_exception_fp_denorm_src 0
		.amdhsa_exception_fp_ieee_div_zero 0
		.amdhsa_exception_fp_ieee_overflow 0
		.amdhsa_exception_fp_ieee_underflow 0
		.amdhsa_exception_fp_ieee_inexact 0
		.amdhsa_exception_int_div_zero 0
	.end_amdhsa_kernel
	.section	.text._ZN7rocprim17ROCPRIM_400000_NS6detail17trampoline_kernelINS0_14default_configENS1_35adjacent_difference_config_selectorILb0EjEEZNS1_24adjacent_difference_implIS3_Lb0ELb0EPjS7_N6thrust23THRUST_200600_302600_NS5minusIjEEEE10hipError_tPvRmT2_T3_mT4_P12ihipStream_tbEUlT_E_NS1_11comp_targetILNS1_3genE3ELNS1_11target_archE908ELNS1_3gpuE7ELNS1_3repE0EEENS1_30default_config_static_selectorELNS0_4arch9wavefront6targetE0EEEvT1_,"axG",@progbits,_ZN7rocprim17ROCPRIM_400000_NS6detail17trampoline_kernelINS0_14default_configENS1_35adjacent_difference_config_selectorILb0EjEEZNS1_24adjacent_difference_implIS3_Lb0ELb0EPjS7_N6thrust23THRUST_200600_302600_NS5minusIjEEEE10hipError_tPvRmT2_T3_mT4_P12ihipStream_tbEUlT_E_NS1_11comp_targetILNS1_3genE3ELNS1_11target_archE908ELNS1_3gpuE7ELNS1_3repE0EEENS1_30default_config_static_selectorELNS0_4arch9wavefront6targetE0EEEvT1_,comdat
.Lfunc_end159:
	.size	_ZN7rocprim17ROCPRIM_400000_NS6detail17trampoline_kernelINS0_14default_configENS1_35adjacent_difference_config_selectorILb0EjEEZNS1_24adjacent_difference_implIS3_Lb0ELb0EPjS7_N6thrust23THRUST_200600_302600_NS5minusIjEEEE10hipError_tPvRmT2_T3_mT4_P12ihipStream_tbEUlT_E_NS1_11comp_targetILNS1_3genE3ELNS1_11target_archE908ELNS1_3gpuE7ELNS1_3repE0EEENS1_30default_config_static_selectorELNS0_4arch9wavefront6targetE0EEEvT1_, .Lfunc_end159-_ZN7rocprim17ROCPRIM_400000_NS6detail17trampoline_kernelINS0_14default_configENS1_35adjacent_difference_config_selectorILb0EjEEZNS1_24adjacent_difference_implIS3_Lb0ELb0EPjS7_N6thrust23THRUST_200600_302600_NS5minusIjEEEE10hipError_tPvRmT2_T3_mT4_P12ihipStream_tbEUlT_E_NS1_11comp_targetILNS1_3genE3ELNS1_11target_archE908ELNS1_3gpuE7ELNS1_3repE0EEENS1_30default_config_static_selectorELNS0_4arch9wavefront6targetE0EEEvT1_
                                        ; -- End function
	.section	.AMDGPU.csdata,"",@progbits
; Kernel info:
; codeLenInByte = 0
; NumSgprs: 0
; NumVgprs: 0
; ScratchSize: 0
; MemoryBound: 0
; FloatMode: 240
; IeeeMode: 1
; LDSByteSize: 0 bytes/workgroup (compile time only)
; SGPRBlocks: 0
; VGPRBlocks: 0
; NumSGPRsForWavesPerEU: 1
; NumVGPRsForWavesPerEU: 1
; Occupancy: 16
; WaveLimiterHint : 0
; COMPUTE_PGM_RSRC2:SCRATCH_EN: 0
; COMPUTE_PGM_RSRC2:USER_SGPR: 15
; COMPUTE_PGM_RSRC2:TRAP_HANDLER: 0
; COMPUTE_PGM_RSRC2:TGID_X_EN: 1
; COMPUTE_PGM_RSRC2:TGID_Y_EN: 0
; COMPUTE_PGM_RSRC2:TGID_Z_EN: 0
; COMPUTE_PGM_RSRC2:TIDIG_COMP_CNT: 0
	.section	.text._ZN7rocprim17ROCPRIM_400000_NS6detail17trampoline_kernelINS0_14default_configENS1_35adjacent_difference_config_selectorILb0EjEEZNS1_24adjacent_difference_implIS3_Lb0ELb0EPjS7_N6thrust23THRUST_200600_302600_NS5minusIjEEEE10hipError_tPvRmT2_T3_mT4_P12ihipStream_tbEUlT_E_NS1_11comp_targetILNS1_3genE2ELNS1_11target_archE906ELNS1_3gpuE6ELNS1_3repE0EEENS1_30default_config_static_selectorELNS0_4arch9wavefront6targetE0EEEvT1_,"axG",@progbits,_ZN7rocprim17ROCPRIM_400000_NS6detail17trampoline_kernelINS0_14default_configENS1_35adjacent_difference_config_selectorILb0EjEEZNS1_24adjacent_difference_implIS3_Lb0ELb0EPjS7_N6thrust23THRUST_200600_302600_NS5minusIjEEEE10hipError_tPvRmT2_T3_mT4_P12ihipStream_tbEUlT_E_NS1_11comp_targetILNS1_3genE2ELNS1_11target_archE906ELNS1_3gpuE6ELNS1_3repE0EEENS1_30default_config_static_selectorELNS0_4arch9wavefront6targetE0EEEvT1_,comdat
	.protected	_ZN7rocprim17ROCPRIM_400000_NS6detail17trampoline_kernelINS0_14default_configENS1_35adjacent_difference_config_selectorILb0EjEEZNS1_24adjacent_difference_implIS3_Lb0ELb0EPjS7_N6thrust23THRUST_200600_302600_NS5minusIjEEEE10hipError_tPvRmT2_T3_mT4_P12ihipStream_tbEUlT_E_NS1_11comp_targetILNS1_3genE2ELNS1_11target_archE906ELNS1_3gpuE6ELNS1_3repE0EEENS1_30default_config_static_selectorELNS0_4arch9wavefront6targetE0EEEvT1_ ; -- Begin function _ZN7rocprim17ROCPRIM_400000_NS6detail17trampoline_kernelINS0_14default_configENS1_35adjacent_difference_config_selectorILb0EjEEZNS1_24adjacent_difference_implIS3_Lb0ELb0EPjS7_N6thrust23THRUST_200600_302600_NS5minusIjEEEE10hipError_tPvRmT2_T3_mT4_P12ihipStream_tbEUlT_E_NS1_11comp_targetILNS1_3genE2ELNS1_11target_archE906ELNS1_3gpuE6ELNS1_3repE0EEENS1_30default_config_static_selectorELNS0_4arch9wavefront6targetE0EEEvT1_
	.globl	_ZN7rocprim17ROCPRIM_400000_NS6detail17trampoline_kernelINS0_14default_configENS1_35adjacent_difference_config_selectorILb0EjEEZNS1_24adjacent_difference_implIS3_Lb0ELb0EPjS7_N6thrust23THRUST_200600_302600_NS5minusIjEEEE10hipError_tPvRmT2_T3_mT4_P12ihipStream_tbEUlT_E_NS1_11comp_targetILNS1_3genE2ELNS1_11target_archE906ELNS1_3gpuE6ELNS1_3repE0EEENS1_30default_config_static_selectorELNS0_4arch9wavefront6targetE0EEEvT1_
	.p2align	8
	.type	_ZN7rocprim17ROCPRIM_400000_NS6detail17trampoline_kernelINS0_14default_configENS1_35adjacent_difference_config_selectorILb0EjEEZNS1_24adjacent_difference_implIS3_Lb0ELb0EPjS7_N6thrust23THRUST_200600_302600_NS5minusIjEEEE10hipError_tPvRmT2_T3_mT4_P12ihipStream_tbEUlT_E_NS1_11comp_targetILNS1_3genE2ELNS1_11target_archE906ELNS1_3gpuE6ELNS1_3repE0EEENS1_30default_config_static_selectorELNS0_4arch9wavefront6targetE0EEEvT1_,@function
_ZN7rocprim17ROCPRIM_400000_NS6detail17trampoline_kernelINS0_14default_configENS1_35adjacent_difference_config_selectorILb0EjEEZNS1_24adjacent_difference_implIS3_Lb0ELb0EPjS7_N6thrust23THRUST_200600_302600_NS5minusIjEEEE10hipError_tPvRmT2_T3_mT4_P12ihipStream_tbEUlT_E_NS1_11comp_targetILNS1_3genE2ELNS1_11target_archE906ELNS1_3gpuE6ELNS1_3repE0EEENS1_30default_config_static_selectorELNS0_4arch9wavefront6targetE0EEEvT1_: ; @_ZN7rocprim17ROCPRIM_400000_NS6detail17trampoline_kernelINS0_14default_configENS1_35adjacent_difference_config_selectorILb0EjEEZNS1_24adjacent_difference_implIS3_Lb0ELb0EPjS7_N6thrust23THRUST_200600_302600_NS5minusIjEEEE10hipError_tPvRmT2_T3_mT4_P12ihipStream_tbEUlT_E_NS1_11comp_targetILNS1_3genE2ELNS1_11target_archE906ELNS1_3gpuE6ELNS1_3repE0EEENS1_30default_config_static_selectorELNS0_4arch9wavefront6targetE0EEEvT1_
; %bb.0:
	.section	.rodata,"a",@progbits
	.p2align	6, 0x0
	.amdhsa_kernel _ZN7rocprim17ROCPRIM_400000_NS6detail17trampoline_kernelINS0_14default_configENS1_35adjacent_difference_config_selectorILb0EjEEZNS1_24adjacent_difference_implIS3_Lb0ELb0EPjS7_N6thrust23THRUST_200600_302600_NS5minusIjEEEE10hipError_tPvRmT2_T3_mT4_P12ihipStream_tbEUlT_E_NS1_11comp_targetILNS1_3genE2ELNS1_11target_archE906ELNS1_3gpuE6ELNS1_3repE0EEENS1_30default_config_static_selectorELNS0_4arch9wavefront6targetE0EEEvT1_
		.amdhsa_group_segment_fixed_size 0
		.amdhsa_private_segment_fixed_size 0
		.amdhsa_kernarg_size 56
		.amdhsa_user_sgpr_count 15
		.amdhsa_user_sgpr_dispatch_ptr 0
		.amdhsa_user_sgpr_queue_ptr 0
		.amdhsa_user_sgpr_kernarg_segment_ptr 1
		.amdhsa_user_sgpr_dispatch_id 0
		.amdhsa_user_sgpr_private_segment_size 0
		.amdhsa_wavefront_size32 1
		.amdhsa_uses_dynamic_stack 0
		.amdhsa_enable_private_segment 0
		.amdhsa_system_sgpr_workgroup_id_x 1
		.amdhsa_system_sgpr_workgroup_id_y 0
		.amdhsa_system_sgpr_workgroup_id_z 0
		.amdhsa_system_sgpr_workgroup_info 0
		.amdhsa_system_vgpr_workitem_id 0
		.amdhsa_next_free_vgpr 1
		.amdhsa_next_free_sgpr 1
		.amdhsa_reserve_vcc 0
		.amdhsa_float_round_mode_32 0
		.amdhsa_float_round_mode_16_64 0
		.amdhsa_float_denorm_mode_32 3
		.amdhsa_float_denorm_mode_16_64 3
		.amdhsa_dx10_clamp 1
		.amdhsa_ieee_mode 1
		.amdhsa_fp16_overflow 0
		.amdhsa_workgroup_processor_mode 1
		.amdhsa_memory_ordered 1
		.amdhsa_forward_progress 0
		.amdhsa_shared_vgpr_count 0
		.amdhsa_exception_fp_ieee_invalid_op 0
		.amdhsa_exception_fp_denorm_src 0
		.amdhsa_exception_fp_ieee_div_zero 0
		.amdhsa_exception_fp_ieee_overflow 0
		.amdhsa_exception_fp_ieee_underflow 0
		.amdhsa_exception_fp_ieee_inexact 0
		.amdhsa_exception_int_div_zero 0
	.end_amdhsa_kernel
	.section	.text._ZN7rocprim17ROCPRIM_400000_NS6detail17trampoline_kernelINS0_14default_configENS1_35adjacent_difference_config_selectorILb0EjEEZNS1_24adjacent_difference_implIS3_Lb0ELb0EPjS7_N6thrust23THRUST_200600_302600_NS5minusIjEEEE10hipError_tPvRmT2_T3_mT4_P12ihipStream_tbEUlT_E_NS1_11comp_targetILNS1_3genE2ELNS1_11target_archE906ELNS1_3gpuE6ELNS1_3repE0EEENS1_30default_config_static_selectorELNS0_4arch9wavefront6targetE0EEEvT1_,"axG",@progbits,_ZN7rocprim17ROCPRIM_400000_NS6detail17trampoline_kernelINS0_14default_configENS1_35adjacent_difference_config_selectorILb0EjEEZNS1_24adjacent_difference_implIS3_Lb0ELb0EPjS7_N6thrust23THRUST_200600_302600_NS5minusIjEEEE10hipError_tPvRmT2_T3_mT4_P12ihipStream_tbEUlT_E_NS1_11comp_targetILNS1_3genE2ELNS1_11target_archE906ELNS1_3gpuE6ELNS1_3repE0EEENS1_30default_config_static_selectorELNS0_4arch9wavefront6targetE0EEEvT1_,comdat
.Lfunc_end160:
	.size	_ZN7rocprim17ROCPRIM_400000_NS6detail17trampoline_kernelINS0_14default_configENS1_35adjacent_difference_config_selectorILb0EjEEZNS1_24adjacent_difference_implIS3_Lb0ELb0EPjS7_N6thrust23THRUST_200600_302600_NS5minusIjEEEE10hipError_tPvRmT2_T3_mT4_P12ihipStream_tbEUlT_E_NS1_11comp_targetILNS1_3genE2ELNS1_11target_archE906ELNS1_3gpuE6ELNS1_3repE0EEENS1_30default_config_static_selectorELNS0_4arch9wavefront6targetE0EEEvT1_, .Lfunc_end160-_ZN7rocprim17ROCPRIM_400000_NS6detail17trampoline_kernelINS0_14default_configENS1_35adjacent_difference_config_selectorILb0EjEEZNS1_24adjacent_difference_implIS3_Lb0ELb0EPjS7_N6thrust23THRUST_200600_302600_NS5minusIjEEEE10hipError_tPvRmT2_T3_mT4_P12ihipStream_tbEUlT_E_NS1_11comp_targetILNS1_3genE2ELNS1_11target_archE906ELNS1_3gpuE6ELNS1_3repE0EEENS1_30default_config_static_selectorELNS0_4arch9wavefront6targetE0EEEvT1_
                                        ; -- End function
	.section	.AMDGPU.csdata,"",@progbits
; Kernel info:
; codeLenInByte = 0
; NumSgprs: 0
; NumVgprs: 0
; ScratchSize: 0
; MemoryBound: 0
; FloatMode: 240
; IeeeMode: 1
; LDSByteSize: 0 bytes/workgroup (compile time only)
; SGPRBlocks: 0
; VGPRBlocks: 0
; NumSGPRsForWavesPerEU: 1
; NumVGPRsForWavesPerEU: 1
; Occupancy: 16
; WaveLimiterHint : 0
; COMPUTE_PGM_RSRC2:SCRATCH_EN: 0
; COMPUTE_PGM_RSRC2:USER_SGPR: 15
; COMPUTE_PGM_RSRC2:TRAP_HANDLER: 0
; COMPUTE_PGM_RSRC2:TGID_X_EN: 1
; COMPUTE_PGM_RSRC2:TGID_Y_EN: 0
; COMPUTE_PGM_RSRC2:TGID_Z_EN: 0
; COMPUTE_PGM_RSRC2:TIDIG_COMP_CNT: 0
	.section	.text._ZN7rocprim17ROCPRIM_400000_NS6detail17trampoline_kernelINS0_14default_configENS1_35adjacent_difference_config_selectorILb0EjEEZNS1_24adjacent_difference_implIS3_Lb0ELb0EPjS7_N6thrust23THRUST_200600_302600_NS5minusIjEEEE10hipError_tPvRmT2_T3_mT4_P12ihipStream_tbEUlT_E_NS1_11comp_targetILNS1_3genE9ELNS1_11target_archE1100ELNS1_3gpuE3ELNS1_3repE0EEENS1_30default_config_static_selectorELNS0_4arch9wavefront6targetE0EEEvT1_,"axG",@progbits,_ZN7rocprim17ROCPRIM_400000_NS6detail17trampoline_kernelINS0_14default_configENS1_35adjacent_difference_config_selectorILb0EjEEZNS1_24adjacent_difference_implIS3_Lb0ELb0EPjS7_N6thrust23THRUST_200600_302600_NS5minusIjEEEE10hipError_tPvRmT2_T3_mT4_P12ihipStream_tbEUlT_E_NS1_11comp_targetILNS1_3genE9ELNS1_11target_archE1100ELNS1_3gpuE3ELNS1_3repE0EEENS1_30default_config_static_selectorELNS0_4arch9wavefront6targetE0EEEvT1_,comdat
	.protected	_ZN7rocprim17ROCPRIM_400000_NS6detail17trampoline_kernelINS0_14default_configENS1_35adjacent_difference_config_selectorILb0EjEEZNS1_24adjacent_difference_implIS3_Lb0ELb0EPjS7_N6thrust23THRUST_200600_302600_NS5minusIjEEEE10hipError_tPvRmT2_T3_mT4_P12ihipStream_tbEUlT_E_NS1_11comp_targetILNS1_3genE9ELNS1_11target_archE1100ELNS1_3gpuE3ELNS1_3repE0EEENS1_30default_config_static_selectorELNS0_4arch9wavefront6targetE0EEEvT1_ ; -- Begin function _ZN7rocprim17ROCPRIM_400000_NS6detail17trampoline_kernelINS0_14default_configENS1_35adjacent_difference_config_selectorILb0EjEEZNS1_24adjacent_difference_implIS3_Lb0ELb0EPjS7_N6thrust23THRUST_200600_302600_NS5minusIjEEEE10hipError_tPvRmT2_T3_mT4_P12ihipStream_tbEUlT_E_NS1_11comp_targetILNS1_3genE9ELNS1_11target_archE1100ELNS1_3gpuE3ELNS1_3repE0EEENS1_30default_config_static_selectorELNS0_4arch9wavefront6targetE0EEEvT1_
	.globl	_ZN7rocprim17ROCPRIM_400000_NS6detail17trampoline_kernelINS0_14default_configENS1_35adjacent_difference_config_selectorILb0EjEEZNS1_24adjacent_difference_implIS3_Lb0ELb0EPjS7_N6thrust23THRUST_200600_302600_NS5minusIjEEEE10hipError_tPvRmT2_T3_mT4_P12ihipStream_tbEUlT_E_NS1_11comp_targetILNS1_3genE9ELNS1_11target_archE1100ELNS1_3gpuE3ELNS1_3repE0EEENS1_30default_config_static_selectorELNS0_4arch9wavefront6targetE0EEEvT1_
	.p2align	8
	.type	_ZN7rocprim17ROCPRIM_400000_NS6detail17trampoline_kernelINS0_14default_configENS1_35adjacent_difference_config_selectorILb0EjEEZNS1_24adjacent_difference_implIS3_Lb0ELb0EPjS7_N6thrust23THRUST_200600_302600_NS5minusIjEEEE10hipError_tPvRmT2_T3_mT4_P12ihipStream_tbEUlT_E_NS1_11comp_targetILNS1_3genE9ELNS1_11target_archE1100ELNS1_3gpuE3ELNS1_3repE0EEENS1_30default_config_static_selectorELNS0_4arch9wavefront6targetE0EEEvT1_,@function
_ZN7rocprim17ROCPRIM_400000_NS6detail17trampoline_kernelINS0_14default_configENS1_35adjacent_difference_config_selectorILb0EjEEZNS1_24adjacent_difference_implIS3_Lb0ELb0EPjS7_N6thrust23THRUST_200600_302600_NS5minusIjEEEE10hipError_tPvRmT2_T3_mT4_P12ihipStream_tbEUlT_E_NS1_11comp_targetILNS1_3genE9ELNS1_11target_archE1100ELNS1_3gpuE3ELNS1_3repE0EEENS1_30default_config_static_selectorELNS0_4arch9wavefront6targetE0EEEvT1_: ; @_ZN7rocprim17ROCPRIM_400000_NS6detail17trampoline_kernelINS0_14default_configENS1_35adjacent_difference_config_selectorILb0EjEEZNS1_24adjacent_difference_implIS3_Lb0ELb0EPjS7_N6thrust23THRUST_200600_302600_NS5minusIjEEEE10hipError_tPvRmT2_T3_mT4_P12ihipStream_tbEUlT_E_NS1_11comp_targetILNS1_3genE9ELNS1_11target_archE1100ELNS1_3gpuE3ELNS1_3repE0EEENS1_30default_config_static_selectorELNS0_4arch9wavefront6targetE0EEEvT1_
; %bb.0:
	s_load_b256 s[4:11], s[0:1], 0x0
	s_mov_b32 s2, 0x2cccca00
	s_waitcnt lgkmcnt(0)
	s_lshl_b64 s[6:7], s[6:7], 2
	s_delay_alu instid0(SALU_CYCLE_1) | instskip(SKIP_4) | instid1(VALU_DEP_1)
	s_add_u32 s17, s4, s6
	s_addc_u32 s18, s5, s7
	s_add_u32 s2, 0x230, s2
	s_addc_u32 s3, 0, 0
	v_add_co_u32 v1, s2, 0xa0000000, s2
	s_cmp_lg_u32 s2, 0
	s_addc_u32 s3, s3, 0xccccc
	s_delay_alu instid0(VALU_DEP_1) | instskip(SKIP_1) | instid1(VALU_DEP_1)
	v_readfirstlane_b32 s2, v1
	s_mul_i32 s4, s3, 0xffffec00
	s_mul_hi_u32 s5, s2, 0xffffec00
	s_mul_i32 s12, s2, 0xffffec00
	s_sub_i32 s5, s5, s2
	s_mul_hi_u32 s13, s2, s12
	s_add_i32 s5, s5, s4
	s_mul_hi_u32 s14, s3, s12
	s_mul_i32 s4, s3, s12
	s_mul_hi_u32 s12, s2, s5
	s_mul_i32 s2, s2, s5
	s_mul_hi_u32 s16, s3, s5
	s_add_u32 s2, s13, s2
	s_addc_u32 s12, 0, s12
	s_add_u32 s2, s2, s4
	s_mul_i32 s5, s3, s5
	s_addc_u32 s2, s12, s14
	s_addc_u32 s4, s16, 0
	s_add_u32 s2, s2, s5
	s_addc_u32 s4, 0, s4
	v_add_co_u32 v1, s2, v1, s2
	s_delay_alu instid0(VALU_DEP_1) | instskip(SKIP_1) | instid1(VALU_DEP_1)
	s_cmp_lg_u32 s2, 0
	s_addc_u32 s2, s3, s4
	v_readfirstlane_b32 s3, v1
	s_mul_i32 s5, s10, s2
	s_mul_hi_u32 s4, s10, s2
	s_mul_hi_u32 s12, s11, s2
	s_mul_i32 s2, s11, s2
	s_mul_hi_u32 s13, s10, s3
	s_mul_hi_u32 s14, s11, s3
	s_mul_i32 s3, s11, s3
	s_add_u32 s5, s13, s5
	s_addc_u32 s4, 0, s4
	s_add_u32 s3, s5, s3
	s_addc_u32 s3, s4, s14
	s_addc_u32 s4, s12, 0
	s_add_u32 s5, s3, s2
	s_addc_u32 s4, 0, s4
	s_mul_i32 s3, s5, 0x1400
	s_add_u32 s2, s5, 1
	v_sub_co_u32 v1, s3, s10, s3
	s_mul_hi_u32 s12, s5, 0x1400
	s_addc_u32 s13, s4, 0
	s_mul_i32 s14, s4, 0x1400
	s_delay_alu instid0(VALU_DEP_1)
	v_subrev_co_u32 v2, s16, 0x1400, v1
	s_add_u32 s19, s5, 2
	s_addc_u32 s20, s4, 0
	s_add_i32 s12, s12, s14
	s_cmp_lg_u32 s3, 0
	v_readfirstlane_b32 s3, v2
	s_subb_u32 s12, s11, s12
	s_cmp_lg_u32 s16, 0
	s_subb_u32 s14, s12, 0
	s_delay_alu instid0(VALU_DEP_1) | instskip(SKIP_4) | instid1(SALU_CYCLE_1)
	s_cmpk_gt_u32 s3, 0x13ff
	s_cselect_b32 s3, -1, 0
	s_cmp_eq_u32 s14, 0
	v_readfirstlane_b32 s14, v1
	s_cselect_b32 s3, s3, -1
	s_cmp_lg_u32 s3, 0
	s_cselect_b32 s16, s19, s2
	s_cselect_b32 s13, s20, s13
	s_cmpk_gt_u32 s14, 0x13ff
	s_mov_b32 s14, -1
	s_cselect_b32 s2, -1, 0
	s_cmp_eq_u32 s12, 0
	s_cselect_b32 s2, s2, -1
	s_delay_alu instid0(SALU_CYCLE_1)
	s_cmp_lg_u32 s2, 0
	s_load_b64 s[2:3], s[0:1], 0x30
	s_cselect_b32 s4, s13, s4
	s_cselect_b32 s5, s16, s5
	s_mul_i32 s0, s4, 0x1400
	s_mul_hi_u32 s1, s5, 0x1400
	s_mul_i32 s12, s5, 0x1400
	s_add_i32 s1, s1, s0
	s_sub_u32 s0, s10, s12
	s_subb_u32 s1, s11, s1
	s_delay_alu instid0(SALU_CYCLE_1) | instskip(SKIP_1) | instid1(SALU_CYCLE_1)
	s_cmp_lg_u64 s[0:1], 0
	s_cselect_b32 s0, -1, 0
	v_cndmask_b32_e64 v1, 0, 1, s0
	s_delay_alu instid0(VALU_DEP_1) | instskip(NEXT) | instid1(VALU_DEP_1)
	v_readfirstlane_b32 s0, v1
	s_add_u32 s0, s5, s0
	s_addc_u32 s1, s4, 0
	s_waitcnt lgkmcnt(0)
	s_add_u32 s4, s2, s15
	s_addc_u32 s5, s3, 0
	s_add_u32 s12, s0, -1
	s_addc_u32 s13, s1, -1
	s_mul_i32 s2, s15, 0x1400
	v_cmp_ge_u64_e64 s16, s[4:5], s[12:13]
	s_mov_b32 s3, 0
	s_mul_i32 s11, s12, 0xffffec00
	s_delay_alu instid0(VALU_DEP_1)
	s_and_b32 vcc_lo, exec_lo, s16
	s_cbranch_vccz .LBB161_12
; %bb.1:
	s_lshl_b64 s[14:15], s[2:3], 2
	s_add_i32 s19, s11, s10
	s_add_u32 s14, s17, s14
	s_addc_u32 s15, s18, s15
	s_mov_b32 s3, exec_lo
                                        ; implicit-def: $vgpr1_vgpr2_vgpr3_vgpr4_vgpr5
	v_cmpx_gt_u32_e64 s19, v0
	s_cbranch_execz .LBB161_3
; %bb.2:
	v_lshlrev_b32_e32 v1, 2, v0
	global_load_b32 v1, v1, s[14:15]
.LBB161_3:
	s_or_b32 exec_lo, exec_lo, s3
	v_or_b32_e32 v6, 0x400, v0
	s_mov_b32 s3, exec_lo
	s_delay_alu instid0(VALU_DEP_1)
	v_cmpx_gt_u32_e64 s19, v6
	s_cbranch_execz .LBB161_5
; %bb.4:
	v_lshlrev_b32_e32 v2, 2, v6
	global_load_b32 v2, v2, s[14:15]
.LBB161_5:
	s_or_b32 exec_lo, exec_lo, s3
	v_or_b32_e32 v6, 0x800, v0
	s_mov_b32 s3, exec_lo
	s_delay_alu instid0(VALU_DEP_1)
	;; [unrolled: 10-line block ×4, first 2 shown]
	v_cmpx_gt_u32_e64 s19, v6
	s_cbranch_execz .LBB161_11
; %bb.10:
	v_lshlrev_b32_e32 v5, 2, v6
	global_load_b32 v5, v5, s[14:15]
.LBB161_11:
	s_or_b32 exec_lo, exec_lo, s3
	v_lshlrev_b32_e32 v6, 2, v0
	s_mov_b32 s14, 0
	s_waitcnt vmcnt(0)
	ds_store_2addr_stride64_b32 v6, v1, v2 offset1:16
	ds_store_2addr_stride64_b32 v6, v3, v4 offset0:32 offset1:48
	ds_store_b32 v6, v5 offset:16384
	s_waitcnt lgkmcnt(0)
	s_barrier
.LBB161_12:
	v_lshlrev_b32_e32 v8, 2, v0
	s_and_b32 vcc_lo, exec_lo, s14
	s_cbranch_vccz .LBB161_14
; %bb.13:
	s_mov_b32 s3, 0
	s_delay_alu instid0(SALU_CYCLE_1) | instskip(NEXT) | instid1(SALU_CYCLE_1)
	s_lshl_b64 s[14:15], s[2:3], 2
	s_add_u32 s14, s17, s14
	s_addc_u32 s15, s18, s15
	v_add_co_u32 v3, s3, s14, v8
	s_delay_alu instid0(VALU_DEP_1) | instskip(NEXT) | instid1(VALU_DEP_2)
	v_add_co_ci_u32_e64 v4, null, s15, 0, s3
	v_add_co_u32 v1, vcc_lo, v3, 0x2000
	s_delay_alu instid0(VALU_DEP_2)
	v_add_co_ci_u32_e32 v2, vcc_lo, 0, v4, vcc_lo
	v_add_co_u32 v3, vcc_lo, v3, 0x4000
	v_add_co_ci_u32_e32 v4, vcc_lo, 0, v4, vcc_lo
	s_clause 0x4
	global_load_b32 v5, v8, s[14:15]
	global_load_b32 v6, v[1:2], off offset:-4096
	global_load_b32 v1, v[1:2], off
	global_load_b32 v2, v[3:4], off offset:-4096
	global_load_b32 v3, v[3:4], off
	s_waitcnt vmcnt(3)
	ds_store_2addr_stride64_b32 v8, v5, v6 offset1:16
	s_waitcnt vmcnt(1)
	ds_store_2addr_stride64_b32 v8, v1, v2 offset0:32 offset1:48
	s_waitcnt vmcnt(0)
	ds_store_b32 v8, v3 offset:16384
	s_waitcnt lgkmcnt(0)
	s_barrier
.LBB161_14:
	v_mul_u32_u24_e32 v1, 5, v0
	buffer_gl0_inv
	s_cmp_eq_u64 s[4:5], 0
	v_lshlrev_b32_e32 v5, 2, v1
	ds_load_2addr_b32 v[1:2], v5 offset1:1
	ds_load_2addr_b32 v[3:4], v5 offset0:2 offset1:3
	ds_load_b32 v5, v5 offset:16
	s_waitcnt lgkmcnt(0)
	s_barrier
	buffer_gl0_inv
	s_cbranch_scc1 .LBB161_19
; %bb.15:
	s_mov_b32 s3, 0
	s_delay_alu instid0(SALU_CYCLE_1) | instskip(NEXT) | instid1(SALU_CYCLE_1)
	s_lshl_b64 s[14:15], s[2:3], 2
	s_add_u32 s3, s17, s14
	s_addc_u32 s15, s18, s15
	s_add_u32 s14, s3, -4
	s_addc_u32 s15, s15, -1
	s_cmp_eq_u64 s[4:5], s[12:13]
	s_load_b32 s3, s[14:15], 0x0
	s_cbranch_scc1 .LBB161_20
; %bb.16:
	s_waitcnt lgkmcnt(0)
	v_mov_b32_e32 v6, s3
	s_mov_b32 s5, exec_lo
	ds_store_b32 v8, v5
	s_waitcnt lgkmcnt(0)
	s_barrier
	buffer_gl0_inv
	v_cmpx_ne_u32_e32 0, v0
	s_cbranch_execz .LBB161_18
; %bb.17:
	v_add_nc_u32_e32 v6, -4, v8
	ds_load_b32 v6, v6
.LBB161_18:
	s_or_b32 exec_lo, exec_lo, s5
	v_sub_nc_u32_e32 v9, v5, v4
	v_sub_nc_u32_e32 v10, v4, v3
	;; [unrolled: 1-line block ×4, first 2 shown]
	s_cbranch_execz .LBB161_21
	s_branch .LBB161_24
.LBB161_19:
	s_mov_b32 s3, 0
                                        ; implicit-def: $vgpr9
                                        ; implicit-def: $vgpr10
                                        ; implicit-def: $vgpr11
                                        ; implicit-def: $vgpr12
                                        ; implicit-def: $vgpr6
	s_branch .LBB161_25
.LBB161_20:
                                        ; implicit-def: $vgpr9
                                        ; implicit-def: $vgpr10
                                        ; implicit-def: $vgpr11
                                        ; implicit-def: $vgpr12
                                        ; implicit-def: $vgpr6
.LBB161_21:
	s_waitcnt lgkmcnt(0)
	v_mul_u32_u24_e32 v6, 5, v0
	v_mov_b32_e32 v7, s3
	s_mov_b32 s3, exec_lo
	ds_store_b32 v8, v5
	s_waitcnt lgkmcnt(0)
	s_barrier
	buffer_gl0_inv
	v_cmpx_ne_u32_e32 0, v0
	s_cbranch_execz .LBB161_23
; %bb.22:
	v_add_nc_u32_e32 v7, -4, v8
	ds_load_b32 v7, v7
.LBB161_23:
	s_or_b32 exec_lo, exec_lo, s3
	v_sub_nc_u32_e32 v11, v4, v3
	v_add_nc_u32_e32 v9, 4, v6
	s_mul_i32 s3, s4, 0xffffec00
	v_sub_nc_u32_e32 v10, v5, v4
	s_add_i32 s3, s3, s10
	v_sub_nc_u32_e32 v13, v3, v2
	v_cmp_gt_u32_e32 vcc_lo, s3, v9
	v_sub_nc_u32_e32 v15, v2, v1
	v_add_nc_u32_e32 v12, 2, v6
	v_add_nc_u32_e32 v14, 1, v6
	v_cndmask_b32_e32 v9, v5, v10, vcc_lo
	v_add_nc_u32_e32 v10, 3, v6
	s_delay_alu instid0(VALU_DEP_1)
	v_cmp_gt_u32_e32 vcc_lo, s3, v10
	v_cndmask_b32_e32 v10, v4, v11, vcc_lo
	v_cmp_gt_u32_e32 vcc_lo, s3, v12
	v_cndmask_b32_e32 v11, v3, v13, vcc_lo
	;; [unrolled: 2-line block ×3, first 2 shown]
	v_cmp_gt_u32_e32 vcc_lo, s3, v6
	s_waitcnt lgkmcnt(0)
	v_cndmask_b32_e32 v6, 0, v7, vcc_lo
.LBB161_24:
	s_waitcnt lgkmcnt(0)
	s_mov_b32 s3, -1
	s_cbranch_execnz .LBB161_33
.LBB161_25:
	v_sub_nc_u32_e32 v9, v5, v4
	v_sub_nc_u32_e32 v10, v4, v3
	;; [unrolled: 1-line block ×4, first 2 shown]
	v_cmp_ne_u32_e32 vcc_lo, 0, v0
	s_cmp_lg_u64 s[0:1], 1
	s_cbranch_scc0 .LBB161_29
; %bb.26:
	s_mov_b32 s0, 0
	ds_store_b32 v8, v5
	s_waitcnt lgkmcnt(0)
	s_barrier
	buffer_gl0_inv
                                        ; implicit-def: $vgpr6
	s_and_saveexec_b32 s1, vcc_lo
	s_cbranch_execz .LBB161_28
; %bb.27:
	v_add_nc_u32_e32 v6, -4, v8
	s_or_b32 s3, s3, exec_lo
	ds_load_b32 v6, v6
.LBB161_28:
	s_or_b32 exec_lo, exec_lo, s1
	s_delay_alu instid0(SALU_CYCLE_1)
	s_and_b32 vcc_lo, exec_lo, s0
	s_cbranch_vccnz .LBB161_30
	s_branch .LBB161_33
.LBB161_29:
                                        ; implicit-def: $vgpr6
	s_cbranch_execz .LBB161_33
.LBB161_30:
	s_waitcnt lgkmcnt(0)
	v_mad_u32_u24 v6, v0, 5, 4
	v_mad_u32_u24 v7, v0, 5, 3
	;; [unrolled: 1-line block ×3, first 2 shown]
	v_mul_u32_u24_e32 v13, 5, v0
	ds_store_b32 v8, v5
	v_cmp_gt_u32_e32 vcc_lo, s10, v6
	s_waitcnt lgkmcnt(0)
	s_barrier
	v_cmp_gt_u32_e64 s0, s10, v13
	buffer_gl0_inv
	v_cndmask_b32_e32 v9, v5, v9, vcc_lo
	v_cmp_gt_u32_e32 vcc_lo, s10, v7
                                        ; implicit-def: $vgpr6
	v_cndmask_b32_e32 v10, v4, v10, vcc_lo
	v_mad_u32_u24 v4, v0, 5, 1
	v_cmp_gt_u32_e32 vcc_lo, s10, v14
	s_delay_alu instid0(VALU_DEP_2) | instskip(SKIP_2) | instid1(VALU_DEP_3)
	v_cmp_gt_u32_e64 s1, s10, v4
	v_cndmask_b32_e32 v11, v3, v11, vcc_lo
	v_cmp_ne_u32_e32 vcc_lo, 0, v0
	v_cndmask_b32_e64 v12, v2, v12, s1
	s_and_b32 s1, vcc_lo, s0
	s_delay_alu instid0(SALU_CYCLE_1)
	s_and_saveexec_b32 s0, s1
	s_cbranch_execz .LBB161_32
; %bb.31:
	v_add_nc_u32_e32 v2, -4, v8
	s_or_b32 s3, s3, exec_lo
	ds_load_b32 v6, v2
.LBB161_32:
	s_or_b32 exec_lo, exec_lo, s0
.LBB161_33:
	s_and_saveexec_b32 s0, s3
	s_cbranch_execz .LBB161_35
; %bb.34:
	s_waitcnt lgkmcnt(0)
	v_sub_nc_u32_e32 v1, v1, v6
.LBB161_35:
	s_or_b32 exec_lo, exec_lo, s0
	v_mul_u32_u24_e32 v13, 20, v0
	v_lshlrev_b32_e32 v14, 4, v0
	s_add_u32 s1, s8, s6
	s_addc_u32 s0, s9, s7
	s_and_b32 vcc_lo, exec_lo, s16
	s_waitcnt lgkmcnt(0)
	s_barrier
	buffer_gl0_inv
	s_cbranch_vccz .LBB161_45
; %bb.36:
	v_sub_nc_u32_e32 v2, v13, v14
	ds_store_2addr_b32 v13, v1, v12 offset1:1
	ds_store_2addr_b32 v13, v11, v10 offset0:2 offset1:3
	ds_store_b32 v13, v9 offset:16
	s_waitcnt lgkmcnt(0)
	s_barrier
	buffer_gl0_inv
	ds_load_2addr_stride64_b32 v[6:7], v2 offset0:16 offset1:32
	ds_load_2addr_stride64_b32 v[2:3], v2 offset0:48 offset1:64
	s_mov_b32 s3, 0
	s_add_i32 s11, s11, s10
	s_lshl_b64 s[4:5], s[2:3], 2
	s_delay_alu instid0(SALU_CYCLE_1) | instskip(SKIP_2) | instid1(VALU_DEP_1)
	s_add_u32 s3, s1, s4
	s_addc_u32 s4, s0, s5
	v_add_co_u32 v4, s3, s3, v8
	v_add_co_ci_u32_e64 v5, null, s4, 0, s3
	s_mov_b32 s3, exec_lo
	v_cmpx_gt_u32_e64 s11, v0
	s_cbranch_execz .LBB161_38
; %bb.37:
	v_sub_nc_u32_e32 v15, 0, v14
	s_delay_alu instid0(VALU_DEP_1)
	v_add_nc_u32_e32 v15, v13, v15
	ds_load_b32 v15, v15
	s_waitcnt lgkmcnt(0)
	global_store_b32 v[4:5], v15, off
.LBB161_38:
	s_or_b32 exec_lo, exec_lo, s3
	v_or_b32_e32 v15, 0x400, v0
	s_mov_b32 s3, exec_lo
	s_delay_alu instid0(VALU_DEP_1)
	v_cmpx_gt_u32_e64 s11, v15
	s_cbranch_execz .LBB161_40
; %bb.39:
	v_add_co_u32 v15, vcc_lo, 0x1000, v4
	v_add_co_ci_u32_e32 v16, vcc_lo, 0, v5, vcc_lo
	s_waitcnt lgkmcnt(1)
	global_store_b32 v[15:16], v6, off
.LBB161_40:
	s_or_b32 exec_lo, exec_lo, s3
	s_waitcnt lgkmcnt(1)
	v_or_b32_e32 v6, 0x800, v0
	s_mov_b32 s3, exec_lo
	s_delay_alu instid0(VALU_DEP_1)
	v_cmpx_gt_u32_e64 s11, v6
	s_cbranch_execz .LBB161_42
; %bb.41:
	v_add_co_u32 v15, vcc_lo, 0x2000, v4
	v_add_co_ci_u32_e32 v16, vcc_lo, 0, v5, vcc_lo
	global_store_b32 v[15:16], v7, off
.LBB161_42:
	s_or_b32 exec_lo, exec_lo, s3
	v_or_b32_e32 v6, 0xc00, v0
	s_mov_b32 s3, exec_lo
	s_delay_alu instid0(VALU_DEP_1)
	v_cmpx_gt_u32_e64 s11, v6
	s_cbranch_execz .LBB161_44
; %bb.43:
	v_add_co_u32 v6, vcc_lo, 0x3000, v4
	v_add_co_ci_u32_e32 v7, vcc_lo, 0, v5, vcc_lo
	s_waitcnt lgkmcnt(0)
	global_store_b32 v[6:7], v2, off
.LBB161_44:
	s_or_b32 exec_lo, exec_lo, s3
	v_or_b32_e32 v0, 0x1000, v0
	s_delay_alu instid0(VALU_DEP_1)
	v_cmp_gt_u32_e64 s4, s11, v0
	s_branch .LBB161_47
.LBB161_45:
	s_mov_b32 s4, 0
                                        ; implicit-def: $vgpr3
                                        ; implicit-def: $vgpr4_vgpr5
	s_cbranch_execz .LBB161_47
; %bb.46:
	s_waitcnt lgkmcnt(0)
	v_sub_nc_u32_e32 v2, v13, v14
	s_mov_b32 s3, 0
	ds_store_2addr_b32 v13, v1, v12 offset1:1
	ds_store_2addr_b32 v13, v11, v10 offset0:2 offset1:3
	ds_store_b32 v13, v9 offset:16
	s_waitcnt lgkmcnt(0)
	s_waitcnt_vscnt null, 0x0
	s_barrier
	buffer_gl0_inv
	ds_load_2addr_stride64_b32 v[0:1], v2 offset1:16
	ds_load_2addr_stride64_b32 v[6:7], v2 offset0:32 offset1:48
	ds_load_b32 v3, v2 offset:16384
	s_lshl_b64 s[2:3], s[2:3], 2
	s_delay_alu instid0(SALU_CYCLE_1) | instskip(SKIP_2) | instid1(VALU_DEP_1)
	s_add_u32 s2, s1, s2
	s_addc_u32 s3, s0, s3
	v_add_co_u32 v4, s0, s2, v8
	v_add_co_ci_u32_e64 v5, null, s3, 0, s0
	s_or_b32 s4, s4, exec_lo
	s_delay_alu instid0(VALU_DEP_2) | instskip(NEXT) | instid1(VALU_DEP_2)
	v_add_co_u32 v9, vcc_lo, v4, 0x2000
	v_add_co_ci_u32_e32 v10, vcc_lo, 0, v5, vcc_lo
	v_add_co_u32 v11, vcc_lo, 0x3000, v4
	v_add_co_ci_u32_e32 v12, vcc_lo, 0, v5, vcc_lo
	s_waitcnt lgkmcnt(2)
	s_clause 0x1
	global_store_b32 v[9:10], v1, off offset:-4096
	global_store_b32 v8, v0, s[2:3]
	s_waitcnt lgkmcnt(1)
	s_clause 0x1
	global_store_b32 v[9:10], v6, off
	global_store_b32 v[11:12], v7, off
.LBB161_47:
	s_delay_alu instid0(VALU_DEP_1)
	s_and_saveexec_b32 s0, s4
	s_cbranch_execnz .LBB161_49
; %bb.48:
	s_nop 0
	s_sendmsg sendmsg(MSG_DEALLOC_VGPRS)
	s_endpgm
.LBB161_49:
	v_add_co_u32 v0, vcc_lo, 0x4000, v4
	v_add_co_ci_u32_e32 v1, vcc_lo, 0, v5, vcc_lo
	s_waitcnt lgkmcnt(0)
	global_store_b32 v[0:1], v3, off
	s_nop 0
	s_sendmsg sendmsg(MSG_DEALLOC_VGPRS)
	s_endpgm
	.section	.rodata,"a",@progbits
	.p2align	6, 0x0
	.amdhsa_kernel _ZN7rocprim17ROCPRIM_400000_NS6detail17trampoline_kernelINS0_14default_configENS1_35adjacent_difference_config_selectorILb0EjEEZNS1_24adjacent_difference_implIS3_Lb0ELb0EPjS7_N6thrust23THRUST_200600_302600_NS5minusIjEEEE10hipError_tPvRmT2_T3_mT4_P12ihipStream_tbEUlT_E_NS1_11comp_targetILNS1_3genE9ELNS1_11target_archE1100ELNS1_3gpuE3ELNS1_3repE0EEENS1_30default_config_static_selectorELNS0_4arch9wavefront6targetE0EEEvT1_
		.amdhsa_group_segment_fixed_size 20480
		.amdhsa_private_segment_fixed_size 0
		.amdhsa_kernarg_size 56
		.amdhsa_user_sgpr_count 15
		.amdhsa_user_sgpr_dispatch_ptr 0
		.amdhsa_user_sgpr_queue_ptr 0
		.amdhsa_user_sgpr_kernarg_segment_ptr 1
		.amdhsa_user_sgpr_dispatch_id 0
		.amdhsa_user_sgpr_private_segment_size 0
		.amdhsa_wavefront_size32 1
		.amdhsa_uses_dynamic_stack 0
		.amdhsa_enable_private_segment 0
		.amdhsa_system_sgpr_workgroup_id_x 1
		.amdhsa_system_sgpr_workgroup_id_y 0
		.amdhsa_system_sgpr_workgroup_id_z 0
		.amdhsa_system_sgpr_workgroup_info 0
		.amdhsa_system_vgpr_workitem_id 0
		.amdhsa_next_free_vgpr 17
		.amdhsa_next_free_sgpr 21
		.amdhsa_reserve_vcc 1
		.amdhsa_float_round_mode_32 0
		.amdhsa_float_round_mode_16_64 0
		.amdhsa_float_denorm_mode_32 3
		.amdhsa_float_denorm_mode_16_64 3
		.amdhsa_dx10_clamp 1
		.amdhsa_ieee_mode 1
		.amdhsa_fp16_overflow 0
		.amdhsa_workgroup_processor_mode 1
		.amdhsa_memory_ordered 1
		.amdhsa_forward_progress 0
		.amdhsa_shared_vgpr_count 0
		.amdhsa_exception_fp_ieee_invalid_op 0
		.amdhsa_exception_fp_denorm_src 0
		.amdhsa_exception_fp_ieee_div_zero 0
		.amdhsa_exception_fp_ieee_overflow 0
		.amdhsa_exception_fp_ieee_underflow 0
		.amdhsa_exception_fp_ieee_inexact 0
		.amdhsa_exception_int_div_zero 0
	.end_amdhsa_kernel
	.section	.text._ZN7rocprim17ROCPRIM_400000_NS6detail17trampoline_kernelINS0_14default_configENS1_35adjacent_difference_config_selectorILb0EjEEZNS1_24adjacent_difference_implIS3_Lb0ELb0EPjS7_N6thrust23THRUST_200600_302600_NS5minusIjEEEE10hipError_tPvRmT2_T3_mT4_P12ihipStream_tbEUlT_E_NS1_11comp_targetILNS1_3genE9ELNS1_11target_archE1100ELNS1_3gpuE3ELNS1_3repE0EEENS1_30default_config_static_selectorELNS0_4arch9wavefront6targetE0EEEvT1_,"axG",@progbits,_ZN7rocprim17ROCPRIM_400000_NS6detail17trampoline_kernelINS0_14default_configENS1_35adjacent_difference_config_selectorILb0EjEEZNS1_24adjacent_difference_implIS3_Lb0ELb0EPjS7_N6thrust23THRUST_200600_302600_NS5minusIjEEEE10hipError_tPvRmT2_T3_mT4_P12ihipStream_tbEUlT_E_NS1_11comp_targetILNS1_3genE9ELNS1_11target_archE1100ELNS1_3gpuE3ELNS1_3repE0EEENS1_30default_config_static_selectorELNS0_4arch9wavefront6targetE0EEEvT1_,comdat
.Lfunc_end161:
	.size	_ZN7rocprim17ROCPRIM_400000_NS6detail17trampoline_kernelINS0_14default_configENS1_35adjacent_difference_config_selectorILb0EjEEZNS1_24adjacent_difference_implIS3_Lb0ELb0EPjS7_N6thrust23THRUST_200600_302600_NS5minusIjEEEE10hipError_tPvRmT2_T3_mT4_P12ihipStream_tbEUlT_E_NS1_11comp_targetILNS1_3genE9ELNS1_11target_archE1100ELNS1_3gpuE3ELNS1_3repE0EEENS1_30default_config_static_selectorELNS0_4arch9wavefront6targetE0EEEvT1_, .Lfunc_end161-_ZN7rocprim17ROCPRIM_400000_NS6detail17trampoline_kernelINS0_14default_configENS1_35adjacent_difference_config_selectorILb0EjEEZNS1_24adjacent_difference_implIS3_Lb0ELb0EPjS7_N6thrust23THRUST_200600_302600_NS5minusIjEEEE10hipError_tPvRmT2_T3_mT4_P12ihipStream_tbEUlT_E_NS1_11comp_targetILNS1_3genE9ELNS1_11target_archE1100ELNS1_3gpuE3ELNS1_3repE0EEENS1_30default_config_static_selectorELNS0_4arch9wavefront6targetE0EEEvT1_
                                        ; -- End function
	.section	.AMDGPU.csdata,"",@progbits
; Kernel info:
; codeLenInByte = 2308
; NumSgprs: 23
; NumVgprs: 17
; ScratchSize: 0
; MemoryBound: 0
; FloatMode: 240
; IeeeMode: 1
; LDSByteSize: 20480 bytes/workgroup (compile time only)
; SGPRBlocks: 2
; VGPRBlocks: 2
; NumSGPRsForWavesPerEU: 23
; NumVGPRsForWavesPerEU: 17
; Occupancy: 16
; WaveLimiterHint : 1
; COMPUTE_PGM_RSRC2:SCRATCH_EN: 0
; COMPUTE_PGM_RSRC2:USER_SGPR: 15
; COMPUTE_PGM_RSRC2:TRAP_HANDLER: 0
; COMPUTE_PGM_RSRC2:TGID_X_EN: 1
; COMPUTE_PGM_RSRC2:TGID_Y_EN: 0
; COMPUTE_PGM_RSRC2:TGID_Z_EN: 0
; COMPUTE_PGM_RSRC2:TIDIG_COMP_CNT: 0
	.section	.text._ZN7rocprim17ROCPRIM_400000_NS6detail17trampoline_kernelINS0_14default_configENS1_35adjacent_difference_config_selectorILb0EjEEZNS1_24adjacent_difference_implIS3_Lb0ELb0EPjS7_N6thrust23THRUST_200600_302600_NS5minusIjEEEE10hipError_tPvRmT2_T3_mT4_P12ihipStream_tbEUlT_E_NS1_11comp_targetILNS1_3genE8ELNS1_11target_archE1030ELNS1_3gpuE2ELNS1_3repE0EEENS1_30default_config_static_selectorELNS0_4arch9wavefront6targetE0EEEvT1_,"axG",@progbits,_ZN7rocprim17ROCPRIM_400000_NS6detail17trampoline_kernelINS0_14default_configENS1_35adjacent_difference_config_selectorILb0EjEEZNS1_24adjacent_difference_implIS3_Lb0ELb0EPjS7_N6thrust23THRUST_200600_302600_NS5minusIjEEEE10hipError_tPvRmT2_T3_mT4_P12ihipStream_tbEUlT_E_NS1_11comp_targetILNS1_3genE8ELNS1_11target_archE1030ELNS1_3gpuE2ELNS1_3repE0EEENS1_30default_config_static_selectorELNS0_4arch9wavefront6targetE0EEEvT1_,comdat
	.protected	_ZN7rocprim17ROCPRIM_400000_NS6detail17trampoline_kernelINS0_14default_configENS1_35adjacent_difference_config_selectorILb0EjEEZNS1_24adjacent_difference_implIS3_Lb0ELb0EPjS7_N6thrust23THRUST_200600_302600_NS5minusIjEEEE10hipError_tPvRmT2_T3_mT4_P12ihipStream_tbEUlT_E_NS1_11comp_targetILNS1_3genE8ELNS1_11target_archE1030ELNS1_3gpuE2ELNS1_3repE0EEENS1_30default_config_static_selectorELNS0_4arch9wavefront6targetE0EEEvT1_ ; -- Begin function _ZN7rocprim17ROCPRIM_400000_NS6detail17trampoline_kernelINS0_14default_configENS1_35adjacent_difference_config_selectorILb0EjEEZNS1_24adjacent_difference_implIS3_Lb0ELb0EPjS7_N6thrust23THRUST_200600_302600_NS5minusIjEEEE10hipError_tPvRmT2_T3_mT4_P12ihipStream_tbEUlT_E_NS1_11comp_targetILNS1_3genE8ELNS1_11target_archE1030ELNS1_3gpuE2ELNS1_3repE0EEENS1_30default_config_static_selectorELNS0_4arch9wavefront6targetE0EEEvT1_
	.globl	_ZN7rocprim17ROCPRIM_400000_NS6detail17trampoline_kernelINS0_14default_configENS1_35adjacent_difference_config_selectorILb0EjEEZNS1_24adjacent_difference_implIS3_Lb0ELb0EPjS7_N6thrust23THRUST_200600_302600_NS5minusIjEEEE10hipError_tPvRmT2_T3_mT4_P12ihipStream_tbEUlT_E_NS1_11comp_targetILNS1_3genE8ELNS1_11target_archE1030ELNS1_3gpuE2ELNS1_3repE0EEENS1_30default_config_static_selectorELNS0_4arch9wavefront6targetE0EEEvT1_
	.p2align	8
	.type	_ZN7rocprim17ROCPRIM_400000_NS6detail17trampoline_kernelINS0_14default_configENS1_35adjacent_difference_config_selectorILb0EjEEZNS1_24adjacent_difference_implIS3_Lb0ELb0EPjS7_N6thrust23THRUST_200600_302600_NS5minusIjEEEE10hipError_tPvRmT2_T3_mT4_P12ihipStream_tbEUlT_E_NS1_11comp_targetILNS1_3genE8ELNS1_11target_archE1030ELNS1_3gpuE2ELNS1_3repE0EEENS1_30default_config_static_selectorELNS0_4arch9wavefront6targetE0EEEvT1_,@function
_ZN7rocprim17ROCPRIM_400000_NS6detail17trampoline_kernelINS0_14default_configENS1_35adjacent_difference_config_selectorILb0EjEEZNS1_24adjacent_difference_implIS3_Lb0ELb0EPjS7_N6thrust23THRUST_200600_302600_NS5minusIjEEEE10hipError_tPvRmT2_T3_mT4_P12ihipStream_tbEUlT_E_NS1_11comp_targetILNS1_3genE8ELNS1_11target_archE1030ELNS1_3gpuE2ELNS1_3repE0EEENS1_30default_config_static_selectorELNS0_4arch9wavefront6targetE0EEEvT1_: ; @_ZN7rocprim17ROCPRIM_400000_NS6detail17trampoline_kernelINS0_14default_configENS1_35adjacent_difference_config_selectorILb0EjEEZNS1_24adjacent_difference_implIS3_Lb0ELb0EPjS7_N6thrust23THRUST_200600_302600_NS5minusIjEEEE10hipError_tPvRmT2_T3_mT4_P12ihipStream_tbEUlT_E_NS1_11comp_targetILNS1_3genE8ELNS1_11target_archE1030ELNS1_3gpuE2ELNS1_3repE0EEENS1_30default_config_static_selectorELNS0_4arch9wavefront6targetE0EEEvT1_
; %bb.0:
	.section	.rodata,"a",@progbits
	.p2align	6, 0x0
	.amdhsa_kernel _ZN7rocprim17ROCPRIM_400000_NS6detail17trampoline_kernelINS0_14default_configENS1_35adjacent_difference_config_selectorILb0EjEEZNS1_24adjacent_difference_implIS3_Lb0ELb0EPjS7_N6thrust23THRUST_200600_302600_NS5minusIjEEEE10hipError_tPvRmT2_T3_mT4_P12ihipStream_tbEUlT_E_NS1_11comp_targetILNS1_3genE8ELNS1_11target_archE1030ELNS1_3gpuE2ELNS1_3repE0EEENS1_30default_config_static_selectorELNS0_4arch9wavefront6targetE0EEEvT1_
		.amdhsa_group_segment_fixed_size 0
		.amdhsa_private_segment_fixed_size 0
		.amdhsa_kernarg_size 56
		.amdhsa_user_sgpr_count 15
		.amdhsa_user_sgpr_dispatch_ptr 0
		.amdhsa_user_sgpr_queue_ptr 0
		.amdhsa_user_sgpr_kernarg_segment_ptr 1
		.amdhsa_user_sgpr_dispatch_id 0
		.amdhsa_user_sgpr_private_segment_size 0
		.amdhsa_wavefront_size32 1
		.amdhsa_uses_dynamic_stack 0
		.amdhsa_enable_private_segment 0
		.amdhsa_system_sgpr_workgroup_id_x 1
		.amdhsa_system_sgpr_workgroup_id_y 0
		.amdhsa_system_sgpr_workgroup_id_z 0
		.amdhsa_system_sgpr_workgroup_info 0
		.amdhsa_system_vgpr_workitem_id 0
		.amdhsa_next_free_vgpr 1
		.amdhsa_next_free_sgpr 1
		.amdhsa_reserve_vcc 0
		.amdhsa_float_round_mode_32 0
		.amdhsa_float_round_mode_16_64 0
		.amdhsa_float_denorm_mode_32 3
		.amdhsa_float_denorm_mode_16_64 3
		.amdhsa_dx10_clamp 1
		.amdhsa_ieee_mode 1
		.amdhsa_fp16_overflow 0
		.amdhsa_workgroup_processor_mode 1
		.amdhsa_memory_ordered 1
		.amdhsa_forward_progress 0
		.amdhsa_shared_vgpr_count 0
		.amdhsa_exception_fp_ieee_invalid_op 0
		.amdhsa_exception_fp_denorm_src 0
		.amdhsa_exception_fp_ieee_div_zero 0
		.amdhsa_exception_fp_ieee_overflow 0
		.amdhsa_exception_fp_ieee_underflow 0
		.amdhsa_exception_fp_ieee_inexact 0
		.amdhsa_exception_int_div_zero 0
	.end_amdhsa_kernel
	.section	.text._ZN7rocprim17ROCPRIM_400000_NS6detail17trampoline_kernelINS0_14default_configENS1_35adjacent_difference_config_selectorILb0EjEEZNS1_24adjacent_difference_implIS3_Lb0ELb0EPjS7_N6thrust23THRUST_200600_302600_NS5minusIjEEEE10hipError_tPvRmT2_T3_mT4_P12ihipStream_tbEUlT_E_NS1_11comp_targetILNS1_3genE8ELNS1_11target_archE1030ELNS1_3gpuE2ELNS1_3repE0EEENS1_30default_config_static_selectorELNS0_4arch9wavefront6targetE0EEEvT1_,"axG",@progbits,_ZN7rocprim17ROCPRIM_400000_NS6detail17trampoline_kernelINS0_14default_configENS1_35adjacent_difference_config_selectorILb0EjEEZNS1_24adjacent_difference_implIS3_Lb0ELb0EPjS7_N6thrust23THRUST_200600_302600_NS5minusIjEEEE10hipError_tPvRmT2_T3_mT4_P12ihipStream_tbEUlT_E_NS1_11comp_targetILNS1_3genE8ELNS1_11target_archE1030ELNS1_3gpuE2ELNS1_3repE0EEENS1_30default_config_static_selectorELNS0_4arch9wavefront6targetE0EEEvT1_,comdat
.Lfunc_end162:
	.size	_ZN7rocprim17ROCPRIM_400000_NS6detail17trampoline_kernelINS0_14default_configENS1_35adjacent_difference_config_selectorILb0EjEEZNS1_24adjacent_difference_implIS3_Lb0ELb0EPjS7_N6thrust23THRUST_200600_302600_NS5minusIjEEEE10hipError_tPvRmT2_T3_mT4_P12ihipStream_tbEUlT_E_NS1_11comp_targetILNS1_3genE8ELNS1_11target_archE1030ELNS1_3gpuE2ELNS1_3repE0EEENS1_30default_config_static_selectorELNS0_4arch9wavefront6targetE0EEEvT1_, .Lfunc_end162-_ZN7rocprim17ROCPRIM_400000_NS6detail17trampoline_kernelINS0_14default_configENS1_35adjacent_difference_config_selectorILb0EjEEZNS1_24adjacent_difference_implIS3_Lb0ELb0EPjS7_N6thrust23THRUST_200600_302600_NS5minusIjEEEE10hipError_tPvRmT2_T3_mT4_P12ihipStream_tbEUlT_E_NS1_11comp_targetILNS1_3genE8ELNS1_11target_archE1030ELNS1_3gpuE2ELNS1_3repE0EEENS1_30default_config_static_selectorELNS0_4arch9wavefront6targetE0EEEvT1_
                                        ; -- End function
	.section	.AMDGPU.csdata,"",@progbits
; Kernel info:
; codeLenInByte = 0
; NumSgprs: 0
; NumVgprs: 0
; ScratchSize: 0
; MemoryBound: 0
; FloatMode: 240
; IeeeMode: 1
; LDSByteSize: 0 bytes/workgroup (compile time only)
; SGPRBlocks: 0
; VGPRBlocks: 0
; NumSGPRsForWavesPerEU: 1
; NumVGPRsForWavesPerEU: 1
; Occupancy: 16
; WaveLimiterHint : 0
; COMPUTE_PGM_RSRC2:SCRATCH_EN: 0
; COMPUTE_PGM_RSRC2:USER_SGPR: 15
; COMPUTE_PGM_RSRC2:TRAP_HANDLER: 0
; COMPUTE_PGM_RSRC2:TGID_X_EN: 1
; COMPUTE_PGM_RSRC2:TGID_Y_EN: 0
; COMPUTE_PGM_RSRC2:TGID_Z_EN: 0
; COMPUTE_PGM_RSRC2:TIDIG_COMP_CNT: 0
	.section	.text._ZN7rocprim17ROCPRIM_400000_NS6detail17trampoline_kernelINS0_14default_configENS1_25transform_config_selectorIjLb0EEEZNS1_14transform_implILb0ES3_S5_NS0_18transform_iteratorINS0_17counting_iteratorImlEEZNS1_24adjacent_difference_implIS3_Lb1ELb0EPjSB_N6thrust23THRUST_200600_302600_NS5minusIjEEEE10hipError_tPvRmT2_T3_mT4_P12ihipStream_tbEUlmE_jEESB_NS0_8identityIvEEEESG_SJ_SK_mSL_SN_bEUlT_E_NS1_11comp_targetILNS1_3genE0ELNS1_11target_archE4294967295ELNS1_3gpuE0ELNS1_3repE0EEENS1_30default_config_static_selectorELNS0_4arch9wavefront6targetE0EEEvT1_,"axG",@progbits,_ZN7rocprim17ROCPRIM_400000_NS6detail17trampoline_kernelINS0_14default_configENS1_25transform_config_selectorIjLb0EEEZNS1_14transform_implILb0ES3_S5_NS0_18transform_iteratorINS0_17counting_iteratorImlEEZNS1_24adjacent_difference_implIS3_Lb1ELb0EPjSB_N6thrust23THRUST_200600_302600_NS5minusIjEEEE10hipError_tPvRmT2_T3_mT4_P12ihipStream_tbEUlmE_jEESB_NS0_8identityIvEEEESG_SJ_SK_mSL_SN_bEUlT_E_NS1_11comp_targetILNS1_3genE0ELNS1_11target_archE4294967295ELNS1_3gpuE0ELNS1_3repE0EEENS1_30default_config_static_selectorELNS0_4arch9wavefront6targetE0EEEvT1_,comdat
	.protected	_ZN7rocprim17ROCPRIM_400000_NS6detail17trampoline_kernelINS0_14default_configENS1_25transform_config_selectorIjLb0EEEZNS1_14transform_implILb0ES3_S5_NS0_18transform_iteratorINS0_17counting_iteratorImlEEZNS1_24adjacent_difference_implIS3_Lb1ELb0EPjSB_N6thrust23THRUST_200600_302600_NS5minusIjEEEE10hipError_tPvRmT2_T3_mT4_P12ihipStream_tbEUlmE_jEESB_NS0_8identityIvEEEESG_SJ_SK_mSL_SN_bEUlT_E_NS1_11comp_targetILNS1_3genE0ELNS1_11target_archE4294967295ELNS1_3gpuE0ELNS1_3repE0EEENS1_30default_config_static_selectorELNS0_4arch9wavefront6targetE0EEEvT1_ ; -- Begin function _ZN7rocprim17ROCPRIM_400000_NS6detail17trampoline_kernelINS0_14default_configENS1_25transform_config_selectorIjLb0EEEZNS1_14transform_implILb0ES3_S5_NS0_18transform_iteratorINS0_17counting_iteratorImlEEZNS1_24adjacent_difference_implIS3_Lb1ELb0EPjSB_N6thrust23THRUST_200600_302600_NS5minusIjEEEE10hipError_tPvRmT2_T3_mT4_P12ihipStream_tbEUlmE_jEESB_NS0_8identityIvEEEESG_SJ_SK_mSL_SN_bEUlT_E_NS1_11comp_targetILNS1_3genE0ELNS1_11target_archE4294967295ELNS1_3gpuE0ELNS1_3repE0EEENS1_30default_config_static_selectorELNS0_4arch9wavefront6targetE0EEEvT1_
	.globl	_ZN7rocprim17ROCPRIM_400000_NS6detail17trampoline_kernelINS0_14default_configENS1_25transform_config_selectorIjLb0EEEZNS1_14transform_implILb0ES3_S5_NS0_18transform_iteratorINS0_17counting_iteratorImlEEZNS1_24adjacent_difference_implIS3_Lb1ELb0EPjSB_N6thrust23THRUST_200600_302600_NS5minusIjEEEE10hipError_tPvRmT2_T3_mT4_P12ihipStream_tbEUlmE_jEESB_NS0_8identityIvEEEESG_SJ_SK_mSL_SN_bEUlT_E_NS1_11comp_targetILNS1_3genE0ELNS1_11target_archE4294967295ELNS1_3gpuE0ELNS1_3repE0EEENS1_30default_config_static_selectorELNS0_4arch9wavefront6targetE0EEEvT1_
	.p2align	8
	.type	_ZN7rocprim17ROCPRIM_400000_NS6detail17trampoline_kernelINS0_14default_configENS1_25transform_config_selectorIjLb0EEEZNS1_14transform_implILb0ES3_S5_NS0_18transform_iteratorINS0_17counting_iteratorImlEEZNS1_24adjacent_difference_implIS3_Lb1ELb0EPjSB_N6thrust23THRUST_200600_302600_NS5minusIjEEEE10hipError_tPvRmT2_T3_mT4_P12ihipStream_tbEUlmE_jEESB_NS0_8identityIvEEEESG_SJ_SK_mSL_SN_bEUlT_E_NS1_11comp_targetILNS1_3genE0ELNS1_11target_archE4294967295ELNS1_3gpuE0ELNS1_3repE0EEENS1_30default_config_static_selectorELNS0_4arch9wavefront6targetE0EEEvT1_,@function
_ZN7rocprim17ROCPRIM_400000_NS6detail17trampoline_kernelINS0_14default_configENS1_25transform_config_selectorIjLb0EEEZNS1_14transform_implILb0ES3_S5_NS0_18transform_iteratorINS0_17counting_iteratorImlEEZNS1_24adjacent_difference_implIS3_Lb1ELb0EPjSB_N6thrust23THRUST_200600_302600_NS5minusIjEEEE10hipError_tPvRmT2_T3_mT4_P12ihipStream_tbEUlmE_jEESB_NS0_8identityIvEEEESG_SJ_SK_mSL_SN_bEUlT_E_NS1_11comp_targetILNS1_3genE0ELNS1_11target_archE4294967295ELNS1_3gpuE0ELNS1_3repE0EEENS1_30default_config_static_selectorELNS0_4arch9wavefront6targetE0EEEvT1_: ; @_ZN7rocprim17ROCPRIM_400000_NS6detail17trampoline_kernelINS0_14default_configENS1_25transform_config_selectorIjLb0EEEZNS1_14transform_implILb0ES3_S5_NS0_18transform_iteratorINS0_17counting_iteratorImlEEZNS1_24adjacent_difference_implIS3_Lb1ELb0EPjSB_N6thrust23THRUST_200600_302600_NS5minusIjEEEE10hipError_tPvRmT2_T3_mT4_P12ihipStream_tbEUlmE_jEESB_NS0_8identityIvEEEESG_SJ_SK_mSL_SN_bEUlT_E_NS1_11comp_targetILNS1_3genE0ELNS1_11target_archE4294967295ELNS1_3gpuE0ELNS1_3repE0EEENS1_30default_config_static_selectorELNS0_4arch9wavefront6targetE0EEEvT1_
; %bb.0:
	.section	.rodata,"a",@progbits
	.p2align	6, 0x0
	.amdhsa_kernel _ZN7rocprim17ROCPRIM_400000_NS6detail17trampoline_kernelINS0_14default_configENS1_25transform_config_selectorIjLb0EEEZNS1_14transform_implILb0ES3_S5_NS0_18transform_iteratorINS0_17counting_iteratorImlEEZNS1_24adjacent_difference_implIS3_Lb1ELb0EPjSB_N6thrust23THRUST_200600_302600_NS5minusIjEEEE10hipError_tPvRmT2_T3_mT4_P12ihipStream_tbEUlmE_jEESB_NS0_8identityIvEEEESG_SJ_SK_mSL_SN_bEUlT_E_NS1_11comp_targetILNS1_3genE0ELNS1_11target_archE4294967295ELNS1_3gpuE0ELNS1_3repE0EEENS1_30default_config_static_selectorELNS0_4arch9wavefront6targetE0EEEvT1_
		.amdhsa_group_segment_fixed_size 0
		.amdhsa_private_segment_fixed_size 0
		.amdhsa_kernarg_size 56
		.amdhsa_user_sgpr_count 15
		.amdhsa_user_sgpr_dispatch_ptr 0
		.amdhsa_user_sgpr_queue_ptr 0
		.amdhsa_user_sgpr_kernarg_segment_ptr 1
		.amdhsa_user_sgpr_dispatch_id 0
		.amdhsa_user_sgpr_private_segment_size 0
		.amdhsa_wavefront_size32 1
		.amdhsa_uses_dynamic_stack 0
		.amdhsa_enable_private_segment 0
		.amdhsa_system_sgpr_workgroup_id_x 1
		.amdhsa_system_sgpr_workgroup_id_y 0
		.amdhsa_system_sgpr_workgroup_id_z 0
		.amdhsa_system_sgpr_workgroup_info 0
		.amdhsa_system_vgpr_workitem_id 0
		.amdhsa_next_free_vgpr 1
		.amdhsa_next_free_sgpr 1
		.amdhsa_reserve_vcc 0
		.amdhsa_float_round_mode_32 0
		.amdhsa_float_round_mode_16_64 0
		.amdhsa_float_denorm_mode_32 3
		.amdhsa_float_denorm_mode_16_64 3
		.amdhsa_dx10_clamp 1
		.amdhsa_ieee_mode 1
		.amdhsa_fp16_overflow 0
		.amdhsa_workgroup_processor_mode 1
		.amdhsa_memory_ordered 1
		.amdhsa_forward_progress 0
		.amdhsa_shared_vgpr_count 0
		.amdhsa_exception_fp_ieee_invalid_op 0
		.amdhsa_exception_fp_denorm_src 0
		.amdhsa_exception_fp_ieee_div_zero 0
		.amdhsa_exception_fp_ieee_overflow 0
		.amdhsa_exception_fp_ieee_underflow 0
		.amdhsa_exception_fp_ieee_inexact 0
		.amdhsa_exception_int_div_zero 0
	.end_amdhsa_kernel
	.section	.text._ZN7rocprim17ROCPRIM_400000_NS6detail17trampoline_kernelINS0_14default_configENS1_25transform_config_selectorIjLb0EEEZNS1_14transform_implILb0ES3_S5_NS0_18transform_iteratorINS0_17counting_iteratorImlEEZNS1_24adjacent_difference_implIS3_Lb1ELb0EPjSB_N6thrust23THRUST_200600_302600_NS5minusIjEEEE10hipError_tPvRmT2_T3_mT4_P12ihipStream_tbEUlmE_jEESB_NS0_8identityIvEEEESG_SJ_SK_mSL_SN_bEUlT_E_NS1_11comp_targetILNS1_3genE0ELNS1_11target_archE4294967295ELNS1_3gpuE0ELNS1_3repE0EEENS1_30default_config_static_selectorELNS0_4arch9wavefront6targetE0EEEvT1_,"axG",@progbits,_ZN7rocprim17ROCPRIM_400000_NS6detail17trampoline_kernelINS0_14default_configENS1_25transform_config_selectorIjLb0EEEZNS1_14transform_implILb0ES3_S5_NS0_18transform_iteratorINS0_17counting_iteratorImlEEZNS1_24adjacent_difference_implIS3_Lb1ELb0EPjSB_N6thrust23THRUST_200600_302600_NS5minusIjEEEE10hipError_tPvRmT2_T3_mT4_P12ihipStream_tbEUlmE_jEESB_NS0_8identityIvEEEESG_SJ_SK_mSL_SN_bEUlT_E_NS1_11comp_targetILNS1_3genE0ELNS1_11target_archE4294967295ELNS1_3gpuE0ELNS1_3repE0EEENS1_30default_config_static_selectorELNS0_4arch9wavefront6targetE0EEEvT1_,comdat
.Lfunc_end163:
	.size	_ZN7rocprim17ROCPRIM_400000_NS6detail17trampoline_kernelINS0_14default_configENS1_25transform_config_selectorIjLb0EEEZNS1_14transform_implILb0ES3_S5_NS0_18transform_iteratorINS0_17counting_iteratorImlEEZNS1_24adjacent_difference_implIS3_Lb1ELb0EPjSB_N6thrust23THRUST_200600_302600_NS5minusIjEEEE10hipError_tPvRmT2_T3_mT4_P12ihipStream_tbEUlmE_jEESB_NS0_8identityIvEEEESG_SJ_SK_mSL_SN_bEUlT_E_NS1_11comp_targetILNS1_3genE0ELNS1_11target_archE4294967295ELNS1_3gpuE0ELNS1_3repE0EEENS1_30default_config_static_selectorELNS0_4arch9wavefront6targetE0EEEvT1_, .Lfunc_end163-_ZN7rocprim17ROCPRIM_400000_NS6detail17trampoline_kernelINS0_14default_configENS1_25transform_config_selectorIjLb0EEEZNS1_14transform_implILb0ES3_S5_NS0_18transform_iteratorINS0_17counting_iteratorImlEEZNS1_24adjacent_difference_implIS3_Lb1ELb0EPjSB_N6thrust23THRUST_200600_302600_NS5minusIjEEEE10hipError_tPvRmT2_T3_mT4_P12ihipStream_tbEUlmE_jEESB_NS0_8identityIvEEEESG_SJ_SK_mSL_SN_bEUlT_E_NS1_11comp_targetILNS1_3genE0ELNS1_11target_archE4294967295ELNS1_3gpuE0ELNS1_3repE0EEENS1_30default_config_static_selectorELNS0_4arch9wavefront6targetE0EEEvT1_
                                        ; -- End function
	.section	.AMDGPU.csdata,"",@progbits
; Kernel info:
; codeLenInByte = 0
; NumSgprs: 0
; NumVgprs: 0
; ScratchSize: 0
; MemoryBound: 0
; FloatMode: 240
; IeeeMode: 1
; LDSByteSize: 0 bytes/workgroup (compile time only)
; SGPRBlocks: 0
; VGPRBlocks: 0
; NumSGPRsForWavesPerEU: 1
; NumVGPRsForWavesPerEU: 1
; Occupancy: 16
; WaveLimiterHint : 0
; COMPUTE_PGM_RSRC2:SCRATCH_EN: 0
; COMPUTE_PGM_RSRC2:USER_SGPR: 15
; COMPUTE_PGM_RSRC2:TRAP_HANDLER: 0
; COMPUTE_PGM_RSRC2:TGID_X_EN: 1
; COMPUTE_PGM_RSRC2:TGID_Y_EN: 0
; COMPUTE_PGM_RSRC2:TGID_Z_EN: 0
; COMPUTE_PGM_RSRC2:TIDIG_COMP_CNT: 0
	.section	.text._ZN7rocprim17ROCPRIM_400000_NS6detail17trampoline_kernelINS0_14default_configENS1_25transform_config_selectorIjLb0EEEZNS1_14transform_implILb0ES3_S5_NS0_18transform_iteratorINS0_17counting_iteratorImlEEZNS1_24adjacent_difference_implIS3_Lb1ELb0EPjSB_N6thrust23THRUST_200600_302600_NS5minusIjEEEE10hipError_tPvRmT2_T3_mT4_P12ihipStream_tbEUlmE_jEESB_NS0_8identityIvEEEESG_SJ_SK_mSL_SN_bEUlT_E_NS1_11comp_targetILNS1_3genE5ELNS1_11target_archE942ELNS1_3gpuE9ELNS1_3repE0EEENS1_30default_config_static_selectorELNS0_4arch9wavefront6targetE0EEEvT1_,"axG",@progbits,_ZN7rocprim17ROCPRIM_400000_NS6detail17trampoline_kernelINS0_14default_configENS1_25transform_config_selectorIjLb0EEEZNS1_14transform_implILb0ES3_S5_NS0_18transform_iteratorINS0_17counting_iteratorImlEEZNS1_24adjacent_difference_implIS3_Lb1ELb0EPjSB_N6thrust23THRUST_200600_302600_NS5minusIjEEEE10hipError_tPvRmT2_T3_mT4_P12ihipStream_tbEUlmE_jEESB_NS0_8identityIvEEEESG_SJ_SK_mSL_SN_bEUlT_E_NS1_11comp_targetILNS1_3genE5ELNS1_11target_archE942ELNS1_3gpuE9ELNS1_3repE0EEENS1_30default_config_static_selectorELNS0_4arch9wavefront6targetE0EEEvT1_,comdat
	.protected	_ZN7rocprim17ROCPRIM_400000_NS6detail17trampoline_kernelINS0_14default_configENS1_25transform_config_selectorIjLb0EEEZNS1_14transform_implILb0ES3_S5_NS0_18transform_iteratorINS0_17counting_iteratorImlEEZNS1_24adjacent_difference_implIS3_Lb1ELb0EPjSB_N6thrust23THRUST_200600_302600_NS5minusIjEEEE10hipError_tPvRmT2_T3_mT4_P12ihipStream_tbEUlmE_jEESB_NS0_8identityIvEEEESG_SJ_SK_mSL_SN_bEUlT_E_NS1_11comp_targetILNS1_3genE5ELNS1_11target_archE942ELNS1_3gpuE9ELNS1_3repE0EEENS1_30default_config_static_selectorELNS0_4arch9wavefront6targetE0EEEvT1_ ; -- Begin function _ZN7rocprim17ROCPRIM_400000_NS6detail17trampoline_kernelINS0_14default_configENS1_25transform_config_selectorIjLb0EEEZNS1_14transform_implILb0ES3_S5_NS0_18transform_iteratorINS0_17counting_iteratorImlEEZNS1_24adjacent_difference_implIS3_Lb1ELb0EPjSB_N6thrust23THRUST_200600_302600_NS5minusIjEEEE10hipError_tPvRmT2_T3_mT4_P12ihipStream_tbEUlmE_jEESB_NS0_8identityIvEEEESG_SJ_SK_mSL_SN_bEUlT_E_NS1_11comp_targetILNS1_3genE5ELNS1_11target_archE942ELNS1_3gpuE9ELNS1_3repE0EEENS1_30default_config_static_selectorELNS0_4arch9wavefront6targetE0EEEvT1_
	.globl	_ZN7rocprim17ROCPRIM_400000_NS6detail17trampoline_kernelINS0_14default_configENS1_25transform_config_selectorIjLb0EEEZNS1_14transform_implILb0ES3_S5_NS0_18transform_iteratorINS0_17counting_iteratorImlEEZNS1_24adjacent_difference_implIS3_Lb1ELb0EPjSB_N6thrust23THRUST_200600_302600_NS5minusIjEEEE10hipError_tPvRmT2_T3_mT4_P12ihipStream_tbEUlmE_jEESB_NS0_8identityIvEEEESG_SJ_SK_mSL_SN_bEUlT_E_NS1_11comp_targetILNS1_3genE5ELNS1_11target_archE942ELNS1_3gpuE9ELNS1_3repE0EEENS1_30default_config_static_selectorELNS0_4arch9wavefront6targetE0EEEvT1_
	.p2align	8
	.type	_ZN7rocprim17ROCPRIM_400000_NS6detail17trampoline_kernelINS0_14default_configENS1_25transform_config_selectorIjLb0EEEZNS1_14transform_implILb0ES3_S5_NS0_18transform_iteratorINS0_17counting_iteratorImlEEZNS1_24adjacent_difference_implIS3_Lb1ELb0EPjSB_N6thrust23THRUST_200600_302600_NS5minusIjEEEE10hipError_tPvRmT2_T3_mT4_P12ihipStream_tbEUlmE_jEESB_NS0_8identityIvEEEESG_SJ_SK_mSL_SN_bEUlT_E_NS1_11comp_targetILNS1_3genE5ELNS1_11target_archE942ELNS1_3gpuE9ELNS1_3repE0EEENS1_30default_config_static_selectorELNS0_4arch9wavefront6targetE0EEEvT1_,@function
_ZN7rocprim17ROCPRIM_400000_NS6detail17trampoline_kernelINS0_14default_configENS1_25transform_config_selectorIjLb0EEEZNS1_14transform_implILb0ES3_S5_NS0_18transform_iteratorINS0_17counting_iteratorImlEEZNS1_24adjacent_difference_implIS3_Lb1ELb0EPjSB_N6thrust23THRUST_200600_302600_NS5minusIjEEEE10hipError_tPvRmT2_T3_mT4_P12ihipStream_tbEUlmE_jEESB_NS0_8identityIvEEEESG_SJ_SK_mSL_SN_bEUlT_E_NS1_11comp_targetILNS1_3genE5ELNS1_11target_archE942ELNS1_3gpuE9ELNS1_3repE0EEENS1_30default_config_static_selectorELNS0_4arch9wavefront6targetE0EEEvT1_: ; @_ZN7rocprim17ROCPRIM_400000_NS6detail17trampoline_kernelINS0_14default_configENS1_25transform_config_selectorIjLb0EEEZNS1_14transform_implILb0ES3_S5_NS0_18transform_iteratorINS0_17counting_iteratorImlEEZNS1_24adjacent_difference_implIS3_Lb1ELb0EPjSB_N6thrust23THRUST_200600_302600_NS5minusIjEEEE10hipError_tPvRmT2_T3_mT4_P12ihipStream_tbEUlmE_jEESB_NS0_8identityIvEEEESG_SJ_SK_mSL_SN_bEUlT_E_NS1_11comp_targetILNS1_3genE5ELNS1_11target_archE942ELNS1_3gpuE9ELNS1_3repE0EEENS1_30default_config_static_selectorELNS0_4arch9wavefront6targetE0EEEvT1_
; %bb.0:
	.section	.rodata,"a",@progbits
	.p2align	6, 0x0
	.amdhsa_kernel _ZN7rocprim17ROCPRIM_400000_NS6detail17trampoline_kernelINS0_14default_configENS1_25transform_config_selectorIjLb0EEEZNS1_14transform_implILb0ES3_S5_NS0_18transform_iteratorINS0_17counting_iteratorImlEEZNS1_24adjacent_difference_implIS3_Lb1ELb0EPjSB_N6thrust23THRUST_200600_302600_NS5minusIjEEEE10hipError_tPvRmT2_T3_mT4_P12ihipStream_tbEUlmE_jEESB_NS0_8identityIvEEEESG_SJ_SK_mSL_SN_bEUlT_E_NS1_11comp_targetILNS1_3genE5ELNS1_11target_archE942ELNS1_3gpuE9ELNS1_3repE0EEENS1_30default_config_static_selectorELNS0_4arch9wavefront6targetE0EEEvT1_
		.amdhsa_group_segment_fixed_size 0
		.amdhsa_private_segment_fixed_size 0
		.amdhsa_kernarg_size 56
		.amdhsa_user_sgpr_count 15
		.amdhsa_user_sgpr_dispatch_ptr 0
		.amdhsa_user_sgpr_queue_ptr 0
		.amdhsa_user_sgpr_kernarg_segment_ptr 1
		.amdhsa_user_sgpr_dispatch_id 0
		.amdhsa_user_sgpr_private_segment_size 0
		.amdhsa_wavefront_size32 1
		.amdhsa_uses_dynamic_stack 0
		.amdhsa_enable_private_segment 0
		.amdhsa_system_sgpr_workgroup_id_x 1
		.amdhsa_system_sgpr_workgroup_id_y 0
		.amdhsa_system_sgpr_workgroup_id_z 0
		.amdhsa_system_sgpr_workgroup_info 0
		.amdhsa_system_vgpr_workitem_id 0
		.amdhsa_next_free_vgpr 1
		.amdhsa_next_free_sgpr 1
		.amdhsa_reserve_vcc 0
		.amdhsa_float_round_mode_32 0
		.amdhsa_float_round_mode_16_64 0
		.amdhsa_float_denorm_mode_32 3
		.amdhsa_float_denorm_mode_16_64 3
		.amdhsa_dx10_clamp 1
		.amdhsa_ieee_mode 1
		.amdhsa_fp16_overflow 0
		.amdhsa_workgroup_processor_mode 1
		.amdhsa_memory_ordered 1
		.amdhsa_forward_progress 0
		.amdhsa_shared_vgpr_count 0
		.amdhsa_exception_fp_ieee_invalid_op 0
		.amdhsa_exception_fp_denorm_src 0
		.amdhsa_exception_fp_ieee_div_zero 0
		.amdhsa_exception_fp_ieee_overflow 0
		.amdhsa_exception_fp_ieee_underflow 0
		.amdhsa_exception_fp_ieee_inexact 0
		.amdhsa_exception_int_div_zero 0
	.end_amdhsa_kernel
	.section	.text._ZN7rocprim17ROCPRIM_400000_NS6detail17trampoline_kernelINS0_14default_configENS1_25transform_config_selectorIjLb0EEEZNS1_14transform_implILb0ES3_S5_NS0_18transform_iteratorINS0_17counting_iteratorImlEEZNS1_24adjacent_difference_implIS3_Lb1ELb0EPjSB_N6thrust23THRUST_200600_302600_NS5minusIjEEEE10hipError_tPvRmT2_T3_mT4_P12ihipStream_tbEUlmE_jEESB_NS0_8identityIvEEEESG_SJ_SK_mSL_SN_bEUlT_E_NS1_11comp_targetILNS1_3genE5ELNS1_11target_archE942ELNS1_3gpuE9ELNS1_3repE0EEENS1_30default_config_static_selectorELNS0_4arch9wavefront6targetE0EEEvT1_,"axG",@progbits,_ZN7rocprim17ROCPRIM_400000_NS6detail17trampoline_kernelINS0_14default_configENS1_25transform_config_selectorIjLb0EEEZNS1_14transform_implILb0ES3_S5_NS0_18transform_iteratorINS0_17counting_iteratorImlEEZNS1_24adjacent_difference_implIS3_Lb1ELb0EPjSB_N6thrust23THRUST_200600_302600_NS5minusIjEEEE10hipError_tPvRmT2_T3_mT4_P12ihipStream_tbEUlmE_jEESB_NS0_8identityIvEEEESG_SJ_SK_mSL_SN_bEUlT_E_NS1_11comp_targetILNS1_3genE5ELNS1_11target_archE942ELNS1_3gpuE9ELNS1_3repE0EEENS1_30default_config_static_selectorELNS0_4arch9wavefront6targetE0EEEvT1_,comdat
.Lfunc_end164:
	.size	_ZN7rocprim17ROCPRIM_400000_NS6detail17trampoline_kernelINS0_14default_configENS1_25transform_config_selectorIjLb0EEEZNS1_14transform_implILb0ES3_S5_NS0_18transform_iteratorINS0_17counting_iteratorImlEEZNS1_24adjacent_difference_implIS3_Lb1ELb0EPjSB_N6thrust23THRUST_200600_302600_NS5minusIjEEEE10hipError_tPvRmT2_T3_mT4_P12ihipStream_tbEUlmE_jEESB_NS0_8identityIvEEEESG_SJ_SK_mSL_SN_bEUlT_E_NS1_11comp_targetILNS1_3genE5ELNS1_11target_archE942ELNS1_3gpuE9ELNS1_3repE0EEENS1_30default_config_static_selectorELNS0_4arch9wavefront6targetE0EEEvT1_, .Lfunc_end164-_ZN7rocprim17ROCPRIM_400000_NS6detail17trampoline_kernelINS0_14default_configENS1_25transform_config_selectorIjLb0EEEZNS1_14transform_implILb0ES3_S5_NS0_18transform_iteratorINS0_17counting_iteratorImlEEZNS1_24adjacent_difference_implIS3_Lb1ELb0EPjSB_N6thrust23THRUST_200600_302600_NS5minusIjEEEE10hipError_tPvRmT2_T3_mT4_P12ihipStream_tbEUlmE_jEESB_NS0_8identityIvEEEESG_SJ_SK_mSL_SN_bEUlT_E_NS1_11comp_targetILNS1_3genE5ELNS1_11target_archE942ELNS1_3gpuE9ELNS1_3repE0EEENS1_30default_config_static_selectorELNS0_4arch9wavefront6targetE0EEEvT1_
                                        ; -- End function
	.section	.AMDGPU.csdata,"",@progbits
; Kernel info:
; codeLenInByte = 0
; NumSgprs: 0
; NumVgprs: 0
; ScratchSize: 0
; MemoryBound: 0
; FloatMode: 240
; IeeeMode: 1
; LDSByteSize: 0 bytes/workgroup (compile time only)
; SGPRBlocks: 0
; VGPRBlocks: 0
; NumSGPRsForWavesPerEU: 1
; NumVGPRsForWavesPerEU: 1
; Occupancy: 16
; WaveLimiterHint : 0
; COMPUTE_PGM_RSRC2:SCRATCH_EN: 0
; COMPUTE_PGM_RSRC2:USER_SGPR: 15
; COMPUTE_PGM_RSRC2:TRAP_HANDLER: 0
; COMPUTE_PGM_RSRC2:TGID_X_EN: 1
; COMPUTE_PGM_RSRC2:TGID_Y_EN: 0
; COMPUTE_PGM_RSRC2:TGID_Z_EN: 0
; COMPUTE_PGM_RSRC2:TIDIG_COMP_CNT: 0
	.section	.text._ZN7rocprim17ROCPRIM_400000_NS6detail17trampoline_kernelINS0_14default_configENS1_25transform_config_selectorIjLb0EEEZNS1_14transform_implILb0ES3_S5_NS0_18transform_iteratorINS0_17counting_iteratorImlEEZNS1_24adjacent_difference_implIS3_Lb1ELb0EPjSB_N6thrust23THRUST_200600_302600_NS5minusIjEEEE10hipError_tPvRmT2_T3_mT4_P12ihipStream_tbEUlmE_jEESB_NS0_8identityIvEEEESG_SJ_SK_mSL_SN_bEUlT_E_NS1_11comp_targetILNS1_3genE4ELNS1_11target_archE910ELNS1_3gpuE8ELNS1_3repE0EEENS1_30default_config_static_selectorELNS0_4arch9wavefront6targetE0EEEvT1_,"axG",@progbits,_ZN7rocprim17ROCPRIM_400000_NS6detail17trampoline_kernelINS0_14default_configENS1_25transform_config_selectorIjLb0EEEZNS1_14transform_implILb0ES3_S5_NS0_18transform_iteratorINS0_17counting_iteratorImlEEZNS1_24adjacent_difference_implIS3_Lb1ELb0EPjSB_N6thrust23THRUST_200600_302600_NS5minusIjEEEE10hipError_tPvRmT2_T3_mT4_P12ihipStream_tbEUlmE_jEESB_NS0_8identityIvEEEESG_SJ_SK_mSL_SN_bEUlT_E_NS1_11comp_targetILNS1_3genE4ELNS1_11target_archE910ELNS1_3gpuE8ELNS1_3repE0EEENS1_30default_config_static_selectorELNS0_4arch9wavefront6targetE0EEEvT1_,comdat
	.protected	_ZN7rocprim17ROCPRIM_400000_NS6detail17trampoline_kernelINS0_14default_configENS1_25transform_config_selectorIjLb0EEEZNS1_14transform_implILb0ES3_S5_NS0_18transform_iteratorINS0_17counting_iteratorImlEEZNS1_24adjacent_difference_implIS3_Lb1ELb0EPjSB_N6thrust23THRUST_200600_302600_NS5minusIjEEEE10hipError_tPvRmT2_T3_mT4_P12ihipStream_tbEUlmE_jEESB_NS0_8identityIvEEEESG_SJ_SK_mSL_SN_bEUlT_E_NS1_11comp_targetILNS1_3genE4ELNS1_11target_archE910ELNS1_3gpuE8ELNS1_3repE0EEENS1_30default_config_static_selectorELNS0_4arch9wavefront6targetE0EEEvT1_ ; -- Begin function _ZN7rocprim17ROCPRIM_400000_NS6detail17trampoline_kernelINS0_14default_configENS1_25transform_config_selectorIjLb0EEEZNS1_14transform_implILb0ES3_S5_NS0_18transform_iteratorINS0_17counting_iteratorImlEEZNS1_24adjacent_difference_implIS3_Lb1ELb0EPjSB_N6thrust23THRUST_200600_302600_NS5minusIjEEEE10hipError_tPvRmT2_T3_mT4_P12ihipStream_tbEUlmE_jEESB_NS0_8identityIvEEEESG_SJ_SK_mSL_SN_bEUlT_E_NS1_11comp_targetILNS1_3genE4ELNS1_11target_archE910ELNS1_3gpuE8ELNS1_3repE0EEENS1_30default_config_static_selectorELNS0_4arch9wavefront6targetE0EEEvT1_
	.globl	_ZN7rocprim17ROCPRIM_400000_NS6detail17trampoline_kernelINS0_14default_configENS1_25transform_config_selectorIjLb0EEEZNS1_14transform_implILb0ES3_S5_NS0_18transform_iteratorINS0_17counting_iteratorImlEEZNS1_24adjacent_difference_implIS3_Lb1ELb0EPjSB_N6thrust23THRUST_200600_302600_NS5minusIjEEEE10hipError_tPvRmT2_T3_mT4_P12ihipStream_tbEUlmE_jEESB_NS0_8identityIvEEEESG_SJ_SK_mSL_SN_bEUlT_E_NS1_11comp_targetILNS1_3genE4ELNS1_11target_archE910ELNS1_3gpuE8ELNS1_3repE0EEENS1_30default_config_static_selectorELNS0_4arch9wavefront6targetE0EEEvT1_
	.p2align	8
	.type	_ZN7rocprim17ROCPRIM_400000_NS6detail17trampoline_kernelINS0_14default_configENS1_25transform_config_selectorIjLb0EEEZNS1_14transform_implILb0ES3_S5_NS0_18transform_iteratorINS0_17counting_iteratorImlEEZNS1_24adjacent_difference_implIS3_Lb1ELb0EPjSB_N6thrust23THRUST_200600_302600_NS5minusIjEEEE10hipError_tPvRmT2_T3_mT4_P12ihipStream_tbEUlmE_jEESB_NS0_8identityIvEEEESG_SJ_SK_mSL_SN_bEUlT_E_NS1_11comp_targetILNS1_3genE4ELNS1_11target_archE910ELNS1_3gpuE8ELNS1_3repE0EEENS1_30default_config_static_selectorELNS0_4arch9wavefront6targetE0EEEvT1_,@function
_ZN7rocprim17ROCPRIM_400000_NS6detail17trampoline_kernelINS0_14default_configENS1_25transform_config_selectorIjLb0EEEZNS1_14transform_implILb0ES3_S5_NS0_18transform_iteratorINS0_17counting_iteratorImlEEZNS1_24adjacent_difference_implIS3_Lb1ELb0EPjSB_N6thrust23THRUST_200600_302600_NS5minusIjEEEE10hipError_tPvRmT2_T3_mT4_P12ihipStream_tbEUlmE_jEESB_NS0_8identityIvEEEESG_SJ_SK_mSL_SN_bEUlT_E_NS1_11comp_targetILNS1_3genE4ELNS1_11target_archE910ELNS1_3gpuE8ELNS1_3repE0EEENS1_30default_config_static_selectorELNS0_4arch9wavefront6targetE0EEEvT1_: ; @_ZN7rocprim17ROCPRIM_400000_NS6detail17trampoline_kernelINS0_14default_configENS1_25transform_config_selectorIjLb0EEEZNS1_14transform_implILb0ES3_S5_NS0_18transform_iteratorINS0_17counting_iteratorImlEEZNS1_24adjacent_difference_implIS3_Lb1ELb0EPjSB_N6thrust23THRUST_200600_302600_NS5minusIjEEEE10hipError_tPvRmT2_T3_mT4_P12ihipStream_tbEUlmE_jEESB_NS0_8identityIvEEEESG_SJ_SK_mSL_SN_bEUlT_E_NS1_11comp_targetILNS1_3genE4ELNS1_11target_archE910ELNS1_3gpuE8ELNS1_3repE0EEENS1_30default_config_static_selectorELNS0_4arch9wavefront6targetE0EEEvT1_
; %bb.0:
	.section	.rodata,"a",@progbits
	.p2align	6, 0x0
	.amdhsa_kernel _ZN7rocprim17ROCPRIM_400000_NS6detail17trampoline_kernelINS0_14default_configENS1_25transform_config_selectorIjLb0EEEZNS1_14transform_implILb0ES3_S5_NS0_18transform_iteratorINS0_17counting_iteratorImlEEZNS1_24adjacent_difference_implIS3_Lb1ELb0EPjSB_N6thrust23THRUST_200600_302600_NS5minusIjEEEE10hipError_tPvRmT2_T3_mT4_P12ihipStream_tbEUlmE_jEESB_NS0_8identityIvEEEESG_SJ_SK_mSL_SN_bEUlT_E_NS1_11comp_targetILNS1_3genE4ELNS1_11target_archE910ELNS1_3gpuE8ELNS1_3repE0EEENS1_30default_config_static_selectorELNS0_4arch9wavefront6targetE0EEEvT1_
		.amdhsa_group_segment_fixed_size 0
		.amdhsa_private_segment_fixed_size 0
		.amdhsa_kernarg_size 56
		.amdhsa_user_sgpr_count 15
		.amdhsa_user_sgpr_dispatch_ptr 0
		.amdhsa_user_sgpr_queue_ptr 0
		.amdhsa_user_sgpr_kernarg_segment_ptr 1
		.amdhsa_user_sgpr_dispatch_id 0
		.amdhsa_user_sgpr_private_segment_size 0
		.amdhsa_wavefront_size32 1
		.amdhsa_uses_dynamic_stack 0
		.amdhsa_enable_private_segment 0
		.amdhsa_system_sgpr_workgroup_id_x 1
		.amdhsa_system_sgpr_workgroup_id_y 0
		.amdhsa_system_sgpr_workgroup_id_z 0
		.amdhsa_system_sgpr_workgroup_info 0
		.amdhsa_system_vgpr_workitem_id 0
		.amdhsa_next_free_vgpr 1
		.amdhsa_next_free_sgpr 1
		.amdhsa_reserve_vcc 0
		.amdhsa_float_round_mode_32 0
		.amdhsa_float_round_mode_16_64 0
		.amdhsa_float_denorm_mode_32 3
		.amdhsa_float_denorm_mode_16_64 3
		.amdhsa_dx10_clamp 1
		.amdhsa_ieee_mode 1
		.amdhsa_fp16_overflow 0
		.amdhsa_workgroup_processor_mode 1
		.amdhsa_memory_ordered 1
		.amdhsa_forward_progress 0
		.amdhsa_shared_vgpr_count 0
		.amdhsa_exception_fp_ieee_invalid_op 0
		.amdhsa_exception_fp_denorm_src 0
		.amdhsa_exception_fp_ieee_div_zero 0
		.amdhsa_exception_fp_ieee_overflow 0
		.amdhsa_exception_fp_ieee_underflow 0
		.amdhsa_exception_fp_ieee_inexact 0
		.amdhsa_exception_int_div_zero 0
	.end_amdhsa_kernel
	.section	.text._ZN7rocprim17ROCPRIM_400000_NS6detail17trampoline_kernelINS0_14default_configENS1_25transform_config_selectorIjLb0EEEZNS1_14transform_implILb0ES3_S5_NS0_18transform_iteratorINS0_17counting_iteratorImlEEZNS1_24adjacent_difference_implIS3_Lb1ELb0EPjSB_N6thrust23THRUST_200600_302600_NS5minusIjEEEE10hipError_tPvRmT2_T3_mT4_P12ihipStream_tbEUlmE_jEESB_NS0_8identityIvEEEESG_SJ_SK_mSL_SN_bEUlT_E_NS1_11comp_targetILNS1_3genE4ELNS1_11target_archE910ELNS1_3gpuE8ELNS1_3repE0EEENS1_30default_config_static_selectorELNS0_4arch9wavefront6targetE0EEEvT1_,"axG",@progbits,_ZN7rocprim17ROCPRIM_400000_NS6detail17trampoline_kernelINS0_14default_configENS1_25transform_config_selectorIjLb0EEEZNS1_14transform_implILb0ES3_S5_NS0_18transform_iteratorINS0_17counting_iteratorImlEEZNS1_24adjacent_difference_implIS3_Lb1ELb0EPjSB_N6thrust23THRUST_200600_302600_NS5minusIjEEEE10hipError_tPvRmT2_T3_mT4_P12ihipStream_tbEUlmE_jEESB_NS0_8identityIvEEEESG_SJ_SK_mSL_SN_bEUlT_E_NS1_11comp_targetILNS1_3genE4ELNS1_11target_archE910ELNS1_3gpuE8ELNS1_3repE0EEENS1_30default_config_static_selectorELNS0_4arch9wavefront6targetE0EEEvT1_,comdat
.Lfunc_end165:
	.size	_ZN7rocprim17ROCPRIM_400000_NS6detail17trampoline_kernelINS0_14default_configENS1_25transform_config_selectorIjLb0EEEZNS1_14transform_implILb0ES3_S5_NS0_18transform_iteratorINS0_17counting_iteratorImlEEZNS1_24adjacent_difference_implIS3_Lb1ELb0EPjSB_N6thrust23THRUST_200600_302600_NS5minusIjEEEE10hipError_tPvRmT2_T3_mT4_P12ihipStream_tbEUlmE_jEESB_NS0_8identityIvEEEESG_SJ_SK_mSL_SN_bEUlT_E_NS1_11comp_targetILNS1_3genE4ELNS1_11target_archE910ELNS1_3gpuE8ELNS1_3repE0EEENS1_30default_config_static_selectorELNS0_4arch9wavefront6targetE0EEEvT1_, .Lfunc_end165-_ZN7rocprim17ROCPRIM_400000_NS6detail17trampoline_kernelINS0_14default_configENS1_25transform_config_selectorIjLb0EEEZNS1_14transform_implILb0ES3_S5_NS0_18transform_iteratorINS0_17counting_iteratorImlEEZNS1_24adjacent_difference_implIS3_Lb1ELb0EPjSB_N6thrust23THRUST_200600_302600_NS5minusIjEEEE10hipError_tPvRmT2_T3_mT4_P12ihipStream_tbEUlmE_jEESB_NS0_8identityIvEEEESG_SJ_SK_mSL_SN_bEUlT_E_NS1_11comp_targetILNS1_3genE4ELNS1_11target_archE910ELNS1_3gpuE8ELNS1_3repE0EEENS1_30default_config_static_selectorELNS0_4arch9wavefront6targetE0EEEvT1_
                                        ; -- End function
	.section	.AMDGPU.csdata,"",@progbits
; Kernel info:
; codeLenInByte = 0
; NumSgprs: 0
; NumVgprs: 0
; ScratchSize: 0
; MemoryBound: 0
; FloatMode: 240
; IeeeMode: 1
; LDSByteSize: 0 bytes/workgroup (compile time only)
; SGPRBlocks: 0
; VGPRBlocks: 0
; NumSGPRsForWavesPerEU: 1
; NumVGPRsForWavesPerEU: 1
; Occupancy: 16
; WaveLimiterHint : 0
; COMPUTE_PGM_RSRC2:SCRATCH_EN: 0
; COMPUTE_PGM_RSRC2:USER_SGPR: 15
; COMPUTE_PGM_RSRC2:TRAP_HANDLER: 0
; COMPUTE_PGM_RSRC2:TGID_X_EN: 1
; COMPUTE_PGM_RSRC2:TGID_Y_EN: 0
; COMPUTE_PGM_RSRC2:TGID_Z_EN: 0
; COMPUTE_PGM_RSRC2:TIDIG_COMP_CNT: 0
	.section	.text._ZN7rocprim17ROCPRIM_400000_NS6detail17trampoline_kernelINS0_14default_configENS1_25transform_config_selectorIjLb0EEEZNS1_14transform_implILb0ES3_S5_NS0_18transform_iteratorINS0_17counting_iteratorImlEEZNS1_24adjacent_difference_implIS3_Lb1ELb0EPjSB_N6thrust23THRUST_200600_302600_NS5minusIjEEEE10hipError_tPvRmT2_T3_mT4_P12ihipStream_tbEUlmE_jEESB_NS0_8identityIvEEEESG_SJ_SK_mSL_SN_bEUlT_E_NS1_11comp_targetILNS1_3genE3ELNS1_11target_archE908ELNS1_3gpuE7ELNS1_3repE0EEENS1_30default_config_static_selectorELNS0_4arch9wavefront6targetE0EEEvT1_,"axG",@progbits,_ZN7rocprim17ROCPRIM_400000_NS6detail17trampoline_kernelINS0_14default_configENS1_25transform_config_selectorIjLb0EEEZNS1_14transform_implILb0ES3_S5_NS0_18transform_iteratorINS0_17counting_iteratorImlEEZNS1_24adjacent_difference_implIS3_Lb1ELb0EPjSB_N6thrust23THRUST_200600_302600_NS5minusIjEEEE10hipError_tPvRmT2_T3_mT4_P12ihipStream_tbEUlmE_jEESB_NS0_8identityIvEEEESG_SJ_SK_mSL_SN_bEUlT_E_NS1_11comp_targetILNS1_3genE3ELNS1_11target_archE908ELNS1_3gpuE7ELNS1_3repE0EEENS1_30default_config_static_selectorELNS0_4arch9wavefront6targetE0EEEvT1_,comdat
	.protected	_ZN7rocprim17ROCPRIM_400000_NS6detail17trampoline_kernelINS0_14default_configENS1_25transform_config_selectorIjLb0EEEZNS1_14transform_implILb0ES3_S5_NS0_18transform_iteratorINS0_17counting_iteratorImlEEZNS1_24adjacent_difference_implIS3_Lb1ELb0EPjSB_N6thrust23THRUST_200600_302600_NS5minusIjEEEE10hipError_tPvRmT2_T3_mT4_P12ihipStream_tbEUlmE_jEESB_NS0_8identityIvEEEESG_SJ_SK_mSL_SN_bEUlT_E_NS1_11comp_targetILNS1_3genE3ELNS1_11target_archE908ELNS1_3gpuE7ELNS1_3repE0EEENS1_30default_config_static_selectorELNS0_4arch9wavefront6targetE0EEEvT1_ ; -- Begin function _ZN7rocprim17ROCPRIM_400000_NS6detail17trampoline_kernelINS0_14default_configENS1_25transform_config_selectorIjLb0EEEZNS1_14transform_implILb0ES3_S5_NS0_18transform_iteratorINS0_17counting_iteratorImlEEZNS1_24adjacent_difference_implIS3_Lb1ELb0EPjSB_N6thrust23THRUST_200600_302600_NS5minusIjEEEE10hipError_tPvRmT2_T3_mT4_P12ihipStream_tbEUlmE_jEESB_NS0_8identityIvEEEESG_SJ_SK_mSL_SN_bEUlT_E_NS1_11comp_targetILNS1_3genE3ELNS1_11target_archE908ELNS1_3gpuE7ELNS1_3repE0EEENS1_30default_config_static_selectorELNS0_4arch9wavefront6targetE0EEEvT1_
	.globl	_ZN7rocprim17ROCPRIM_400000_NS6detail17trampoline_kernelINS0_14default_configENS1_25transform_config_selectorIjLb0EEEZNS1_14transform_implILb0ES3_S5_NS0_18transform_iteratorINS0_17counting_iteratorImlEEZNS1_24adjacent_difference_implIS3_Lb1ELb0EPjSB_N6thrust23THRUST_200600_302600_NS5minusIjEEEE10hipError_tPvRmT2_T3_mT4_P12ihipStream_tbEUlmE_jEESB_NS0_8identityIvEEEESG_SJ_SK_mSL_SN_bEUlT_E_NS1_11comp_targetILNS1_3genE3ELNS1_11target_archE908ELNS1_3gpuE7ELNS1_3repE0EEENS1_30default_config_static_selectorELNS0_4arch9wavefront6targetE0EEEvT1_
	.p2align	8
	.type	_ZN7rocprim17ROCPRIM_400000_NS6detail17trampoline_kernelINS0_14default_configENS1_25transform_config_selectorIjLb0EEEZNS1_14transform_implILb0ES3_S5_NS0_18transform_iteratorINS0_17counting_iteratorImlEEZNS1_24adjacent_difference_implIS3_Lb1ELb0EPjSB_N6thrust23THRUST_200600_302600_NS5minusIjEEEE10hipError_tPvRmT2_T3_mT4_P12ihipStream_tbEUlmE_jEESB_NS0_8identityIvEEEESG_SJ_SK_mSL_SN_bEUlT_E_NS1_11comp_targetILNS1_3genE3ELNS1_11target_archE908ELNS1_3gpuE7ELNS1_3repE0EEENS1_30default_config_static_selectorELNS0_4arch9wavefront6targetE0EEEvT1_,@function
_ZN7rocprim17ROCPRIM_400000_NS6detail17trampoline_kernelINS0_14default_configENS1_25transform_config_selectorIjLb0EEEZNS1_14transform_implILb0ES3_S5_NS0_18transform_iteratorINS0_17counting_iteratorImlEEZNS1_24adjacent_difference_implIS3_Lb1ELb0EPjSB_N6thrust23THRUST_200600_302600_NS5minusIjEEEE10hipError_tPvRmT2_T3_mT4_P12ihipStream_tbEUlmE_jEESB_NS0_8identityIvEEEESG_SJ_SK_mSL_SN_bEUlT_E_NS1_11comp_targetILNS1_3genE3ELNS1_11target_archE908ELNS1_3gpuE7ELNS1_3repE0EEENS1_30default_config_static_selectorELNS0_4arch9wavefront6targetE0EEEvT1_: ; @_ZN7rocprim17ROCPRIM_400000_NS6detail17trampoline_kernelINS0_14default_configENS1_25transform_config_selectorIjLb0EEEZNS1_14transform_implILb0ES3_S5_NS0_18transform_iteratorINS0_17counting_iteratorImlEEZNS1_24adjacent_difference_implIS3_Lb1ELb0EPjSB_N6thrust23THRUST_200600_302600_NS5minusIjEEEE10hipError_tPvRmT2_T3_mT4_P12ihipStream_tbEUlmE_jEESB_NS0_8identityIvEEEESG_SJ_SK_mSL_SN_bEUlT_E_NS1_11comp_targetILNS1_3genE3ELNS1_11target_archE908ELNS1_3gpuE7ELNS1_3repE0EEENS1_30default_config_static_selectorELNS0_4arch9wavefront6targetE0EEEvT1_
; %bb.0:
	.section	.rodata,"a",@progbits
	.p2align	6, 0x0
	.amdhsa_kernel _ZN7rocprim17ROCPRIM_400000_NS6detail17trampoline_kernelINS0_14default_configENS1_25transform_config_selectorIjLb0EEEZNS1_14transform_implILb0ES3_S5_NS0_18transform_iteratorINS0_17counting_iteratorImlEEZNS1_24adjacent_difference_implIS3_Lb1ELb0EPjSB_N6thrust23THRUST_200600_302600_NS5minusIjEEEE10hipError_tPvRmT2_T3_mT4_P12ihipStream_tbEUlmE_jEESB_NS0_8identityIvEEEESG_SJ_SK_mSL_SN_bEUlT_E_NS1_11comp_targetILNS1_3genE3ELNS1_11target_archE908ELNS1_3gpuE7ELNS1_3repE0EEENS1_30default_config_static_selectorELNS0_4arch9wavefront6targetE0EEEvT1_
		.amdhsa_group_segment_fixed_size 0
		.amdhsa_private_segment_fixed_size 0
		.amdhsa_kernarg_size 56
		.amdhsa_user_sgpr_count 15
		.amdhsa_user_sgpr_dispatch_ptr 0
		.amdhsa_user_sgpr_queue_ptr 0
		.amdhsa_user_sgpr_kernarg_segment_ptr 1
		.amdhsa_user_sgpr_dispatch_id 0
		.amdhsa_user_sgpr_private_segment_size 0
		.amdhsa_wavefront_size32 1
		.amdhsa_uses_dynamic_stack 0
		.amdhsa_enable_private_segment 0
		.amdhsa_system_sgpr_workgroup_id_x 1
		.amdhsa_system_sgpr_workgroup_id_y 0
		.amdhsa_system_sgpr_workgroup_id_z 0
		.amdhsa_system_sgpr_workgroup_info 0
		.amdhsa_system_vgpr_workitem_id 0
		.amdhsa_next_free_vgpr 1
		.amdhsa_next_free_sgpr 1
		.amdhsa_reserve_vcc 0
		.amdhsa_float_round_mode_32 0
		.amdhsa_float_round_mode_16_64 0
		.amdhsa_float_denorm_mode_32 3
		.amdhsa_float_denorm_mode_16_64 3
		.amdhsa_dx10_clamp 1
		.amdhsa_ieee_mode 1
		.amdhsa_fp16_overflow 0
		.amdhsa_workgroup_processor_mode 1
		.amdhsa_memory_ordered 1
		.amdhsa_forward_progress 0
		.amdhsa_shared_vgpr_count 0
		.amdhsa_exception_fp_ieee_invalid_op 0
		.amdhsa_exception_fp_denorm_src 0
		.amdhsa_exception_fp_ieee_div_zero 0
		.amdhsa_exception_fp_ieee_overflow 0
		.amdhsa_exception_fp_ieee_underflow 0
		.amdhsa_exception_fp_ieee_inexact 0
		.amdhsa_exception_int_div_zero 0
	.end_amdhsa_kernel
	.section	.text._ZN7rocprim17ROCPRIM_400000_NS6detail17trampoline_kernelINS0_14default_configENS1_25transform_config_selectorIjLb0EEEZNS1_14transform_implILb0ES3_S5_NS0_18transform_iteratorINS0_17counting_iteratorImlEEZNS1_24adjacent_difference_implIS3_Lb1ELb0EPjSB_N6thrust23THRUST_200600_302600_NS5minusIjEEEE10hipError_tPvRmT2_T3_mT4_P12ihipStream_tbEUlmE_jEESB_NS0_8identityIvEEEESG_SJ_SK_mSL_SN_bEUlT_E_NS1_11comp_targetILNS1_3genE3ELNS1_11target_archE908ELNS1_3gpuE7ELNS1_3repE0EEENS1_30default_config_static_selectorELNS0_4arch9wavefront6targetE0EEEvT1_,"axG",@progbits,_ZN7rocprim17ROCPRIM_400000_NS6detail17trampoline_kernelINS0_14default_configENS1_25transform_config_selectorIjLb0EEEZNS1_14transform_implILb0ES3_S5_NS0_18transform_iteratorINS0_17counting_iteratorImlEEZNS1_24adjacent_difference_implIS3_Lb1ELb0EPjSB_N6thrust23THRUST_200600_302600_NS5minusIjEEEE10hipError_tPvRmT2_T3_mT4_P12ihipStream_tbEUlmE_jEESB_NS0_8identityIvEEEESG_SJ_SK_mSL_SN_bEUlT_E_NS1_11comp_targetILNS1_3genE3ELNS1_11target_archE908ELNS1_3gpuE7ELNS1_3repE0EEENS1_30default_config_static_selectorELNS0_4arch9wavefront6targetE0EEEvT1_,comdat
.Lfunc_end166:
	.size	_ZN7rocprim17ROCPRIM_400000_NS6detail17trampoline_kernelINS0_14default_configENS1_25transform_config_selectorIjLb0EEEZNS1_14transform_implILb0ES3_S5_NS0_18transform_iteratorINS0_17counting_iteratorImlEEZNS1_24adjacent_difference_implIS3_Lb1ELb0EPjSB_N6thrust23THRUST_200600_302600_NS5minusIjEEEE10hipError_tPvRmT2_T3_mT4_P12ihipStream_tbEUlmE_jEESB_NS0_8identityIvEEEESG_SJ_SK_mSL_SN_bEUlT_E_NS1_11comp_targetILNS1_3genE3ELNS1_11target_archE908ELNS1_3gpuE7ELNS1_3repE0EEENS1_30default_config_static_selectorELNS0_4arch9wavefront6targetE0EEEvT1_, .Lfunc_end166-_ZN7rocprim17ROCPRIM_400000_NS6detail17trampoline_kernelINS0_14default_configENS1_25transform_config_selectorIjLb0EEEZNS1_14transform_implILb0ES3_S5_NS0_18transform_iteratorINS0_17counting_iteratorImlEEZNS1_24adjacent_difference_implIS3_Lb1ELb0EPjSB_N6thrust23THRUST_200600_302600_NS5minusIjEEEE10hipError_tPvRmT2_T3_mT4_P12ihipStream_tbEUlmE_jEESB_NS0_8identityIvEEEESG_SJ_SK_mSL_SN_bEUlT_E_NS1_11comp_targetILNS1_3genE3ELNS1_11target_archE908ELNS1_3gpuE7ELNS1_3repE0EEENS1_30default_config_static_selectorELNS0_4arch9wavefront6targetE0EEEvT1_
                                        ; -- End function
	.section	.AMDGPU.csdata,"",@progbits
; Kernel info:
; codeLenInByte = 0
; NumSgprs: 0
; NumVgprs: 0
; ScratchSize: 0
; MemoryBound: 0
; FloatMode: 240
; IeeeMode: 1
; LDSByteSize: 0 bytes/workgroup (compile time only)
; SGPRBlocks: 0
; VGPRBlocks: 0
; NumSGPRsForWavesPerEU: 1
; NumVGPRsForWavesPerEU: 1
; Occupancy: 16
; WaveLimiterHint : 0
; COMPUTE_PGM_RSRC2:SCRATCH_EN: 0
; COMPUTE_PGM_RSRC2:USER_SGPR: 15
; COMPUTE_PGM_RSRC2:TRAP_HANDLER: 0
; COMPUTE_PGM_RSRC2:TGID_X_EN: 1
; COMPUTE_PGM_RSRC2:TGID_Y_EN: 0
; COMPUTE_PGM_RSRC2:TGID_Z_EN: 0
; COMPUTE_PGM_RSRC2:TIDIG_COMP_CNT: 0
	.section	.text._ZN7rocprim17ROCPRIM_400000_NS6detail17trampoline_kernelINS0_14default_configENS1_25transform_config_selectorIjLb0EEEZNS1_14transform_implILb0ES3_S5_NS0_18transform_iteratorINS0_17counting_iteratorImlEEZNS1_24adjacent_difference_implIS3_Lb1ELb0EPjSB_N6thrust23THRUST_200600_302600_NS5minusIjEEEE10hipError_tPvRmT2_T3_mT4_P12ihipStream_tbEUlmE_jEESB_NS0_8identityIvEEEESG_SJ_SK_mSL_SN_bEUlT_E_NS1_11comp_targetILNS1_3genE2ELNS1_11target_archE906ELNS1_3gpuE6ELNS1_3repE0EEENS1_30default_config_static_selectorELNS0_4arch9wavefront6targetE0EEEvT1_,"axG",@progbits,_ZN7rocprim17ROCPRIM_400000_NS6detail17trampoline_kernelINS0_14default_configENS1_25transform_config_selectorIjLb0EEEZNS1_14transform_implILb0ES3_S5_NS0_18transform_iteratorINS0_17counting_iteratorImlEEZNS1_24adjacent_difference_implIS3_Lb1ELb0EPjSB_N6thrust23THRUST_200600_302600_NS5minusIjEEEE10hipError_tPvRmT2_T3_mT4_P12ihipStream_tbEUlmE_jEESB_NS0_8identityIvEEEESG_SJ_SK_mSL_SN_bEUlT_E_NS1_11comp_targetILNS1_3genE2ELNS1_11target_archE906ELNS1_3gpuE6ELNS1_3repE0EEENS1_30default_config_static_selectorELNS0_4arch9wavefront6targetE0EEEvT1_,comdat
	.protected	_ZN7rocprim17ROCPRIM_400000_NS6detail17trampoline_kernelINS0_14default_configENS1_25transform_config_selectorIjLb0EEEZNS1_14transform_implILb0ES3_S5_NS0_18transform_iteratorINS0_17counting_iteratorImlEEZNS1_24adjacent_difference_implIS3_Lb1ELb0EPjSB_N6thrust23THRUST_200600_302600_NS5minusIjEEEE10hipError_tPvRmT2_T3_mT4_P12ihipStream_tbEUlmE_jEESB_NS0_8identityIvEEEESG_SJ_SK_mSL_SN_bEUlT_E_NS1_11comp_targetILNS1_3genE2ELNS1_11target_archE906ELNS1_3gpuE6ELNS1_3repE0EEENS1_30default_config_static_selectorELNS0_4arch9wavefront6targetE0EEEvT1_ ; -- Begin function _ZN7rocprim17ROCPRIM_400000_NS6detail17trampoline_kernelINS0_14default_configENS1_25transform_config_selectorIjLb0EEEZNS1_14transform_implILb0ES3_S5_NS0_18transform_iteratorINS0_17counting_iteratorImlEEZNS1_24adjacent_difference_implIS3_Lb1ELb0EPjSB_N6thrust23THRUST_200600_302600_NS5minusIjEEEE10hipError_tPvRmT2_T3_mT4_P12ihipStream_tbEUlmE_jEESB_NS0_8identityIvEEEESG_SJ_SK_mSL_SN_bEUlT_E_NS1_11comp_targetILNS1_3genE2ELNS1_11target_archE906ELNS1_3gpuE6ELNS1_3repE0EEENS1_30default_config_static_selectorELNS0_4arch9wavefront6targetE0EEEvT1_
	.globl	_ZN7rocprim17ROCPRIM_400000_NS6detail17trampoline_kernelINS0_14default_configENS1_25transform_config_selectorIjLb0EEEZNS1_14transform_implILb0ES3_S5_NS0_18transform_iteratorINS0_17counting_iteratorImlEEZNS1_24adjacent_difference_implIS3_Lb1ELb0EPjSB_N6thrust23THRUST_200600_302600_NS5minusIjEEEE10hipError_tPvRmT2_T3_mT4_P12ihipStream_tbEUlmE_jEESB_NS0_8identityIvEEEESG_SJ_SK_mSL_SN_bEUlT_E_NS1_11comp_targetILNS1_3genE2ELNS1_11target_archE906ELNS1_3gpuE6ELNS1_3repE0EEENS1_30default_config_static_selectorELNS0_4arch9wavefront6targetE0EEEvT1_
	.p2align	8
	.type	_ZN7rocprim17ROCPRIM_400000_NS6detail17trampoline_kernelINS0_14default_configENS1_25transform_config_selectorIjLb0EEEZNS1_14transform_implILb0ES3_S5_NS0_18transform_iteratorINS0_17counting_iteratorImlEEZNS1_24adjacent_difference_implIS3_Lb1ELb0EPjSB_N6thrust23THRUST_200600_302600_NS5minusIjEEEE10hipError_tPvRmT2_T3_mT4_P12ihipStream_tbEUlmE_jEESB_NS0_8identityIvEEEESG_SJ_SK_mSL_SN_bEUlT_E_NS1_11comp_targetILNS1_3genE2ELNS1_11target_archE906ELNS1_3gpuE6ELNS1_3repE0EEENS1_30default_config_static_selectorELNS0_4arch9wavefront6targetE0EEEvT1_,@function
_ZN7rocprim17ROCPRIM_400000_NS6detail17trampoline_kernelINS0_14default_configENS1_25transform_config_selectorIjLb0EEEZNS1_14transform_implILb0ES3_S5_NS0_18transform_iteratorINS0_17counting_iteratorImlEEZNS1_24adjacent_difference_implIS3_Lb1ELb0EPjSB_N6thrust23THRUST_200600_302600_NS5minusIjEEEE10hipError_tPvRmT2_T3_mT4_P12ihipStream_tbEUlmE_jEESB_NS0_8identityIvEEEESG_SJ_SK_mSL_SN_bEUlT_E_NS1_11comp_targetILNS1_3genE2ELNS1_11target_archE906ELNS1_3gpuE6ELNS1_3repE0EEENS1_30default_config_static_selectorELNS0_4arch9wavefront6targetE0EEEvT1_: ; @_ZN7rocprim17ROCPRIM_400000_NS6detail17trampoline_kernelINS0_14default_configENS1_25transform_config_selectorIjLb0EEEZNS1_14transform_implILb0ES3_S5_NS0_18transform_iteratorINS0_17counting_iteratorImlEEZNS1_24adjacent_difference_implIS3_Lb1ELb0EPjSB_N6thrust23THRUST_200600_302600_NS5minusIjEEEE10hipError_tPvRmT2_T3_mT4_P12ihipStream_tbEUlmE_jEESB_NS0_8identityIvEEEESG_SJ_SK_mSL_SN_bEUlT_E_NS1_11comp_targetILNS1_3genE2ELNS1_11target_archE906ELNS1_3gpuE6ELNS1_3repE0EEENS1_30default_config_static_selectorELNS0_4arch9wavefront6targetE0EEEvT1_
; %bb.0:
	.section	.rodata,"a",@progbits
	.p2align	6, 0x0
	.amdhsa_kernel _ZN7rocprim17ROCPRIM_400000_NS6detail17trampoline_kernelINS0_14default_configENS1_25transform_config_selectorIjLb0EEEZNS1_14transform_implILb0ES3_S5_NS0_18transform_iteratorINS0_17counting_iteratorImlEEZNS1_24adjacent_difference_implIS3_Lb1ELb0EPjSB_N6thrust23THRUST_200600_302600_NS5minusIjEEEE10hipError_tPvRmT2_T3_mT4_P12ihipStream_tbEUlmE_jEESB_NS0_8identityIvEEEESG_SJ_SK_mSL_SN_bEUlT_E_NS1_11comp_targetILNS1_3genE2ELNS1_11target_archE906ELNS1_3gpuE6ELNS1_3repE0EEENS1_30default_config_static_selectorELNS0_4arch9wavefront6targetE0EEEvT1_
		.amdhsa_group_segment_fixed_size 0
		.amdhsa_private_segment_fixed_size 0
		.amdhsa_kernarg_size 56
		.amdhsa_user_sgpr_count 15
		.amdhsa_user_sgpr_dispatch_ptr 0
		.amdhsa_user_sgpr_queue_ptr 0
		.amdhsa_user_sgpr_kernarg_segment_ptr 1
		.amdhsa_user_sgpr_dispatch_id 0
		.amdhsa_user_sgpr_private_segment_size 0
		.amdhsa_wavefront_size32 1
		.amdhsa_uses_dynamic_stack 0
		.amdhsa_enable_private_segment 0
		.amdhsa_system_sgpr_workgroup_id_x 1
		.amdhsa_system_sgpr_workgroup_id_y 0
		.amdhsa_system_sgpr_workgroup_id_z 0
		.amdhsa_system_sgpr_workgroup_info 0
		.amdhsa_system_vgpr_workitem_id 0
		.amdhsa_next_free_vgpr 1
		.amdhsa_next_free_sgpr 1
		.amdhsa_reserve_vcc 0
		.amdhsa_float_round_mode_32 0
		.amdhsa_float_round_mode_16_64 0
		.amdhsa_float_denorm_mode_32 3
		.amdhsa_float_denorm_mode_16_64 3
		.amdhsa_dx10_clamp 1
		.amdhsa_ieee_mode 1
		.amdhsa_fp16_overflow 0
		.amdhsa_workgroup_processor_mode 1
		.amdhsa_memory_ordered 1
		.amdhsa_forward_progress 0
		.amdhsa_shared_vgpr_count 0
		.amdhsa_exception_fp_ieee_invalid_op 0
		.amdhsa_exception_fp_denorm_src 0
		.amdhsa_exception_fp_ieee_div_zero 0
		.amdhsa_exception_fp_ieee_overflow 0
		.amdhsa_exception_fp_ieee_underflow 0
		.amdhsa_exception_fp_ieee_inexact 0
		.amdhsa_exception_int_div_zero 0
	.end_amdhsa_kernel
	.section	.text._ZN7rocprim17ROCPRIM_400000_NS6detail17trampoline_kernelINS0_14default_configENS1_25transform_config_selectorIjLb0EEEZNS1_14transform_implILb0ES3_S5_NS0_18transform_iteratorINS0_17counting_iteratorImlEEZNS1_24adjacent_difference_implIS3_Lb1ELb0EPjSB_N6thrust23THRUST_200600_302600_NS5minusIjEEEE10hipError_tPvRmT2_T3_mT4_P12ihipStream_tbEUlmE_jEESB_NS0_8identityIvEEEESG_SJ_SK_mSL_SN_bEUlT_E_NS1_11comp_targetILNS1_3genE2ELNS1_11target_archE906ELNS1_3gpuE6ELNS1_3repE0EEENS1_30default_config_static_selectorELNS0_4arch9wavefront6targetE0EEEvT1_,"axG",@progbits,_ZN7rocprim17ROCPRIM_400000_NS6detail17trampoline_kernelINS0_14default_configENS1_25transform_config_selectorIjLb0EEEZNS1_14transform_implILb0ES3_S5_NS0_18transform_iteratorINS0_17counting_iteratorImlEEZNS1_24adjacent_difference_implIS3_Lb1ELb0EPjSB_N6thrust23THRUST_200600_302600_NS5minusIjEEEE10hipError_tPvRmT2_T3_mT4_P12ihipStream_tbEUlmE_jEESB_NS0_8identityIvEEEESG_SJ_SK_mSL_SN_bEUlT_E_NS1_11comp_targetILNS1_3genE2ELNS1_11target_archE906ELNS1_3gpuE6ELNS1_3repE0EEENS1_30default_config_static_selectorELNS0_4arch9wavefront6targetE0EEEvT1_,comdat
.Lfunc_end167:
	.size	_ZN7rocprim17ROCPRIM_400000_NS6detail17trampoline_kernelINS0_14default_configENS1_25transform_config_selectorIjLb0EEEZNS1_14transform_implILb0ES3_S5_NS0_18transform_iteratorINS0_17counting_iteratorImlEEZNS1_24adjacent_difference_implIS3_Lb1ELb0EPjSB_N6thrust23THRUST_200600_302600_NS5minusIjEEEE10hipError_tPvRmT2_T3_mT4_P12ihipStream_tbEUlmE_jEESB_NS0_8identityIvEEEESG_SJ_SK_mSL_SN_bEUlT_E_NS1_11comp_targetILNS1_3genE2ELNS1_11target_archE906ELNS1_3gpuE6ELNS1_3repE0EEENS1_30default_config_static_selectorELNS0_4arch9wavefront6targetE0EEEvT1_, .Lfunc_end167-_ZN7rocprim17ROCPRIM_400000_NS6detail17trampoline_kernelINS0_14default_configENS1_25transform_config_selectorIjLb0EEEZNS1_14transform_implILb0ES3_S5_NS0_18transform_iteratorINS0_17counting_iteratorImlEEZNS1_24adjacent_difference_implIS3_Lb1ELb0EPjSB_N6thrust23THRUST_200600_302600_NS5minusIjEEEE10hipError_tPvRmT2_T3_mT4_P12ihipStream_tbEUlmE_jEESB_NS0_8identityIvEEEESG_SJ_SK_mSL_SN_bEUlT_E_NS1_11comp_targetILNS1_3genE2ELNS1_11target_archE906ELNS1_3gpuE6ELNS1_3repE0EEENS1_30default_config_static_selectorELNS0_4arch9wavefront6targetE0EEEvT1_
                                        ; -- End function
	.section	.AMDGPU.csdata,"",@progbits
; Kernel info:
; codeLenInByte = 0
; NumSgprs: 0
; NumVgprs: 0
; ScratchSize: 0
; MemoryBound: 0
; FloatMode: 240
; IeeeMode: 1
; LDSByteSize: 0 bytes/workgroup (compile time only)
; SGPRBlocks: 0
; VGPRBlocks: 0
; NumSGPRsForWavesPerEU: 1
; NumVGPRsForWavesPerEU: 1
; Occupancy: 16
; WaveLimiterHint : 0
; COMPUTE_PGM_RSRC2:SCRATCH_EN: 0
; COMPUTE_PGM_RSRC2:USER_SGPR: 15
; COMPUTE_PGM_RSRC2:TRAP_HANDLER: 0
; COMPUTE_PGM_RSRC2:TGID_X_EN: 1
; COMPUTE_PGM_RSRC2:TGID_Y_EN: 0
; COMPUTE_PGM_RSRC2:TGID_Z_EN: 0
; COMPUTE_PGM_RSRC2:TIDIG_COMP_CNT: 0
	.section	.text._ZN7rocprim17ROCPRIM_400000_NS6detail17trampoline_kernelINS0_14default_configENS1_25transform_config_selectorIjLb0EEEZNS1_14transform_implILb0ES3_S5_NS0_18transform_iteratorINS0_17counting_iteratorImlEEZNS1_24adjacent_difference_implIS3_Lb1ELb0EPjSB_N6thrust23THRUST_200600_302600_NS5minusIjEEEE10hipError_tPvRmT2_T3_mT4_P12ihipStream_tbEUlmE_jEESB_NS0_8identityIvEEEESG_SJ_SK_mSL_SN_bEUlT_E_NS1_11comp_targetILNS1_3genE10ELNS1_11target_archE1201ELNS1_3gpuE5ELNS1_3repE0EEENS1_30default_config_static_selectorELNS0_4arch9wavefront6targetE0EEEvT1_,"axG",@progbits,_ZN7rocprim17ROCPRIM_400000_NS6detail17trampoline_kernelINS0_14default_configENS1_25transform_config_selectorIjLb0EEEZNS1_14transform_implILb0ES3_S5_NS0_18transform_iteratorINS0_17counting_iteratorImlEEZNS1_24adjacent_difference_implIS3_Lb1ELb0EPjSB_N6thrust23THRUST_200600_302600_NS5minusIjEEEE10hipError_tPvRmT2_T3_mT4_P12ihipStream_tbEUlmE_jEESB_NS0_8identityIvEEEESG_SJ_SK_mSL_SN_bEUlT_E_NS1_11comp_targetILNS1_3genE10ELNS1_11target_archE1201ELNS1_3gpuE5ELNS1_3repE0EEENS1_30default_config_static_selectorELNS0_4arch9wavefront6targetE0EEEvT1_,comdat
	.protected	_ZN7rocprim17ROCPRIM_400000_NS6detail17trampoline_kernelINS0_14default_configENS1_25transform_config_selectorIjLb0EEEZNS1_14transform_implILb0ES3_S5_NS0_18transform_iteratorINS0_17counting_iteratorImlEEZNS1_24adjacent_difference_implIS3_Lb1ELb0EPjSB_N6thrust23THRUST_200600_302600_NS5minusIjEEEE10hipError_tPvRmT2_T3_mT4_P12ihipStream_tbEUlmE_jEESB_NS0_8identityIvEEEESG_SJ_SK_mSL_SN_bEUlT_E_NS1_11comp_targetILNS1_3genE10ELNS1_11target_archE1201ELNS1_3gpuE5ELNS1_3repE0EEENS1_30default_config_static_selectorELNS0_4arch9wavefront6targetE0EEEvT1_ ; -- Begin function _ZN7rocprim17ROCPRIM_400000_NS6detail17trampoline_kernelINS0_14default_configENS1_25transform_config_selectorIjLb0EEEZNS1_14transform_implILb0ES3_S5_NS0_18transform_iteratorINS0_17counting_iteratorImlEEZNS1_24adjacent_difference_implIS3_Lb1ELb0EPjSB_N6thrust23THRUST_200600_302600_NS5minusIjEEEE10hipError_tPvRmT2_T3_mT4_P12ihipStream_tbEUlmE_jEESB_NS0_8identityIvEEEESG_SJ_SK_mSL_SN_bEUlT_E_NS1_11comp_targetILNS1_3genE10ELNS1_11target_archE1201ELNS1_3gpuE5ELNS1_3repE0EEENS1_30default_config_static_selectorELNS0_4arch9wavefront6targetE0EEEvT1_
	.globl	_ZN7rocprim17ROCPRIM_400000_NS6detail17trampoline_kernelINS0_14default_configENS1_25transform_config_selectorIjLb0EEEZNS1_14transform_implILb0ES3_S5_NS0_18transform_iteratorINS0_17counting_iteratorImlEEZNS1_24adjacent_difference_implIS3_Lb1ELb0EPjSB_N6thrust23THRUST_200600_302600_NS5minusIjEEEE10hipError_tPvRmT2_T3_mT4_P12ihipStream_tbEUlmE_jEESB_NS0_8identityIvEEEESG_SJ_SK_mSL_SN_bEUlT_E_NS1_11comp_targetILNS1_3genE10ELNS1_11target_archE1201ELNS1_3gpuE5ELNS1_3repE0EEENS1_30default_config_static_selectorELNS0_4arch9wavefront6targetE0EEEvT1_
	.p2align	8
	.type	_ZN7rocprim17ROCPRIM_400000_NS6detail17trampoline_kernelINS0_14default_configENS1_25transform_config_selectorIjLb0EEEZNS1_14transform_implILb0ES3_S5_NS0_18transform_iteratorINS0_17counting_iteratorImlEEZNS1_24adjacent_difference_implIS3_Lb1ELb0EPjSB_N6thrust23THRUST_200600_302600_NS5minusIjEEEE10hipError_tPvRmT2_T3_mT4_P12ihipStream_tbEUlmE_jEESB_NS0_8identityIvEEEESG_SJ_SK_mSL_SN_bEUlT_E_NS1_11comp_targetILNS1_3genE10ELNS1_11target_archE1201ELNS1_3gpuE5ELNS1_3repE0EEENS1_30default_config_static_selectorELNS0_4arch9wavefront6targetE0EEEvT1_,@function
_ZN7rocprim17ROCPRIM_400000_NS6detail17trampoline_kernelINS0_14default_configENS1_25transform_config_selectorIjLb0EEEZNS1_14transform_implILb0ES3_S5_NS0_18transform_iteratorINS0_17counting_iteratorImlEEZNS1_24adjacent_difference_implIS3_Lb1ELb0EPjSB_N6thrust23THRUST_200600_302600_NS5minusIjEEEE10hipError_tPvRmT2_T3_mT4_P12ihipStream_tbEUlmE_jEESB_NS0_8identityIvEEEESG_SJ_SK_mSL_SN_bEUlT_E_NS1_11comp_targetILNS1_3genE10ELNS1_11target_archE1201ELNS1_3gpuE5ELNS1_3repE0EEENS1_30default_config_static_selectorELNS0_4arch9wavefront6targetE0EEEvT1_: ; @_ZN7rocprim17ROCPRIM_400000_NS6detail17trampoline_kernelINS0_14default_configENS1_25transform_config_selectorIjLb0EEEZNS1_14transform_implILb0ES3_S5_NS0_18transform_iteratorINS0_17counting_iteratorImlEEZNS1_24adjacent_difference_implIS3_Lb1ELb0EPjSB_N6thrust23THRUST_200600_302600_NS5minusIjEEEE10hipError_tPvRmT2_T3_mT4_P12ihipStream_tbEUlmE_jEESB_NS0_8identityIvEEEESG_SJ_SK_mSL_SN_bEUlT_E_NS1_11comp_targetILNS1_3genE10ELNS1_11target_archE1201ELNS1_3gpuE5ELNS1_3repE0EEENS1_30default_config_static_selectorELNS0_4arch9wavefront6targetE0EEEvT1_
; %bb.0:
	.section	.rodata,"a",@progbits
	.p2align	6, 0x0
	.amdhsa_kernel _ZN7rocprim17ROCPRIM_400000_NS6detail17trampoline_kernelINS0_14default_configENS1_25transform_config_selectorIjLb0EEEZNS1_14transform_implILb0ES3_S5_NS0_18transform_iteratorINS0_17counting_iteratorImlEEZNS1_24adjacent_difference_implIS3_Lb1ELb0EPjSB_N6thrust23THRUST_200600_302600_NS5minusIjEEEE10hipError_tPvRmT2_T3_mT4_P12ihipStream_tbEUlmE_jEESB_NS0_8identityIvEEEESG_SJ_SK_mSL_SN_bEUlT_E_NS1_11comp_targetILNS1_3genE10ELNS1_11target_archE1201ELNS1_3gpuE5ELNS1_3repE0EEENS1_30default_config_static_selectorELNS0_4arch9wavefront6targetE0EEEvT1_
		.amdhsa_group_segment_fixed_size 0
		.amdhsa_private_segment_fixed_size 0
		.amdhsa_kernarg_size 56
		.amdhsa_user_sgpr_count 15
		.amdhsa_user_sgpr_dispatch_ptr 0
		.amdhsa_user_sgpr_queue_ptr 0
		.amdhsa_user_sgpr_kernarg_segment_ptr 1
		.amdhsa_user_sgpr_dispatch_id 0
		.amdhsa_user_sgpr_private_segment_size 0
		.amdhsa_wavefront_size32 1
		.amdhsa_uses_dynamic_stack 0
		.amdhsa_enable_private_segment 0
		.amdhsa_system_sgpr_workgroup_id_x 1
		.amdhsa_system_sgpr_workgroup_id_y 0
		.amdhsa_system_sgpr_workgroup_id_z 0
		.amdhsa_system_sgpr_workgroup_info 0
		.amdhsa_system_vgpr_workitem_id 0
		.amdhsa_next_free_vgpr 1
		.amdhsa_next_free_sgpr 1
		.amdhsa_reserve_vcc 0
		.amdhsa_float_round_mode_32 0
		.amdhsa_float_round_mode_16_64 0
		.amdhsa_float_denorm_mode_32 3
		.amdhsa_float_denorm_mode_16_64 3
		.amdhsa_dx10_clamp 1
		.amdhsa_ieee_mode 1
		.amdhsa_fp16_overflow 0
		.amdhsa_workgroup_processor_mode 1
		.amdhsa_memory_ordered 1
		.amdhsa_forward_progress 0
		.amdhsa_shared_vgpr_count 0
		.amdhsa_exception_fp_ieee_invalid_op 0
		.amdhsa_exception_fp_denorm_src 0
		.amdhsa_exception_fp_ieee_div_zero 0
		.amdhsa_exception_fp_ieee_overflow 0
		.amdhsa_exception_fp_ieee_underflow 0
		.amdhsa_exception_fp_ieee_inexact 0
		.amdhsa_exception_int_div_zero 0
	.end_amdhsa_kernel
	.section	.text._ZN7rocprim17ROCPRIM_400000_NS6detail17trampoline_kernelINS0_14default_configENS1_25transform_config_selectorIjLb0EEEZNS1_14transform_implILb0ES3_S5_NS0_18transform_iteratorINS0_17counting_iteratorImlEEZNS1_24adjacent_difference_implIS3_Lb1ELb0EPjSB_N6thrust23THRUST_200600_302600_NS5minusIjEEEE10hipError_tPvRmT2_T3_mT4_P12ihipStream_tbEUlmE_jEESB_NS0_8identityIvEEEESG_SJ_SK_mSL_SN_bEUlT_E_NS1_11comp_targetILNS1_3genE10ELNS1_11target_archE1201ELNS1_3gpuE5ELNS1_3repE0EEENS1_30default_config_static_selectorELNS0_4arch9wavefront6targetE0EEEvT1_,"axG",@progbits,_ZN7rocprim17ROCPRIM_400000_NS6detail17trampoline_kernelINS0_14default_configENS1_25transform_config_selectorIjLb0EEEZNS1_14transform_implILb0ES3_S5_NS0_18transform_iteratorINS0_17counting_iteratorImlEEZNS1_24adjacent_difference_implIS3_Lb1ELb0EPjSB_N6thrust23THRUST_200600_302600_NS5minusIjEEEE10hipError_tPvRmT2_T3_mT4_P12ihipStream_tbEUlmE_jEESB_NS0_8identityIvEEEESG_SJ_SK_mSL_SN_bEUlT_E_NS1_11comp_targetILNS1_3genE10ELNS1_11target_archE1201ELNS1_3gpuE5ELNS1_3repE0EEENS1_30default_config_static_selectorELNS0_4arch9wavefront6targetE0EEEvT1_,comdat
.Lfunc_end168:
	.size	_ZN7rocprim17ROCPRIM_400000_NS6detail17trampoline_kernelINS0_14default_configENS1_25transform_config_selectorIjLb0EEEZNS1_14transform_implILb0ES3_S5_NS0_18transform_iteratorINS0_17counting_iteratorImlEEZNS1_24adjacent_difference_implIS3_Lb1ELb0EPjSB_N6thrust23THRUST_200600_302600_NS5minusIjEEEE10hipError_tPvRmT2_T3_mT4_P12ihipStream_tbEUlmE_jEESB_NS0_8identityIvEEEESG_SJ_SK_mSL_SN_bEUlT_E_NS1_11comp_targetILNS1_3genE10ELNS1_11target_archE1201ELNS1_3gpuE5ELNS1_3repE0EEENS1_30default_config_static_selectorELNS0_4arch9wavefront6targetE0EEEvT1_, .Lfunc_end168-_ZN7rocprim17ROCPRIM_400000_NS6detail17trampoline_kernelINS0_14default_configENS1_25transform_config_selectorIjLb0EEEZNS1_14transform_implILb0ES3_S5_NS0_18transform_iteratorINS0_17counting_iteratorImlEEZNS1_24adjacent_difference_implIS3_Lb1ELb0EPjSB_N6thrust23THRUST_200600_302600_NS5minusIjEEEE10hipError_tPvRmT2_T3_mT4_P12ihipStream_tbEUlmE_jEESB_NS0_8identityIvEEEESG_SJ_SK_mSL_SN_bEUlT_E_NS1_11comp_targetILNS1_3genE10ELNS1_11target_archE1201ELNS1_3gpuE5ELNS1_3repE0EEENS1_30default_config_static_selectorELNS0_4arch9wavefront6targetE0EEEvT1_
                                        ; -- End function
	.section	.AMDGPU.csdata,"",@progbits
; Kernel info:
; codeLenInByte = 0
; NumSgprs: 0
; NumVgprs: 0
; ScratchSize: 0
; MemoryBound: 0
; FloatMode: 240
; IeeeMode: 1
; LDSByteSize: 0 bytes/workgroup (compile time only)
; SGPRBlocks: 0
; VGPRBlocks: 0
; NumSGPRsForWavesPerEU: 1
; NumVGPRsForWavesPerEU: 1
; Occupancy: 16
; WaveLimiterHint : 0
; COMPUTE_PGM_RSRC2:SCRATCH_EN: 0
; COMPUTE_PGM_RSRC2:USER_SGPR: 15
; COMPUTE_PGM_RSRC2:TRAP_HANDLER: 0
; COMPUTE_PGM_RSRC2:TGID_X_EN: 1
; COMPUTE_PGM_RSRC2:TGID_Y_EN: 0
; COMPUTE_PGM_RSRC2:TGID_Z_EN: 0
; COMPUTE_PGM_RSRC2:TIDIG_COMP_CNT: 0
	.section	.text._ZN7rocprim17ROCPRIM_400000_NS6detail17trampoline_kernelINS0_14default_configENS1_25transform_config_selectorIjLb0EEEZNS1_14transform_implILb0ES3_S5_NS0_18transform_iteratorINS0_17counting_iteratorImlEEZNS1_24adjacent_difference_implIS3_Lb1ELb0EPjSB_N6thrust23THRUST_200600_302600_NS5minusIjEEEE10hipError_tPvRmT2_T3_mT4_P12ihipStream_tbEUlmE_jEESB_NS0_8identityIvEEEESG_SJ_SK_mSL_SN_bEUlT_E_NS1_11comp_targetILNS1_3genE10ELNS1_11target_archE1200ELNS1_3gpuE4ELNS1_3repE0EEENS1_30default_config_static_selectorELNS0_4arch9wavefront6targetE0EEEvT1_,"axG",@progbits,_ZN7rocprim17ROCPRIM_400000_NS6detail17trampoline_kernelINS0_14default_configENS1_25transform_config_selectorIjLb0EEEZNS1_14transform_implILb0ES3_S5_NS0_18transform_iteratorINS0_17counting_iteratorImlEEZNS1_24adjacent_difference_implIS3_Lb1ELb0EPjSB_N6thrust23THRUST_200600_302600_NS5minusIjEEEE10hipError_tPvRmT2_T3_mT4_P12ihipStream_tbEUlmE_jEESB_NS0_8identityIvEEEESG_SJ_SK_mSL_SN_bEUlT_E_NS1_11comp_targetILNS1_3genE10ELNS1_11target_archE1200ELNS1_3gpuE4ELNS1_3repE0EEENS1_30default_config_static_selectorELNS0_4arch9wavefront6targetE0EEEvT1_,comdat
	.protected	_ZN7rocprim17ROCPRIM_400000_NS6detail17trampoline_kernelINS0_14default_configENS1_25transform_config_selectorIjLb0EEEZNS1_14transform_implILb0ES3_S5_NS0_18transform_iteratorINS0_17counting_iteratorImlEEZNS1_24adjacent_difference_implIS3_Lb1ELb0EPjSB_N6thrust23THRUST_200600_302600_NS5minusIjEEEE10hipError_tPvRmT2_T3_mT4_P12ihipStream_tbEUlmE_jEESB_NS0_8identityIvEEEESG_SJ_SK_mSL_SN_bEUlT_E_NS1_11comp_targetILNS1_3genE10ELNS1_11target_archE1200ELNS1_3gpuE4ELNS1_3repE0EEENS1_30default_config_static_selectorELNS0_4arch9wavefront6targetE0EEEvT1_ ; -- Begin function _ZN7rocprim17ROCPRIM_400000_NS6detail17trampoline_kernelINS0_14default_configENS1_25transform_config_selectorIjLb0EEEZNS1_14transform_implILb0ES3_S5_NS0_18transform_iteratorINS0_17counting_iteratorImlEEZNS1_24adjacent_difference_implIS3_Lb1ELb0EPjSB_N6thrust23THRUST_200600_302600_NS5minusIjEEEE10hipError_tPvRmT2_T3_mT4_P12ihipStream_tbEUlmE_jEESB_NS0_8identityIvEEEESG_SJ_SK_mSL_SN_bEUlT_E_NS1_11comp_targetILNS1_3genE10ELNS1_11target_archE1200ELNS1_3gpuE4ELNS1_3repE0EEENS1_30default_config_static_selectorELNS0_4arch9wavefront6targetE0EEEvT1_
	.globl	_ZN7rocprim17ROCPRIM_400000_NS6detail17trampoline_kernelINS0_14default_configENS1_25transform_config_selectorIjLb0EEEZNS1_14transform_implILb0ES3_S5_NS0_18transform_iteratorINS0_17counting_iteratorImlEEZNS1_24adjacent_difference_implIS3_Lb1ELb0EPjSB_N6thrust23THRUST_200600_302600_NS5minusIjEEEE10hipError_tPvRmT2_T3_mT4_P12ihipStream_tbEUlmE_jEESB_NS0_8identityIvEEEESG_SJ_SK_mSL_SN_bEUlT_E_NS1_11comp_targetILNS1_3genE10ELNS1_11target_archE1200ELNS1_3gpuE4ELNS1_3repE0EEENS1_30default_config_static_selectorELNS0_4arch9wavefront6targetE0EEEvT1_
	.p2align	8
	.type	_ZN7rocprim17ROCPRIM_400000_NS6detail17trampoline_kernelINS0_14default_configENS1_25transform_config_selectorIjLb0EEEZNS1_14transform_implILb0ES3_S5_NS0_18transform_iteratorINS0_17counting_iteratorImlEEZNS1_24adjacent_difference_implIS3_Lb1ELb0EPjSB_N6thrust23THRUST_200600_302600_NS5minusIjEEEE10hipError_tPvRmT2_T3_mT4_P12ihipStream_tbEUlmE_jEESB_NS0_8identityIvEEEESG_SJ_SK_mSL_SN_bEUlT_E_NS1_11comp_targetILNS1_3genE10ELNS1_11target_archE1200ELNS1_3gpuE4ELNS1_3repE0EEENS1_30default_config_static_selectorELNS0_4arch9wavefront6targetE0EEEvT1_,@function
_ZN7rocprim17ROCPRIM_400000_NS6detail17trampoline_kernelINS0_14default_configENS1_25transform_config_selectorIjLb0EEEZNS1_14transform_implILb0ES3_S5_NS0_18transform_iteratorINS0_17counting_iteratorImlEEZNS1_24adjacent_difference_implIS3_Lb1ELb0EPjSB_N6thrust23THRUST_200600_302600_NS5minusIjEEEE10hipError_tPvRmT2_T3_mT4_P12ihipStream_tbEUlmE_jEESB_NS0_8identityIvEEEESG_SJ_SK_mSL_SN_bEUlT_E_NS1_11comp_targetILNS1_3genE10ELNS1_11target_archE1200ELNS1_3gpuE4ELNS1_3repE0EEENS1_30default_config_static_selectorELNS0_4arch9wavefront6targetE0EEEvT1_: ; @_ZN7rocprim17ROCPRIM_400000_NS6detail17trampoline_kernelINS0_14default_configENS1_25transform_config_selectorIjLb0EEEZNS1_14transform_implILb0ES3_S5_NS0_18transform_iteratorINS0_17counting_iteratorImlEEZNS1_24adjacent_difference_implIS3_Lb1ELb0EPjSB_N6thrust23THRUST_200600_302600_NS5minusIjEEEE10hipError_tPvRmT2_T3_mT4_P12ihipStream_tbEUlmE_jEESB_NS0_8identityIvEEEESG_SJ_SK_mSL_SN_bEUlT_E_NS1_11comp_targetILNS1_3genE10ELNS1_11target_archE1200ELNS1_3gpuE4ELNS1_3repE0EEENS1_30default_config_static_selectorELNS0_4arch9wavefront6targetE0EEEvT1_
; %bb.0:
	.section	.rodata,"a",@progbits
	.p2align	6, 0x0
	.amdhsa_kernel _ZN7rocprim17ROCPRIM_400000_NS6detail17trampoline_kernelINS0_14default_configENS1_25transform_config_selectorIjLb0EEEZNS1_14transform_implILb0ES3_S5_NS0_18transform_iteratorINS0_17counting_iteratorImlEEZNS1_24adjacent_difference_implIS3_Lb1ELb0EPjSB_N6thrust23THRUST_200600_302600_NS5minusIjEEEE10hipError_tPvRmT2_T3_mT4_P12ihipStream_tbEUlmE_jEESB_NS0_8identityIvEEEESG_SJ_SK_mSL_SN_bEUlT_E_NS1_11comp_targetILNS1_3genE10ELNS1_11target_archE1200ELNS1_3gpuE4ELNS1_3repE0EEENS1_30default_config_static_selectorELNS0_4arch9wavefront6targetE0EEEvT1_
		.amdhsa_group_segment_fixed_size 0
		.amdhsa_private_segment_fixed_size 0
		.amdhsa_kernarg_size 56
		.amdhsa_user_sgpr_count 15
		.amdhsa_user_sgpr_dispatch_ptr 0
		.amdhsa_user_sgpr_queue_ptr 0
		.amdhsa_user_sgpr_kernarg_segment_ptr 1
		.amdhsa_user_sgpr_dispatch_id 0
		.amdhsa_user_sgpr_private_segment_size 0
		.amdhsa_wavefront_size32 1
		.amdhsa_uses_dynamic_stack 0
		.amdhsa_enable_private_segment 0
		.amdhsa_system_sgpr_workgroup_id_x 1
		.amdhsa_system_sgpr_workgroup_id_y 0
		.amdhsa_system_sgpr_workgroup_id_z 0
		.amdhsa_system_sgpr_workgroup_info 0
		.amdhsa_system_vgpr_workitem_id 0
		.amdhsa_next_free_vgpr 1
		.amdhsa_next_free_sgpr 1
		.amdhsa_reserve_vcc 0
		.amdhsa_float_round_mode_32 0
		.amdhsa_float_round_mode_16_64 0
		.amdhsa_float_denorm_mode_32 3
		.amdhsa_float_denorm_mode_16_64 3
		.amdhsa_dx10_clamp 1
		.amdhsa_ieee_mode 1
		.amdhsa_fp16_overflow 0
		.amdhsa_workgroup_processor_mode 1
		.amdhsa_memory_ordered 1
		.amdhsa_forward_progress 0
		.amdhsa_shared_vgpr_count 0
		.amdhsa_exception_fp_ieee_invalid_op 0
		.amdhsa_exception_fp_denorm_src 0
		.amdhsa_exception_fp_ieee_div_zero 0
		.amdhsa_exception_fp_ieee_overflow 0
		.amdhsa_exception_fp_ieee_underflow 0
		.amdhsa_exception_fp_ieee_inexact 0
		.amdhsa_exception_int_div_zero 0
	.end_amdhsa_kernel
	.section	.text._ZN7rocprim17ROCPRIM_400000_NS6detail17trampoline_kernelINS0_14default_configENS1_25transform_config_selectorIjLb0EEEZNS1_14transform_implILb0ES3_S5_NS0_18transform_iteratorINS0_17counting_iteratorImlEEZNS1_24adjacent_difference_implIS3_Lb1ELb0EPjSB_N6thrust23THRUST_200600_302600_NS5minusIjEEEE10hipError_tPvRmT2_T3_mT4_P12ihipStream_tbEUlmE_jEESB_NS0_8identityIvEEEESG_SJ_SK_mSL_SN_bEUlT_E_NS1_11comp_targetILNS1_3genE10ELNS1_11target_archE1200ELNS1_3gpuE4ELNS1_3repE0EEENS1_30default_config_static_selectorELNS0_4arch9wavefront6targetE0EEEvT1_,"axG",@progbits,_ZN7rocprim17ROCPRIM_400000_NS6detail17trampoline_kernelINS0_14default_configENS1_25transform_config_selectorIjLb0EEEZNS1_14transform_implILb0ES3_S5_NS0_18transform_iteratorINS0_17counting_iteratorImlEEZNS1_24adjacent_difference_implIS3_Lb1ELb0EPjSB_N6thrust23THRUST_200600_302600_NS5minusIjEEEE10hipError_tPvRmT2_T3_mT4_P12ihipStream_tbEUlmE_jEESB_NS0_8identityIvEEEESG_SJ_SK_mSL_SN_bEUlT_E_NS1_11comp_targetILNS1_3genE10ELNS1_11target_archE1200ELNS1_3gpuE4ELNS1_3repE0EEENS1_30default_config_static_selectorELNS0_4arch9wavefront6targetE0EEEvT1_,comdat
.Lfunc_end169:
	.size	_ZN7rocprim17ROCPRIM_400000_NS6detail17trampoline_kernelINS0_14default_configENS1_25transform_config_selectorIjLb0EEEZNS1_14transform_implILb0ES3_S5_NS0_18transform_iteratorINS0_17counting_iteratorImlEEZNS1_24adjacent_difference_implIS3_Lb1ELb0EPjSB_N6thrust23THRUST_200600_302600_NS5minusIjEEEE10hipError_tPvRmT2_T3_mT4_P12ihipStream_tbEUlmE_jEESB_NS0_8identityIvEEEESG_SJ_SK_mSL_SN_bEUlT_E_NS1_11comp_targetILNS1_3genE10ELNS1_11target_archE1200ELNS1_3gpuE4ELNS1_3repE0EEENS1_30default_config_static_selectorELNS0_4arch9wavefront6targetE0EEEvT1_, .Lfunc_end169-_ZN7rocprim17ROCPRIM_400000_NS6detail17trampoline_kernelINS0_14default_configENS1_25transform_config_selectorIjLb0EEEZNS1_14transform_implILb0ES3_S5_NS0_18transform_iteratorINS0_17counting_iteratorImlEEZNS1_24adjacent_difference_implIS3_Lb1ELb0EPjSB_N6thrust23THRUST_200600_302600_NS5minusIjEEEE10hipError_tPvRmT2_T3_mT4_P12ihipStream_tbEUlmE_jEESB_NS0_8identityIvEEEESG_SJ_SK_mSL_SN_bEUlT_E_NS1_11comp_targetILNS1_3genE10ELNS1_11target_archE1200ELNS1_3gpuE4ELNS1_3repE0EEENS1_30default_config_static_selectorELNS0_4arch9wavefront6targetE0EEEvT1_
                                        ; -- End function
	.section	.AMDGPU.csdata,"",@progbits
; Kernel info:
; codeLenInByte = 0
; NumSgprs: 0
; NumVgprs: 0
; ScratchSize: 0
; MemoryBound: 0
; FloatMode: 240
; IeeeMode: 1
; LDSByteSize: 0 bytes/workgroup (compile time only)
; SGPRBlocks: 0
; VGPRBlocks: 0
; NumSGPRsForWavesPerEU: 1
; NumVGPRsForWavesPerEU: 1
; Occupancy: 16
; WaveLimiterHint : 0
; COMPUTE_PGM_RSRC2:SCRATCH_EN: 0
; COMPUTE_PGM_RSRC2:USER_SGPR: 15
; COMPUTE_PGM_RSRC2:TRAP_HANDLER: 0
; COMPUTE_PGM_RSRC2:TGID_X_EN: 1
; COMPUTE_PGM_RSRC2:TGID_Y_EN: 0
; COMPUTE_PGM_RSRC2:TGID_Z_EN: 0
; COMPUTE_PGM_RSRC2:TIDIG_COMP_CNT: 0
	.section	.text._ZN7rocprim17ROCPRIM_400000_NS6detail17trampoline_kernelINS0_14default_configENS1_25transform_config_selectorIjLb0EEEZNS1_14transform_implILb0ES3_S5_NS0_18transform_iteratorINS0_17counting_iteratorImlEEZNS1_24adjacent_difference_implIS3_Lb1ELb0EPjSB_N6thrust23THRUST_200600_302600_NS5minusIjEEEE10hipError_tPvRmT2_T3_mT4_P12ihipStream_tbEUlmE_jEESB_NS0_8identityIvEEEESG_SJ_SK_mSL_SN_bEUlT_E_NS1_11comp_targetILNS1_3genE9ELNS1_11target_archE1100ELNS1_3gpuE3ELNS1_3repE0EEENS1_30default_config_static_selectorELNS0_4arch9wavefront6targetE0EEEvT1_,"axG",@progbits,_ZN7rocprim17ROCPRIM_400000_NS6detail17trampoline_kernelINS0_14default_configENS1_25transform_config_selectorIjLb0EEEZNS1_14transform_implILb0ES3_S5_NS0_18transform_iteratorINS0_17counting_iteratorImlEEZNS1_24adjacent_difference_implIS3_Lb1ELb0EPjSB_N6thrust23THRUST_200600_302600_NS5minusIjEEEE10hipError_tPvRmT2_T3_mT4_P12ihipStream_tbEUlmE_jEESB_NS0_8identityIvEEEESG_SJ_SK_mSL_SN_bEUlT_E_NS1_11comp_targetILNS1_3genE9ELNS1_11target_archE1100ELNS1_3gpuE3ELNS1_3repE0EEENS1_30default_config_static_selectorELNS0_4arch9wavefront6targetE0EEEvT1_,comdat
	.protected	_ZN7rocprim17ROCPRIM_400000_NS6detail17trampoline_kernelINS0_14default_configENS1_25transform_config_selectorIjLb0EEEZNS1_14transform_implILb0ES3_S5_NS0_18transform_iteratorINS0_17counting_iteratorImlEEZNS1_24adjacent_difference_implIS3_Lb1ELb0EPjSB_N6thrust23THRUST_200600_302600_NS5minusIjEEEE10hipError_tPvRmT2_T3_mT4_P12ihipStream_tbEUlmE_jEESB_NS0_8identityIvEEEESG_SJ_SK_mSL_SN_bEUlT_E_NS1_11comp_targetILNS1_3genE9ELNS1_11target_archE1100ELNS1_3gpuE3ELNS1_3repE0EEENS1_30default_config_static_selectorELNS0_4arch9wavefront6targetE0EEEvT1_ ; -- Begin function _ZN7rocprim17ROCPRIM_400000_NS6detail17trampoline_kernelINS0_14default_configENS1_25transform_config_selectorIjLb0EEEZNS1_14transform_implILb0ES3_S5_NS0_18transform_iteratorINS0_17counting_iteratorImlEEZNS1_24adjacent_difference_implIS3_Lb1ELb0EPjSB_N6thrust23THRUST_200600_302600_NS5minusIjEEEE10hipError_tPvRmT2_T3_mT4_P12ihipStream_tbEUlmE_jEESB_NS0_8identityIvEEEESG_SJ_SK_mSL_SN_bEUlT_E_NS1_11comp_targetILNS1_3genE9ELNS1_11target_archE1100ELNS1_3gpuE3ELNS1_3repE0EEENS1_30default_config_static_selectorELNS0_4arch9wavefront6targetE0EEEvT1_
	.globl	_ZN7rocprim17ROCPRIM_400000_NS6detail17trampoline_kernelINS0_14default_configENS1_25transform_config_selectorIjLb0EEEZNS1_14transform_implILb0ES3_S5_NS0_18transform_iteratorINS0_17counting_iteratorImlEEZNS1_24adjacent_difference_implIS3_Lb1ELb0EPjSB_N6thrust23THRUST_200600_302600_NS5minusIjEEEE10hipError_tPvRmT2_T3_mT4_P12ihipStream_tbEUlmE_jEESB_NS0_8identityIvEEEESG_SJ_SK_mSL_SN_bEUlT_E_NS1_11comp_targetILNS1_3genE9ELNS1_11target_archE1100ELNS1_3gpuE3ELNS1_3repE0EEENS1_30default_config_static_selectorELNS0_4arch9wavefront6targetE0EEEvT1_
	.p2align	8
	.type	_ZN7rocprim17ROCPRIM_400000_NS6detail17trampoline_kernelINS0_14default_configENS1_25transform_config_selectorIjLb0EEEZNS1_14transform_implILb0ES3_S5_NS0_18transform_iteratorINS0_17counting_iteratorImlEEZNS1_24adjacent_difference_implIS3_Lb1ELb0EPjSB_N6thrust23THRUST_200600_302600_NS5minusIjEEEE10hipError_tPvRmT2_T3_mT4_P12ihipStream_tbEUlmE_jEESB_NS0_8identityIvEEEESG_SJ_SK_mSL_SN_bEUlT_E_NS1_11comp_targetILNS1_3genE9ELNS1_11target_archE1100ELNS1_3gpuE3ELNS1_3repE0EEENS1_30default_config_static_selectorELNS0_4arch9wavefront6targetE0EEEvT1_,@function
_ZN7rocprim17ROCPRIM_400000_NS6detail17trampoline_kernelINS0_14default_configENS1_25transform_config_selectorIjLb0EEEZNS1_14transform_implILb0ES3_S5_NS0_18transform_iteratorINS0_17counting_iteratorImlEEZNS1_24adjacent_difference_implIS3_Lb1ELb0EPjSB_N6thrust23THRUST_200600_302600_NS5minusIjEEEE10hipError_tPvRmT2_T3_mT4_P12ihipStream_tbEUlmE_jEESB_NS0_8identityIvEEEESG_SJ_SK_mSL_SN_bEUlT_E_NS1_11comp_targetILNS1_3genE9ELNS1_11target_archE1100ELNS1_3gpuE3ELNS1_3repE0EEENS1_30default_config_static_selectorELNS0_4arch9wavefront6targetE0EEEvT1_: ; @_ZN7rocprim17ROCPRIM_400000_NS6detail17trampoline_kernelINS0_14default_configENS1_25transform_config_selectorIjLb0EEEZNS1_14transform_implILb0ES3_S5_NS0_18transform_iteratorINS0_17counting_iteratorImlEEZNS1_24adjacent_difference_implIS3_Lb1ELb0EPjSB_N6thrust23THRUST_200600_302600_NS5minusIjEEEE10hipError_tPvRmT2_T3_mT4_P12ihipStream_tbEUlmE_jEESB_NS0_8identityIvEEEESG_SJ_SK_mSL_SN_bEUlT_E_NS1_11comp_targetILNS1_3genE9ELNS1_11target_archE1100ELNS1_3gpuE3ELNS1_3repE0EEENS1_30default_config_static_selectorELNS0_4arch9wavefront6targetE0EEEvT1_
; %bb.0:
	s_clause 0x4
	s_load_b128 s[4:7], s[0:1], 0x0
	s_load_b64 s[2:3], s[0:1], 0x18
	s_load_b64 s[12:13], s[0:1], 0x28
	s_load_b32 s11, s[0:1], 0x38
	s_load_b32 s8, s[0:1], 0x10
	s_waitcnt lgkmcnt(0)
	s_add_u32 s9, s2, s4
	s_addc_u32 s10, s3, s5
	s_lshl_b64 s[2:3], s[2:3], 2
	s_delay_alu instid0(SALU_CYCLE_1)
	s_add_u32 s4, s12, s2
	s_addc_u32 s5, s13, s3
	s_add_i32 s11, s11, -1
	s_lshl_b32 s2, s15, 6
	s_mov_b32 s3, 0
	s_cmp_lg_u32 s15, s11
	s_mov_b32 s11, -1
	s_cbranch_scc0 .LBB170_2
; %bb.1:
	s_add_u32 s11, s9, s2
	s_addc_u32 s12, s10, 0
	v_add_co_u32 v3, s11, s11, v0
	s_delay_alu instid0(VALU_DEP_1) | instskip(SKIP_1) | instid1(VALU_DEP_2)
	v_add_co_ci_u32_e64 v5, null, s12, 0, s11
	s_lshl_b64 s[12:13], s[2:3], 2
	v_mad_u64_u32 v[1:2], null, v3, s8, 0
	s_add_u32 s12, s4, s12
	s_addc_u32 s13, s5, s13
	s_mov_b32 s11, s3
	s_delay_alu instid0(VALU_DEP_1) | instskip(NEXT) | instid1(VALU_DEP_1)
	v_mad_u64_u32 v[3:4], null, v5, s8, v[2:3]
	v_mov_b32_e32 v2, v3
	s_delay_alu instid0(VALU_DEP_1) | instskip(NEXT) | instid1(VALU_DEP_1)
	v_lshlrev_b64 v[1:2], 2, v[1:2]
	v_add_co_u32 v1, vcc_lo, s6, v1
	s_delay_alu instid0(VALU_DEP_2)
	v_add_co_ci_u32_e32 v2, vcc_lo, s7, v2, vcc_lo
	global_load_b32 v1, v[1:2], off
	v_lshlrev_b32_e32 v2, 2, v0
	s_waitcnt vmcnt(0)
	global_store_b32 v2, v1, s[12:13]
.LBB170_2:
	s_and_not1_b32 vcc_lo, exec_lo, s11
	s_cbranch_vccnz .LBB170_7
; %bb.3:
	s_load_b32 s0, s[0:1], 0x20
                                        ; implicit-def: $vgpr1
	s_waitcnt lgkmcnt(0)
	s_sub_i32 s0, s0, s2
	s_delay_alu instid0(SALU_CYCLE_1)
	v_cmp_gt_u32_e32 vcc_lo, s0, v0
	s_and_saveexec_b32 s1, vcc_lo
	s_cbranch_execz .LBB170_5
; %bb.4:
	s_add_u32 s0, s9, s2
	s_addc_u32 s9, s10, 0
	v_add_co_u32 v3, s0, s0, v0
	s_delay_alu instid0(VALU_DEP_1) | instskip(NEXT) | instid1(VALU_DEP_2)
	v_add_co_ci_u32_e64 v5, null, s9, 0, s0
	v_mad_u64_u32 v[1:2], null, v3, s8, 0
	s_delay_alu instid0(VALU_DEP_1) | instskip(NEXT) | instid1(VALU_DEP_1)
	v_mad_u64_u32 v[3:4], null, v5, s8, v[2:3]
	v_mov_b32_e32 v2, v3
	s_delay_alu instid0(VALU_DEP_1) | instskip(NEXT) | instid1(VALU_DEP_1)
	v_lshlrev_b64 v[1:2], 2, v[1:2]
	v_add_co_u32 v1, s0, s6, v1
	s_delay_alu instid0(VALU_DEP_1)
	v_add_co_ci_u32_e64 v2, s0, s7, v2, s0
	global_load_b32 v1, v[1:2], off
.LBB170_5:
	s_or_b32 exec_lo, exec_lo, s1
	s_and_saveexec_b32 s0, vcc_lo
	s_cbranch_execz .LBB170_7
; %bb.6:
	s_lshl_b64 s[0:1], s[2:3], 2
	v_lshlrev_b32_e32 v0, 2, v0
	s_add_u32 s0, s4, s0
	s_addc_u32 s1, s5, s1
	s_waitcnt vmcnt(0)
	global_store_b32 v0, v1, s[0:1]
.LBB170_7:
	s_nop 0
	s_sendmsg sendmsg(MSG_DEALLOC_VGPRS)
	s_endpgm
	.section	.rodata,"a",@progbits
	.p2align	6, 0x0
	.amdhsa_kernel _ZN7rocprim17ROCPRIM_400000_NS6detail17trampoline_kernelINS0_14default_configENS1_25transform_config_selectorIjLb0EEEZNS1_14transform_implILb0ES3_S5_NS0_18transform_iteratorINS0_17counting_iteratorImlEEZNS1_24adjacent_difference_implIS3_Lb1ELb0EPjSB_N6thrust23THRUST_200600_302600_NS5minusIjEEEE10hipError_tPvRmT2_T3_mT4_P12ihipStream_tbEUlmE_jEESB_NS0_8identityIvEEEESG_SJ_SK_mSL_SN_bEUlT_E_NS1_11comp_targetILNS1_3genE9ELNS1_11target_archE1100ELNS1_3gpuE3ELNS1_3repE0EEENS1_30default_config_static_selectorELNS0_4arch9wavefront6targetE0EEEvT1_
		.amdhsa_group_segment_fixed_size 0
		.amdhsa_private_segment_fixed_size 0
		.amdhsa_kernarg_size 312
		.amdhsa_user_sgpr_count 15
		.amdhsa_user_sgpr_dispatch_ptr 0
		.amdhsa_user_sgpr_queue_ptr 0
		.amdhsa_user_sgpr_kernarg_segment_ptr 1
		.amdhsa_user_sgpr_dispatch_id 0
		.amdhsa_user_sgpr_private_segment_size 0
		.amdhsa_wavefront_size32 1
		.amdhsa_uses_dynamic_stack 0
		.amdhsa_enable_private_segment 0
		.amdhsa_system_sgpr_workgroup_id_x 1
		.amdhsa_system_sgpr_workgroup_id_y 0
		.amdhsa_system_sgpr_workgroup_id_z 0
		.amdhsa_system_sgpr_workgroup_info 0
		.amdhsa_system_vgpr_workitem_id 0
		.amdhsa_next_free_vgpr 6
		.amdhsa_next_free_sgpr 16
		.amdhsa_reserve_vcc 1
		.amdhsa_float_round_mode_32 0
		.amdhsa_float_round_mode_16_64 0
		.amdhsa_float_denorm_mode_32 3
		.amdhsa_float_denorm_mode_16_64 3
		.amdhsa_dx10_clamp 1
		.amdhsa_ieee_mode 1
		.amdhsa_fp16_overflow 0
		.amdhsa_workgroup_processor_mode 1
		.amdhsa_memory_ordered 1
		.amdhsa_forward_progress 0
		.amdhsa_shared_vgpr_count 0
		.amdhsa_exception_fp_ieee_invalid_op 0
		.amdhsa_exception_fp_denorm_src 0
		.amdhsa_exception_fp_ieee_div_zero 0
		.amdhsa_exception_fp_ieee_overflow 0
		.amdhsa_exception_fp_ieee_underflow 0
		.amdhsa_exception_fp_ieee_inexact 0
		.amdhsa_exception_int_div_zero 0
	.end_amdhsa_kernel
	.section	.text._ZN7rocprim17ROCPRIM_400000_NS6detail17trampoline_kernelINS0_14default_configENS1_25transform_config_selectorIjLb0EEEZNS1_14transform_implILb0ES3_S5_NS0_18transform_iteratorINS0_17counting_iteratorImlEEZNS1_24adjacent_difference_implIS3_Lb1ELb0EPjSB_N6thrust23THRUST_200600_302600_NS5minusIjEEEE10hipError_tPvRmT2_T3_mT4_P12ihipStream_tbEUlmE_jEESB_NS0_8identityIvEEEESG_SJ_SK_mSL_SN_bEUlT_E_NS1_11comp_targetILNS1_3genE9ELNS1_11target_archE1100ELNS1_3gpuE3ELNS1_3repE0EEENS1_30default_config_static_selectorELNS0_4arch9wavefront6targetE0EEEvT1_,"axG",@progbits,_ZN7rocprim17ROCPRIM_400000_NS6detail17trampoline_kernelINS0_14default_configENS1_25transform_config_selectorIjLb0EEEZNS1_14transform_implILb0ES3_S5_NS0_18transform_iteratorINS0_17counting_iteratorImlEEZNS1_24adjacent_difference_implIS3_Lb1ELb0EPjSB_N6thrust23THRUST_200600_302600_NS5minusIjEEEE10hipError_tPvRmT2_T3_mT4_P12ihipStream_tbEUlmE_jEESB_NS0_8identityIvEEEESG_SJ_SK_mSL_SN_bEUlT_E_NS1_11comp_targetILNS1_3genE9ELNS1_11target_archE1100ELNS1_3gpuE3ELNS1_3repE0EEENS1_30default_config_static_selectorELNS0_4arch9wavefront6targetE0EEEvT1_,comdat
.Lfunc_end170:
	.size	_ZN7rocprim17ROCPRIM_400000_NS6detail17trampoline_kernelINS0_14default_configENS1_25transform_config_selectorIjLb0EEEZNS1_14transform_implILb0ES3_S5_NS0_18transform_iteratorINS0_17counting_iteratorImlEEZNS1_24adjacent_difference_implIS3_Lb1ELb0EPjSB_N6thrust23THRUST_200600_302600_NS5minusIjEEEE10hipError_tPvRmT2_T3_mT4_P12ihipStream_tbEUlmE_jEESB_NS0_8identityIvEEEESG_SJ_SK_mSL_SN_bEUlT_E_NS1_11comp_targetILNS1_3genE9ELNS1_11target_archE1100ELNS1_3gpuE3ELNS1_3repE0EEENS1_30default_config_static_selectorELNS0_4arch9wavefront6targetE0EEEvT1_, .Lfunc_end170-_ZN7rocprim17ROCPRIM_400000_NS6detail17trampoline_kernelINS0_14default_configENS1_25transform_config_selectorIjLb0EEEZNS1_14transform_implILb0ES3_S5_NS0_18transform_iteratorINS0_17counting_iteratorImlEEZNS1_24adjacent_difference_implIS3_Lb1ELb0EPjSB_N6thrust23THRUST_200600_302600_NS5minusIjEEEE10hipError_tPvRmT2_T3_mT4_P12ihipStream_tbEUlmE_jEESB_NS0_8identityIvEEEESG_SJ_SK_mSL_SN_bEUlT_E_NS1_11comp_targetILNS1_3genE9ELNS1_11target_archE1100ELNS1_3gpuE3ELNS1_3repE0EEENS1_30default_config_static_selectorELNS0_4arch9wavefront6targetE0EEEvT1_
                                        ; -- End function
	.section	.AMDGPU.csdata,"",@progbits
; Kernel info:
; codeLenInByte = 400
; NumSgprs: 18
; NumVgprs: 6
; ScratchSize: 0
; MemoryBound: 0
; FloatMode: 240
; IeeeMode: 1
; LDSByteSize: 0 bytes/workgroup (compile time only)
; SGPRBlocks: 2
; VGPRBlocks: 0
; NumSGPRsForWavesPerEU: 18
; NumVGPRsForWavesPerEU: 6
; Occupancy: 16
; WaveLimiterHint : 0
; COMPUTE_PGM_RSRC2:SCRATCH_EN: 0
; COMPUTE_PGM_RSRC2:USER_SGPR: 15
; COMPUTE_PGM_RSRC2:TRAP_HANDLER: 0
; COMPUTE_PGM_RSRC2:TGID_X_EN: 1
; COMPUTE_PGM_RSRC2:TGID_Y_EN: 0
; COMPUTE_PGM_RSRC2:TGID_Z_EN: 0
; COMPUTE_PGM_RSRC2:TIDIG_COMP_CNT: 0
	.section	.text._ZN7rocprim17ROCPRIM_400000_NS6detail17trampoline_kernelINS0_14default_configENS1_25transform_config_selectorIjLb0EEEZNS1_14transform_implILb0ES3_S5_NS0_18transform_iteratorINS0_17counting_iteratorImlEEZNS1_24adjacent_difference_implIS3_Lb1ELb0EPjSB_N6thrust23THRUST_200600_302600_NS5minusIjEEEE10hipError_tPvRmT2_T3_mT4_P12ihipStream_tbEUlmE_jEESB_NS0_8identityIvEEEESG_SJ_SK_mSL_SN_bEUlT_E_NS1_11comp_targetILNS1_3genE8ELNS1_11target_archE1030ELNS1_3gpuE2ELNS1_3repE0EEENS1_30default_config_static_selectorELNS0_4arch9wavefront6targetE0EEEvT1_,"axG",@progbits,_ZN7rocprim17ROCPRIM_400000_NS6detail17trampoline_kernelINS0_14default_configENS1_25transform_config_selectorIjLb0EEEZNS1_14transform_implILb0ES3_S5_NS0_18transform_iteratorINS0_17counting_iteratorImlEEZNS1_24adjacent_difference_implIS3_Lb1ELb0EPjSB_N6thrust23THRUST_200600_302600_NS5minusIjEEEE10hipError_tPvRmT2_T3_mT4_P12ihipStream_tbEUlmE_jEESB_NS0_8identityIvEEEESG_SJ_SK_mSL_SN_bEUlT_E_NS1_11comp_targetILNS1_3genE8ELNS1_11target_archE1030ELNS1_3gpuE2ELNS1_3repE0EEENS1_30default_config_static_selectorELNS0_4arch9wavefront6targetE0EEEvT1_,comdat
	.protected	_ZN7rocprim17ROCPRIM_400000_NS6detail17trampoline_kernelINS0_14default_configENS1_25transform_config_selectorIjLb0EEEZNS1_14transform_implILb0ES3_S5_NS0_18transform_iteratorINS0_17counting_iteratorImlEEZNS1_24adjacent_difference_implIS3_Lb1ELb0EPjSB_N6thrust23THRUST_200600_302600_NS5minusIjEEEE10hipError_tPvRmT2_T3_mT4_P12ihipStream_tbEUlmE_jEESB_NS0_8identityIvEEEESG_SJ_SK_mSL_SN_bEUlT_E_NS1_11comp_targetILNS1_3genE8ELNS1_11target_archE1030ELNS1_3gpuE2ELNS1_3repE0EEENS1_30default_config_static_selectorELNS0_4arch9wavefront6targetE0EEEvT1_ ; -- Begin function _ZN7rocprim17ROCPRIM_400000_NS6detail17trampoline_kernelINS0_14default_configENS1_25transform_config_selectorIjLb0EEEZNS1_14transform_implILb0ES3_S5_NS0_18transform_iteratorINS0_17counting_iteratorImlEEZNS1_24adjacent_difference_implIS3_Lb1ELb0EPjSB_N6thrust23THRUST_200600_302600_NS5minusIjEEEE10hipError_tPvRmT2_T3_mT4_P12ihipStream_tbEUlmE_jEESB_NS0_8identityIvEEEESG_SJ_SK_mSL_SN_bEUlT_E_NS1_11comp_targetILNS1_3genE8ELNS1_11target_archE1030ELNS1_3gpuE2ELNS1_3repE0EEENS1_30default_config_static_selectorELNS0_4arch9wavefront6targetE0EEEvT1_
	.globl	_ZN7rocprim17ROCPRIM_400000_NS6detail17trampoline_kernelINS0_14default_configENS1_25transform_config_selectorIjLb0EEEZNS1_14transform_implILb0ES3_S5_NS0_18transform_iteratorINS0_17counting_iteratorImlEEZNS1_24adjacent_difference_implIS3_Lb1ELb0EPjSB_N6thrust23THRUST_200600_302600_NS5minusIjEEEE10hipError_tPvRmT2_T3_mT4_P12ihipStream_tbEUlmE_jEESB_NS0_8identityIvEEEESG_SJ_SK_mSL_SN_bEUlT_E_NS1_11comp_targetILNS1_3genE8ELNS1_11target_archE1030ELNS1_3gpuE2ELNS1_3repE0EEENS1_30default_config_static_selectorELNS0_4arch9wavefront6targetE0EEEvT1_
	.p2align	8
	.type	_ZN7rocprim17ROCPRIM_400000_NS6detail17trampoline_kernelINS0_14default_configENS1_25transform_config_selectorIjLb0EEEZNS1_14transform_implILb0ES3_S5_NS0_18transform_iteratorINS0_17counting_iteratorImlEEZNS1_24adjacent_difference_implIS3_Lb1ELb0EPjSB_N6thrust23THRUST_200600_302600_NS5minusIjEEEE10hipError_tPvRmT2_T3_mT4_P12ihipStream_tbEUlmE_jEESB_NS0_8identityIvEEEESG_SJ_SK_mSL_SN_bEUlT_E_NS1_11comp_targetILNS1_3genE8ELNS1_11target_archE1030ELNS1_3gpuE2ELNS1_3repE0EEENS1_30default_config_static_selectorELNS0_4arch9wavefront6targetE0EEEvT1_,@function
_ZN7rocprim17ROCPRIM_400000_NS6detail17trampoline_kernelINS0_14default_configENS1_25transform_config_selectorIjLb0EEEZNS1_14transform_implILb0ES3_S5_NS0_18transform_iteratorINS0_17counting_iteratorImlEEZNS1_24adjacent_difference_implIS3_Lb1ELb0EPjSB_N6thrust23THRUST_200600_302600_NS5minusIjEEEE10hipError_tPvRmT2_T3_mT4_P12ihipStream_tbEUlmE_jEESB_NS0_8identityIvEEEESG_SJ_SK_mSL_SN_bEUlT_E_NS1_11comp_targetILNS1_3genE8ELNS1_11target_archE1030ELNS1_3gpuE2ELNS1_3repE0EEENS1_30default_config_static_selectorELNS0_4arch9wavefront6targetE0EEEvT1_: ; @_ZN7rocprim17ROCPRIM_400000_NS6detail17trampoline_kernelINS0_14default_configENS1_25transform_config_selectorIjLb0EEEZNS1_14transform_implILb0ES3_S5_NS0_18transform_iteratorINS0_17counting_iteratorImlEEZNS1_24adjacent_difference_implIS3_Lb1ELb0EPjSB_N6thrust23THRUST_200600_302600_NS5minusIjEEEE10hipError_tPvRmT2_T3_mT4_P12ihipStream_tbEUlmE_jEESB_NS0_8identityIvEEEESG_SJ_SK_mSL_SN_bEUlT_E_NS1_11comp_targetILNS1_3genE8ELNS1_11target_archE1030ELNS1_3gpuE2ELNS1_3repE0EEENS1_30default_config_static_selectorELNS0_4arch9wavefront6targetE0EEEvT1_
; %bb.0:
	.section	.rodata,"a",@progbits
	.p2align	6, 0x0
	.amdhsa_kernel _ZN7rocprim17ROCPRIM_400000_NS6detail17trampoline_kernelINS0_14default_configENS1_25transform_config_selectorIjLb0EEEZNS1_14transform_implILb0ES3_S5_NS0_18transform_iteratorINS0_17counting_iteratorImlEEZNS1_24adjacent_difference_implIS3_Lb1ELb0EPjSB_N6thrust23THRUST_200600_302600_NS5minusIjEEEE10hipError_tPvRmT2_T3_mT4_P12ihipStream_tbEUlmE_jEESB_NS0_8identityIvEEEESG_SJ_SK_mSL_SN_bEUlT_E_NS1_11comp_targetILNS1_3genE8ELNS1_11target_archE1030ELNS1_3gpuE2ELNS1_3repE0EEENS1_30default_config_static_selectorELNS0_4arch9wavefront6targetE0EEEvT1_
		.amdhsa_group_segment_fixed_size 0
		.amdhsa_private_segment_fixed_size 0
		.amdhsa_kernarg_size 56
		.amdhsa_user_sgpr_count 15
		.amdhsa_user_sgpr_dispatch_ptr 0
		.amdhsa_user_sgpr_queue_ptr 0
		.amdhsa_user_sgpr_kernarg_segment_ptr 1
		.amdhsa_user_sgpr_dispatch_id 0
		.amdhsa_user_sgpr_private_segment_size 0
		.amdhsa_wavefront_size32 1
		.amdhsa_uses_dynamic_stack 0
		.amdhsa_enable_private_segment 0
		.amdhsa_system_sgpr_workgroup_id_x 1
		.amdhsa_system_sgpr_workgroup_id_y 0
		.amdhsa_system_sgpr_workgroup_id_z 0
		.amdhsa_system_sgpr_workgroup_info 0
		.amdhsa_system_vgpr_workitem_id 0
		.amdhsa_next_free_vgpr 1
		.amdhsa_next_free_sgpr 1
		.amdhsa_reserve_vcc 0
		.amdhsa_float_round_mode_32 0
		.amdhsa_float_round_mode_16_64 0
		.amdhsa_float_denorm_mode_32 3
		.amdhsa_float_denorm_mode_16_64 3
		.amdhsa_dx10_clamp 1
		.amdhsa_ieee_mode 1
		.amdhsa_fp16_overflow 0
		.amdhsa_workgroup_processor_mode 1
		.amdhsa_memory_ordered 1
		.amdhsa_forward_progress 0
		.amdhsa_shared_vgpr_count 0
		.amdhsa_exception_fp_ieee_invalid_op 0
		.amdhsa_exception_fp_denorm_src 0
		.amdhsa_exception_fp_ieee_div_zero 0
		.amdhsa_exception_fp_ieee_overflow 0
		.amdhsa_exception_fp_ieee_underflow 0
		.amdhsa_exception_fp_ieee_inexact 0
		.amdhsa_exception_int_div_zero 0
	.end_amdhsa_kernel
	.section	.text._ZN7rocprim17ROCPRIM_400000_NS6detail17trampoline_kernelINS0_14default_configENS1_25transform_config_selectorIjLb0EEEZNS1_14transform_implILb0ES3_S5_NS0_18transform_iteratorINS0_17counting_iteratorImlEEZNS1_24adjacent_difference_implIS3_Lb1ELb0EPjSB_N6thrust23THRUST_200600_302600_NS5minusIjEEEE10hipError_tPvRmT2_T3_mT4_P12ihipStream_tbEUlmE_jEESB_NS0_8identityIvEEEESG_SJ_SK_mSL_SN_bEUlT_E_NS1_11comp_targetILNS1_3genE8ELNS1_11target_archE1030ELNS1_3gpuE2ELNS1_3repE0EEENS1_30default_config_static_selectorELNS0_4arch9wavefront6targetE0EEEvT1_,"axG",@progbits,_ZN7rocprim17ROCPRIM_400000_NS6detail17trampoline_kernelINS0_14default_configENS1_25transform_config_selectorIjLb0EEEZNS1_14transform_implILb0ES3_S5_NS0_18transform_iteratorINS0_17counting_iteratorImlEEZNS1_24adjacent_difference_implIS3_Lb1ELb0EPjSB_N6thrust23THRUST_200600_302600_NS5minusIjEEEE10hipError_tPvRmT2_T3_mT4_P12ihipStream_tbEUlmE_jEESB_NS0_8identityIvEEEESG_SJ_SK_mSL_SN_bEUlT_E_NS1_11comp_targetILNS1_3genE8ELNS1_11target_archE1030ELNS1_3gpuE2ELNS1_3repE0EEENS1_30default_config_static_selectorELNS0_4arch9wavefront6targetE0EEEvT1_,comdat
.Lfunc_end171:
	.size	_ZN7rocprim17ROCPRIM_400000_NS6detail17trampoline_kernelINS0_14default_configENS1_25transform_config_selectorIjLb0EEEZNS1_14transform_implILb0ES3_S5_NS0_18transform_iteratorINS0_17counting_iteratorImlEEZNS1_24adjacent_difference_implIS3_Lb1ELb0EPjSB_N6thrust23THRUST_200600_302600_NS5minusIjEEEE10hipError_tPvRmT2_T3_mT4_P12ihipStream_tbEUlmE_jEESB_NS0_8identityIvEEEESG_SJ_SK_mSL_SN_bEUlT_E_NS1_11comp_targetILNS1_3genE8ELNS1_11target_archE1030ELNS1_3gpuE2ELNS1_3repE0EEENS1_30default_config_static_selectorELNS0_4arch9wavefront6targetE0EEEvT1_, .Lfunc_end171-_ZN7rocprim17ROCPRIM_400000_NS6detail17trampoline_kernelINS0_14default_configENS1_25transform_config_selectorIjLb0EEEZNS1_14transform_implILb0ES3_S5_NS0_18transform_iteratorINS0_17counting_iteratorImlEEZNS1_24adjacent_difference_implIS3_Lb1ELb0EPjSB_N6thrust23THRUST_200600_302600_NS5minusIjEEEE10hipError_tPvRmT2_T3_mT4_P12ihipStream_tbEUlmE_jEESB_NS0_8identityIvEEEESG_SJ_SK_mSL_SN_bEUlT_E_NS1_11comp_targetILNS1_3genE8ELNS1_11target_archE1030ELNS1_3gpuE2ELNS1_3repE0EEENS1_30default_config_static_selectorELNS0_4arch9wavefront6targetE0EEEvT1_
                                        ; -- End function
	.section	.AMDGPU.csdata,"",@progbits
; Kernel info:
; codeLenInByte = 0
; NumSgprs: 0
; NumVgprs: 0
; ScratchSize: 0
; MemoryBound: 0
; FloatMode: 240
; IeeeMode: 1
; LDSByteSize: 0 bytes/workgroup (compile time only)
; SGPRBlocks: 0
; VGPRBlocks: 0
; NumSGPRsForWavesPerEU: 1
; NumVGPRsForWavesPerEU: 1
; Occupancy: 16
; WaveLimiterHint : 0
; COMPUTE_PGM_RSRC2:SCRATCH_EN: 0
; COMPUTE_PGM_RSRC2:USER_SGPR: 15
; COMPUTE_PGM_RSRC2:TRAP_HANDLER: 0
; COMPUTE_PGM_RSRC2:TGID_X_EN: 1
; COMPUTE_PGM_RSRC2:TGID_Y_EN: 0
; COMPUTE_PGM_RSRC2:TGID_Z_EN: 0
; COMPUTE_PGM_RSRC2:TIDIG_COMP_CNT: 0
	.section	.text._ZN7rocprim17ROCPRIM_400000_NS6detail17trampoline_kernelINS0_14default_configENS1_35adjacent_difference_config_selectorILb1EjEEZNS1_24adjacent_difference_implIS3_Lb1ELb0EPjS7_N6thrust23THRUST_200600_302600_NS5minusIjEEEE10hipError_tPvRmT2_T3_mT4_P12ihipStream_tbEUlT_E_NS1_11comp_targetILNS1_3genE0ELNS1_11target_archE4294967295ELNS1_3gpuE0ELNS1_3repE0EEENS1_30default_config_static_selectorELNS0_4arch9wavefront6targetE0EEEvT1_,"axG",@progbits,_ZN7rocprim17ROCPRIM_400000_NS6detail17trampoline_kernelINS0_14default_configENS1_35adjacent_difference_config_selectorILb1EjEEZNS1_24adjacent_difference_implIS3_Lb1ELb0EPjS7_N6thrust23THRUST_200600_302600_NS5minusIjEEEE10hipError_tPvRmT2_T3_mT4_P12ihipStream_tbEUlT_E_NS1_11comp_targetILNS1_3genE0ELNS1_11target_archE4294967295ELNS1_3gpuE0ELNS1_3repE0EEENS1_30default_config_static_selectorELNS0_4arch9wavefront6targetE0EEEvT1_,comdat
	.protected	_ZN7rocprim17ROCPRIM_400000_NS6detail17trampoline_kernelINS0_14default_configENS1_35adjacent_difference_config_selectorILb1EjEEZNS1_24adjacent_difference_implIS3_Lb1ELb0EPjS7_N6thrust23THRUST_200600_302600_NS5minusIjEEEE10hipError_tPvRmT2_T3_mT4_P12ihipStream_tbEUlT_E_NS1_11comp_targetILNS1_3genE0ELNS1_11target_archE4294967295ELNS1_3gpuE0ELNS1_3repE0EEENS1_30default_config_static_selectorELNS0_4arch9wavefront6targetE0EEEvT1_ ; -- Begin function _ZN7rocprim17ROCPRIM_400000_NS6detail17trampoline_kernelINS0_14default_configENS1_35adjacent_difference_config_selectorILb1EjEEZNS1_24adjacent_difference_implIS3_Lb1ELb0EPjS7_N6thrust23THRUST_200600_302600_NS5minusIjEEEE10hipError_tPvRmT2_T3_mT4_P12ihipStream_tbEUlT_E_NS1_11comp_targetILNS1_3genE0ELNS1_11target_archE4294967295ELNS1_3gpuE0ELNS1_3repE0EEENS1_30default_config_static_selectorELNS0_4arch9wavefront6targetE0EEEvT1_
	.globl	_ZN7rocprim17ROCPRIM_400000_NS6detail17trampoline_kernelINS0_14default_configENS1_35adjacent_difference_config_selectorILb1EjEEZNS1_24adjacent_difference_implIS3_Lb1ELb0EPjS7_N6thrust23THRUST_200600_302600_NS5minusIjEEEE10hipError_tPvRmT2_T3_mT4_P12ihipStream_tbEUlT_E_NS1_11comp_targetILNS1_3genE0ELNS1_11target_archE4294967295ELNS1_3gpuE0ELNS1_3repE0EEENS1_30default_config_static_selectorELNS0_4arch9wavefront6targetE0EEEvT1_
	.p2align	8
	.type	_ZN7rocprim17ROCPRIM_400000_NS6detail17trampoline_kernelINS0_14default_configENS1_35adjacent_difference_config_selectorILb1EjEEZNS1_24adjacent_difference_implIS3_Lb1ELb0EPjS7_N6thrust23THRUST_200600_302600_NS5minusIjEEEE10hipError_tPvRmT2_T3_mT4_P12ihipStream_tbEUlT_E_NS1_11comp_targetILNS1_3genE0ELNS1_11target_archE4294967295ELNS1_3gpuE0ELNS1_3repE0EEENS1_30default_config_static_selectorELNS0_4arch9wavefront6targetE0EEEvT1_,@function
_ZN7rocprim17ROCPRIM_400000_NS6detail17trampoline_kernelINS0_14default_configENS1_35adjacent_difference_config_selectorILb1EjEEZNS1_24adjacent_difference_implIS3_Lb1ELb0EPjS7_N6thrust23THRUST_200600_302600_NS5minusIjEEEE10hipError_tPvRmT2_T3_mT4_P12ihipStream_tbEUlT_E_NS1_11comp_targetILNS1_3genE0ELNS1_11target_archE4294967295ELNS1_3gpuE0ELNS1_3repE0EEENS1_30default_config_static_selectorELNS0_4arch9wavefront6targetE0EEEvT1_: ; @_ZN7rocprim17ROCPRIM_400000_NS6detail17trampoline_kernelINS0_14default_configENS1_35adjacent_difference_config_selectorILb1EjEEZNS1_24adjacent_difference_implIS3_Lb1ELb0EPjS7_N6thrust23THRUST_200600_302600_NS5minusIjEEEE10hipError_tPvRmT2_T3_mT4_P12ihipStream_tbEUlT_E_NS1_11comp_targetILNS1_3genE0ELNS1_11target_archE4294967295ELNS1_3gpuE0ELNS1_3repE0EEENS1_30default_config_static_selectorELNS0_4arch9wavefront6targetE0EEEvT1_
; %bb.0:
	.section	.rodata,"a",@progbits
	.p2align	6, 0x0
	.amdhsa_kernel _ZN7rocprim17ROCPRIM_400000_NS6detail17trampoline_kernelINS0_14default_configENS1_35adjacent_difference_config_selectorILb1EjEEZNS1_24adjacent_difference_implIS3_Lb1ELb0EPjS7_N6thrust23THRUST_200600_302600_NS5minusIjEEEE10hipError_tPvRmT2_T3_mT4_P12ihipStream_tbEUlT_E_NS1_11comp_targetILNS1_3genE0ELNS1_11target_archE4294967295ELNS1_3gpuE0ELNS1_3repE0EEENS1_30default_config_static_selectorELNS0_4arch9wavefront6targetE0EEEvT1_
		.amdhsa_group_segment_fixed_size 0
		.amdhsa_private_segment_fixed_size 0
		.amdhsa_kernarg_size 56
		.amdhsa_user_sgpr_count 15
		.amdhsa_user_sgpr_dispatch_ptr 0
		.amdhsa_user_sgpr_queue_ptr 0
		.amdhsa_user_sgpr_kernarg_segment_ptr 1
		.amdhsa_user_sgpr_dispatch_id 0
		.amdhsa_user_sgpr_private_segment_size 0
		.amdhsa_wavefront_size32 1
		.amdhsa_uses_dynamic_stack 0
		.amdhsa_enable_private_segment 0
		.amdhsa_system_sgpr_workgroup_id_x 1
		.amdhsa_system_sgpr_workgroup_id_y 0
		.amdhsa_system_sgpr_workgroup_id_z 0
		.amdhsa_system_sgpr_workgroup_info 0
		.amdhsa_system_vgpr_workitem_id 0
		.amdhsa_next_free_vgpr 1
		.amdhsa_next_free_sgpr 1
		.amdhsa_reserve_vcc 0
		.amdhsa_float_round_mode_32 0
		.amdhsa_float_round_mode_16_64 0
		.amdhsa_float_denorm_mode_32 3
		.amdhsa_float_denorm_mode_16_64 3
		.amdhsa_dx10_clamp 1
		.amdhsa_ieee_mode 1
		.amdhsa_fp16_overflow 0
		.amdhsa_workgroup_processor_mode 1
		.amdhsa_memory_ordered 1
		.amdhsa_forward_progress 0
		.amdhsa_shared_vgpr_count 0
		.amdhsa_exception_fp_ieee_invalid_op 0
		.amdhsa_exception_fp_denorm_src 0
		.amdhsa_exception_fp_ieee_div_zero 0
		.amdhsa_exception_fp_ieee_overflow 0
		.amdhsa_exception_fp_ieee_underflow 0
		.amdhsa_exception_fp_ieee_inexact 0
		.amdhsa_exception_int_div_zero 0
	.end_amdhsa_kernel
	.section	.text._ZN7rocprim17ROCPRIM_400000_NS6detail17trampoline_kernelINS0_14default_configENS1_35adjacent_difference_config_selectorILb1EjEEZNS1_24adjacent_difference_implIS3_Lb1ELb0EPjS7_N6thrust23THRUST_200600_302600_NS5minusIjEEEE10hipError_tPvRmT2_T3_mT4_P12ihipStream_tbEUlT_E_NS1_11comp_targetILNS1_3genE0ELNS1_11target_archE4294967295ELNS1_3gpuE0ELNS1_3repE0EEENS1_30default_config_static_selectorELNS0_4arch9wavefront6targetE0EEEvT1_,"axG",@progbits,_ZN7rocprim17ROCPRIM_400000_NS6detail17trampoline_kernelINS0_14default_configENS1_35adjacent_difference_config_selectorILb1EjEEZNS1_24adjacent_difference_implIS3_Lb1ELb0EPjS7_N6thrust23THRUST_200600_302600_NS5minusIjEEEE10hipError_tPvRmT2_T3_mT4_P12ihipStream_tbEUlT_E_NS1_11comp_targetILNS1_3genE0ELNS1_11target_archE4294967295ELNS1_3gpuE0ELNS1_3repE0EEENS1_30default_config_static_selectorELNS0_4arch9wavefront6targetE0EEEvT1_,comdat
.Lfunc_end172:
	.size	_ZN7rocprim17ROCPRIM_400000_NS6detail17trampoline_kernelINS0_14default_configENS1_35adjacent_difference_config_selectorILb1EjEEZNS1_24adjacent_difference_implIS3_Lb1ELb0EPjS7_N6thrust23THRUST_200600_302600_NS5minusIjEEEE10hipError_tPvRmT2_T3_mT4_P12ihipStream_tbEUlT_E_NS1_11comp_targetILNS1_3genE0ELNS1_11target_archE4294967295ELNS1_3gpuE0ELNS1_3repE0EEENS1_30default_config_static_selectorELNS0_4arch9wavefront6targetE0EEEvT1_, .Lfunc_end172-_ZN7rocprim17ROCPRIM_400000_NS6detail17trampoline_kernelINS0_14default_configENS1_35adjacent_difference_config_selectorILb1EjEEZNS1_24adjacent_difference_implIS3_Lb1ELb0EPjS7_N6thrust23THRUST_200600_302600_NS5minusIjEEEE10hipError_tPvRmT2_T3_mT4_P12ihipStream_tbEUlT_E_NS1_11comp_targetILNS1_3genE0ELNS1_11target_archE4294967295ELNS1_3gpuE0ELNS1_3repE0EEENS1_30default_config_static_selectorELNS0_4arch9wavefront6targetE0EEEvT1_
                                        ; -- End function
	.section	.AMDGPU.csdata,"",@progbits
; Kernel info:
; codeLenInByte = 0
; NumSgprs: 0
; NumVgprs: 0
; ScratchSize: 0
; MemoryBound: 0
; FloatMode: 240
; IeeeMode: 1
; LDSByteSize: 0 bytes/workgroup (compile time only)
; SGPRBlocks: 0
; VGPRBlocks: 0
; NumSGPRsForWavesPerEU: 1
; NumVGPRsForWavesPerEU: 1
; Occupancy: 16
; WaveLimiterHint : 0
; COMPUTE_PGM_RSRC2:SCRATCH_EN: 0
; COMPUTE_PGM_RSRC2:USER_SGPR: 15
; COMPUTE_PGM_RSRC2:TRAP_HANDLER: 0
; COMPUTE_PGM_RSRC2:TGID_X_EN: 1
; COMPUTE_PGM_RSRC2:TGID_Y_EN: 0
; COMPUTE_PGM_RSRC2:TGID_Z_EN: 0
; COMPUTE_PGM_RSRC2:TIDIG_COMP_CNT: 0
	.section	.text._ZN7rocprim17ROCPRIM_400000_NS6detail17trampoline_kernelINS0_14default_configENS1_35adjacent_difference_config_selectorILb1EjEEZNS1_24adjacent_difference_implIS3_Lb1ELb0EPjS7_N6thrust23THRUST_200600_302600_NS5minusIjEEEE10hipError_tPvRmT2_T3_mT4_P12ihipStream_tbEUlT_E_NS1_11comp_targetILNS1_3genE10ELNS1_11target_archE1201ELNS1_3gpuE5ELNS1_3repE0EEENS1_30default_config_static_selectorELNS0_4arch9wavefront6targetE0EEEvT1_,"axG",@progbits,_ZN7rocprim17ROCPRIM_400000_NS6detail17trampoline_kernelINS0_14default_configENS1_35adjacent_difference_config_selectorILb1EjEEZNS1_24adjacent_difference_implIS3_Lb1ELb0EPjS7_N6thrust23THRUST_200600_302600_NS5minusIjEEEE10hipError_tPvRmT2_T3_mT4_P12ihipStream_tbEUlT_E_NS1_11comp_targetILNS1_3genE10ELNS1_11target_archE1201ELNS1_3gpuE5ELNS1_3repE0EEENS1_30default_config_static_selectorELNS0_4arch9wavefront6targetE0EEEvT1_,comdat
	.protected	_ZN7rocprim17ROCPRIM_400000_NS6detail17trampoline_kernelINS0_14default_configENS1_35adjacent_difference_config_selectorILb1EjEEZNS1_24adjacent_difference_implIS3_Lb1ELb0EPjS7_N6thrust23THRUST_200600_302600_NS5minusIjEEEE10hipError_tPvRmT2_T3_mT4_P12ihipStream_tbEUlT_E_NS1_11comp_targetILNS1_3genE10ELNS1_11target_archE1201ELNS1_3gpuE5ELNS1_3repE0EEENS1_30default_config_static_selectorELNS0_4arch9wavefront6targetE0EEEvT1_ ; -- Begin function _ZN7rocprim17ROCPRIM_400000_NS6detail17trampoline_kernelINS0_14default_configENS1_35adjacent_difference_config_selectorILb1EjEEZNS1_24adjacent_difference_implIS3_Lb1ELb0EPjS7_N6thrust23THRUST_200600_302600_NS5minusIjEEEE10hipError_tPvRmT2_T3_mT4_P12ihipStream_tbEUlT_E_NS1_11comp_targetILNS1_3genE10ELNS1_11target_archE1201ELNS1_3gpuE5ELNS1_3repE0EEENS1_30default_config_static_selectorELNS0_4arch9wavefront6targetE0EEEvT1_
	.globl	_ZN7rocprim17ROCPRIM_400000_NS6detail17trampoline_kernelINS0_14default_configENS1_35adjacent_difference_config_selectorILb1EjEEZNS1_24adjacent_difference_implIS3_Lb1ELb0EPjS7_N6thrust23THRUST_200600_302600_NS5minusIjEEEE10hipError_tPvRmT2_T3_mT4_P12ihipStream_tbEUlT_E_NS1_11comp_targetILNS1_3genE10ELNS1_11target_archE1201ELNS1_3gpuE5ELNS1_3repE0EEENS1_30default_config_static_selectorELNS0_4arch9wavefront6targetE0EEEvT1_
	.p2align	8
	.type	_ZN7rocprim17ROCPRIM_400000_NS6detail17trampoline_kernelINS0_14default_configENS1_35adjacent_difference_config_selectorILb1EjEEZNS1_24adjacent_difference_implIS3_Lb1ELb0EPjS7_N6thrust23THRUST_200600_302600_NS5minusIjEEEE10hipError_tPvRmT2_T3_mT4_P12ihipStream_tbEUlT_E_NS1_11comp_targetILNS1_3genE10ELNS1_11target_archE1201ELNS1_3gpuE5ELNS1_3repE0EEENS1_30default_config_static_selectorELNS0_4arch9wavefront6targetE0EEEvT1_,@function
_ZN7rocprim17ROCPRIM_400000_NS6detail17trampoline_kernelINS0_14default_configENS1_35adjacent_difference_config_selectorILb1EjEEZNS1_24adjacent_difference_implIS3_Lb1ELb0EPjS7_N6thrust23THRUST_200600_302600_NS5minusIjEEEE10hipError_tPvRmT2_T3_mT4_P12ihipStream_tbEUlT_E_NS1_11comp_targetILNS1_3genE10ELNS1_11target_archE1201ELNS1_3gpuE5ELNS1_3repE0EEENS1_30default_config_static_selectorELNS0_4arch9wavefront6targetE0EEEvT1_: ; @_ZN7rocprim17ROCPRIM_400000_NS6detail17trampoline_kernelINS0_14default_configENS1_35adjacent_difference_config_selectorILb1EjEEZNS1_24adjacent_difference_implIS3_Lb1ELb0EPjS7_N6thrust23THRUST_200600_302600_NS5minusIjEEEE10hipError_tPvRmT2_T3_mT4_P12ihipStream_tbEUlT_E_NS1_11comp_targetILNS1_3genE10ELNS1_11target_archE1201ELNS1_3gpuE5ELNS1_3repE0EEENS1_30default_config_static_selectorELNS0_4arch9wavefront6targetE0EEEvT1_
; %bb.0:
	.section	.rodata,"a",@progbits
	.p2align	6, 0x0
	.amdhsa_kernel _ZN7rocprim17ROCPRIM_400000_NS6detail17trampoline_kernelINS0_14default_configENS1_35adjacent_difference_config_selectorILb1EjEEZNS1_24adjacent_difference_implIS3_Lb1ELb0EPjS7_N6thrust23THRUST_200600_302600_NS5minusIjEEEE10hipError_tPvRmT2_T3_mT4_P12ihipStream_tbEUlT_E_NS1_11comp_targetILNS1_3genE10ELNS1_11target_archE1201ELNS1_3gpuE5ELNS1_3repE0EEENS1_30default_config_static_selectorELNS0_4arch9wavefront6targetE0EEEvT1_
		.amdhsa_group_segment_fixed_size 0
		.amdhsa_private_segment_fixed_size 0
		.amdhsa_kernarg_size 56
		.amdhsa_user_sgpr_count 15
		.amdhsa_user_sgpr_dispatch_ptr 0
		.amdhsa_user_sgpr_queue_ptr 0
		.amdhsa_user_sgpr_kernarg_segment_ptr 1
		.amdhsa_user_sgpr_dispatch_id 0
		.amdhsa_user_sgpr_private_segment_size 0
		.amdhsa_wavefront_size32 1
		.amdhsa_uses_dynamic_stack 0
		.amdhsa_enable_private_segment 0
		.amdhsa_system_sgpr_workgroup_id_x 1
		.amdhsa_system_sgpr_workgroup_id_y 0
		.amdhsa_system_sgpr_workgroup_id_z 0
		.amdhsa_system_sgpr_workgroup_info 0
		.amdhsa_system_vgpr_workitem_id 0
		.amdhsa_next_free_vgpr 1
		.amdhsa_next_free_sgpr 1
		.amdhsa_reserve_vcc 0
		.amdhsa_float_round_mode_32 0
		.amdhsa_float_round_mode_16_64 0
		.amdhsa_float_denorm_mode_32 3
		.amdhsa_float_denorm_mode_16_64 3
		.amdhsa_dx10_clamp 1
		.amdhsa_ieee_mode 1
		.amdhsa_fp16_overflow 0
		.amdhsa_workgroup_processor_mode 1
		.amdhsa_memory_ordered 1
		.amdhsa_forward_progress 0
		.amdhsa_shared_vgpr_count 0
		.amdhsa_exception_fp_ieee_invalid_op 0
		.amdhsa_exception_fp_denorm_src 0
		.amdhsa_exception_fp_ieee_div_zero 0
		.amdhsa_exception_fp_ieee_overflow 0
		.amdhsa_exception_fp_ieee_underflow 0
		.amdhsa_exception_fp_ieee_inexact 0
		.amdhsa_exception_int_div_zero 0
	.end_amdhsa_kernel
	.section	.text._ZN7rocprim17ROCPRIM_400000_NS6detail17trampoline_kernelINS0_14default_configENS1_35adjacent_difference_config_selectorILb1EjEEZNS1_24adjacent_difference_implIS3_Lb1ELb0EPjS7_N6thrust23THRUST_200600_302600_NS5minusIjEEEE10hipError_tPvRmT2_T3_mT4_P12ihipStream_tbEUlT_E_NS1_11comp_targetILNS1_3genE10ELNS1_11target_archE1201ELNS1_3gpuE5ELNS1_3repE0EEENS1_30default_config_static_selectorELNS0_4arch9wavefront6targetE0EEEvT1_,"axG",@progbits,_ZN7rocprim17ROCPRIM_400000_NS6detail17trampoline_kernelINS0_14default_configENS1_35adjacent_difference_config_selectorILb1EjEEZNS1_24adjacent_difference_implIS3_Lb1ELb0EPjS7_N6thrust23THRUST_200600_302600_NS5minusIjEEEE10hipError_tPvRmT2_T3_mT4_P12ihipStream_tbEUlT_E_NS1_11comp_targetILNS1_3genE10ELNS1_11target_archE1201ELNS1_3gpuE5ELNS1_3repE0EEENS1_30default_config_static_selectorELNS0_4arch9wavefront6targetE0EEEvT1_,comdat
.Lfunc_end173:
	.size	_ZN7rocprim17ROCPRIM_400000_NS6detail17trampoline_kernelINS0_14default_configENS1_35adjacent_difference_config_selectorILb1EjEEZNS1_24adjacent_difference_implIS3_Lb1ELb0EPjS7_N6thrust23THRUST_200600_302600_NS5minusIjEEEE10hipError_tPvRmT2_T3_mT4_P12ihipStream_tbEUlT_E_NS1_11comp_targetILNS1_3genE10ELNS1_11target_archE1201ELNS1_3gpuE5ELNS1_3repE0EEENS1_30default_config_static_selectorELNS0_4arch9wavefront6targetE0EEEvT1_, .Lfunc_end173-_ZN7rocprim17ROCPRIM_400000_NS6detail17trampoline_kernelINS0_14default_configENS1_35adjacent_difference_config_selectorILb1EjEEZNS1_24adjacent_difference_implIS3_Lb1ELb0EPjS7_N6thrust23THRUST_200600_302600_NS5minusIjEEEE10hipError_tPvRmT2_T3_mT4_P12ihipStream_tbEUlT_E_NS1_11comp_targetILNS1_3genE10ELNS1_11target_archE1201ELNS1_3gpuE5ELNS1_3repE0EEENS1_30default_config_static_selectorELNS0_4arch9wavefront6targetE0EEEvT1_
                                        ; -- End function
	.section	.AMDGPU.csdata,"",@progbits
; Kernel info:
; codeLenInByte = 0
; NumSgprs: 0
; NumVgprs: 0
; ScratchSize: 0
; MemoryBound: 0
; FloatMode: 240
; IeeeMode: 1
; LDSByteSize: 0 bytes/workgroup (compile time only)
; SGPRBlocks: 0
; VGPRBlocks: 0
; NumSGPRsForWavesPerEU: 1
; NumVGPRsForWavesPerEU: 1
; Occupancy: 16
; WaveLimiterHint : 0
; COMPUTE_PGM_RSRC2:SCRATCH_EN: 0
; COMPUTE_PGM_RSRC2:USER_SGPR: 15
; COMPUTE_PGM_RSRC2:TRAP_HANDLER: 0
; COMPUTE_PGM_RSRC2:TGID_X_EN: 1
; COMPUTE_PGM_RSRC2:TGID_Y_EN: 0
; COMPUTE_PGM_RSRC2:TGID_Z_EN: 0
; COMPUTE_PGM_RSRC2:TIDIG_COMP_CNT: 0
	.section	.text._ZN7rocprim17ROCPRIM_400000_NS6detail17trampoline_kernelINS0_14default_configENS1_35adjacent_difference_config_selectorILb1EjEEZNS1_24adjacent_difference_implIS3_Lb1ELb0EPjS7_N6thrust23THRUST_200600_302600_NS5minusIjEEEE10hipError_tPvRmT2_T3_mT4_P12ihipStream_tbEUlT_E_NS1_11comp_targetILNS1_3genE5ELNS1_11target_archE942ELNS1_3gpuE9ELNS1_3repE0EEENS1_30default_config_static_selectorELNS0_4arch9wavefront6targetE0EEEvT1_,"axG",@progbits,_ZN7rocprim17ROCPRIM_400000_NS6detail17trampoline_kernelINS0_14default_configENS1_35adjacent_difference_config_selectorILb1EjEEZNS1_24adjacent_difference_implIS3_Lb1ELb0EPjS7_N6thrust23THRUST_200600_302600_NS5minusIjEEEE10hipError_tPvRmT2_T3_mT4_P12ihipStream_tbEUlT_E_NS1_11comp_targetILNS1_3genE5ELNS1_11target_archE942ELNS1_3gpuE9ELNS1_3repE0EEENS1_30default_config_static_selectorELNS0_4arch9wavefront6targetE0EEEvT1_,comdat
	.protected	_ZN7rocprim17ROCPRIM_400000_NS6detail17trampoline_kernelINS0_14default_configENS1_35adjacent_difference_config_selectorILb1EjEEZNS1_24adjacent_difference_implIS3_Lb1ELb0EPjS7_N6thrust23THRUST_200600_302600_NS5minusIjEEEE10hipError_tPvRmT2_T3_mT4_P12ihipStream_tbEUlT_E_NS1_11comp_targetILNS1_3genE5ELNS1_11target_archE942ELNS1_3gpuE9ELNS1_3repE0EEENS1_30default_config_static_selectorELNS0_4arch9wavefront6targetE0EEEvT1_ ; -- Begin function _ZN7rocprim17ROCPRIM_400000_NS6detail17trampoline_kernelINS0_14default_configENS1_35adjacent_difference_config_selectorILb1EjEEZNS1_24adjacent_difference_implIS3_Lb1ELb0EPjS7_N6thrust23THRUST_200600_302600_NS5minusIjEEEE10hipError_tPvRmT2_T3_mT4_P12ihipStream_tbEUlT_E_NS1_11comp_targetILNS1_3genE5ELNS1_11target_archE942ELNS1_3gpuE9ELNS1_3repE0EEENS1_30default_config_static_selectorELNS0_4arch9wavefront6targetE0EEEvT1_
	.globl	_ZN7rocprim17ROCPRIM_400000_NS6detail17trampoline_kernelINS0_14default_configENS1_35adjacent_difference_config_selectorILb1EjEEZNS1_24adjacent_difference_implIS3_Lb1ELb0EPjS7_N6thrust23THRUST_200600_302600_NS5minusIjEEEE10hipError_tPvRmT2_T3_mT4_P12ihipStream_tbEUlT_E_NS1_11comp_targetILNS1_3genE5ELNS1_11target_archE942ELNS1_3gpuE9ELNS1_3repE0EEENS1_30default_config_static_selectorELNS0_4arch9wavefront6targetE0EEEvT1_
	.p2align	8
	.type	_ZN7rocprim17ROCPRIM_400000_NS6detail17trampoline_kernelINS0_14default_configENS1_35adjacent_difference_config_selectorILb1EjEEZNS1_24adjacent_difference_implIS3_Lb1ELb0EPjS7_N6thrust23THRUST_200600_302600_NS5minusIjEEEE10hipError_tPvRmT2_T3_mT4_P12ihipStream_tbEUlT_E_NS1_11comp_targetILNS1_3genE5ELNS1_11target_archE942ELNS1_3gpuE9ELNS1_3repE0EEENS1_30default_config_static_selectorELNS0_4arch9wavefront6targetE0EEEvT1_,@function
_ZN7rocprim17ROCPRIM_400000_NS6detail17trampoline_kernelINS0_14default_configENS1_35adjacent_difference_config_selectorILb1EjEEZNS1_24adjacent_difference_implIS3_Lb1ELb0EPjS7_N6thrust23THRUST_200600_302600_NS5minusIjEEEE10hipError_tPvRmT2_T3_mT4_P12ihipStream_tbEUlT_E_NS1_11comp_targetILNS1_3genE5ELNS1_11target_archE942ELNS1_3gpuE9ELNS1_3repE0EEENS1_30default_config_static_selectorELNS0_4arch9wavefront6targetE0EEEvT1_: ; @_ZN7rocprim17ROCPRIM_400000_NS6detail17trampoline_kernelINS0_14default_configENS1_35adjacent_difference_config_selectorILb1EjEEZNS1_24adjacent_difference_implIS3_Lb1ELb0EPjS7_N6thrust23THRUST_200600_302600_NS5minusIjEEEE10hipError_tPvRmT2_T3_mT4_P12ihipStream_tbEUlT_E_NS1_11comp_targetILNS1_3genE5ELNS1_11target_archE942ELNS1_3gpuE9ELNS1_3repE0EEENS1_30default_config_static_selectorELNS0_4arch9wavefront6targetE0EEEvT1_
; %bb.0:
	.section	.rodata,"a",@progbits
	.p2align	6, 0x0
	.amdhsa_kernel _ZN7rocprim17ROCPRIM_400000_NS6detail17trampoline_kernelINS0_14default_configENS1_35adjacent_difference_config_selectorILb1EjEEZNS1_24adjacent_difference_implIS3_Lb1ELb0EPjS7_N6thrust23THRUST_200600_302600_NS5minusIjEEEE10hipError_tPvRmT2_T3_mT4_P12ihipStream_tbEUlT_E_NS1_11comp_targetILNS1_3genE5ELNS1_11target_archE942ELNS1_3gpuE9ELNS1_3repE0EEENS1_30default_config_static_selectorELNS0_4arch9wavefront6targetE0EEEvT1_
		.amdhsa_group_segment_fixed_size 0
		.amdhsa_private_segment_fixed_size 0
		.amdhsa_kernarg_size 56
		.amdhsa_user_sgpr_count 15
		.amdhsa_user_sgpr_dispatch_ptr 0
		.amdhsa_user_sgpr_queue_ptr 0
		.amdhsa_user_sgpr_kernarg_segment_ptr 1
		.amdhsa_user_sgpr_dispatch_id 0
		.amdhsa_user_sgpr_private_segment_size 0
		.amdhsa_wavefront_size32 1
		.amdhsa_uses_dynamic_stack 0
		.amdhsa_enable_private_segment 0
		.amdhsa_system_sgpr_workgroup_id_x 1
		.amdhsa_system_sgpr_workgroup_id_y 0
		.amdhsa_system_sgpr_workgroup_id_z 0
		.amdhsa_system_sgpr_workgroup_info 0
		.amdhsa_system_vgpr_workitem_id 0
		.amdhsa_next_free_vgpr 1
		.amdhsa_next_free_sgpr 1
		.amdhsa_reserve_vcc 0
		.amdhsa_float_round_mode_32 0
		.amdhsa_float_round_mode_16_64 0
		.amdhsa_float_denorm_mode_32 3
		.amdhsa_float_denorm_mode_16_64 3
		.amdhsa_dx10_clamp 1
		.amdhsa_ieee_mode 1
		.amdhsa_fp16_overflow 0
		.amdhsa_workgroup_processor_mode 1
		.amdhsa_memory_ordered 1
		.amdhsa_forward_progress 0
		.amdhsa_shared_vgpr_count 0
		.amdhsa_exception_fp_ieee_invalid_op 0
		.amdhsa_exception_fp_denorm_src 0
		.amdhsa_exception_fp_ieee_div_zero 0
		.amdhsa_exception_fp_ieee_overflow 0
		.amdhsa_exception_fp_ieee_underflow 0
		.amdhsa_exception_fp_ieee_inexact 0
		.amdhsa_exception_int_div_zero 0
	.end_amdhsa_kernel
	.section	.text._ZN7rocprim17ROCPRIM_400000_NS6detail17trampoline_kernelINS0_14default_configENS1_35adjacent_difference_config_selectorILb1EjEEZNS1_24adjacent_difference_implIS3_Lb1ELb0EPjS7_N6thrust23THRUST_200600_302600_NS5minusIjEEEE10hipError_tPvRmT2_T3_mT4_P12ihipStream_tbEUlT_E_NS1_11comp_targetILNS1_3genE5ELNS1_11target_archE942ELNS1_3gpuE9ELNS1_3repE0EEENS1_30default_config_static_selectorELNS0_4arch9wavefront6targetE0EEEvT1_,"axG",@progbits,_ZN7rocprim17ROCPRIM_400000_NS6detail17trampoline_kernelINS0_14default_configENS1_35adjacent_difference_config_selectorILb1EjEEZNS1_24adjacent_difference_implIS3_Lb1ELb0EPjS7_N6thrust23THRUST_200600_302600_NS5minusIjEEEE10hipError_tPvRmT2_T3_mT4_P12ihipStream_tbEUlT_E_NS1_11comp_targetILNS1_3genE5ELNS1_11target_archE942ELNS1_3gpuE9ELNS1_3repE0EEENS1_30default_config_static_selectorELNS0_4arch9wavefront6targetE0EEEvT1_,comdat
.Lfunc_end174:
	.size	_ZN7rocprim17ROCPRIM_400000_NS6detail17trampoline_kernelINS0_14default_configENS1_35adjacent_difference_config_selectorILb1EjEEZNS1_24adjacent_difference_implIS3_Lb1ELb0EPjS7_N6thrust23THRUST_200600_302600_NS5minusIjEEEE10hipError_tPvRmT2_T3_mT4_P12ihipStream_tbEUlT_E_NS1_11comp_targetILNS1_3genE5ELNS1_11target_archE942ELNS1_3gpuE9ELNS1_3repE0EEENS1_30default_config_static_selectorELNS0_4arch9wavefront6targetE0EEEvT1_, .Lfunc_end174-_ZN7rocprim17ROCPRIM_400000_NS6detail17trampoline_kernelINS0_14default_configENS1_35adjacent_difference_config_selectorILb1EjEEZNS1_24adjacent_difference_implIS3_Lb1ELb0EPjS7_N6thrust23THRUST_200600_302600_NS5minusIjEEEE10hipError_tPvRmT2_T3_mT4_P12ihipStream_tbEUlT_E_NS1_11comp_targetILNS1_3genE5ELNS1_11target_archE942ELNS1_3gpuE9ELNS1_3repE0EEENS1_30default_config_static_selectorELNS0_4arch9wavefront6targetE0EEEvT1_
                                        ; -- End function
	.section	.AMDGPU.csdata,"",@progbits
; Kernel info:
; codeLenInByte = 0
; NumSgprs: 0
; NumVgprs: 0
; ScratchSize: 0
; MemoryBound: 0
; FloatMode: 240
; IeeeMode: 1
; LDSByteSize: 0 bytes/workgroup (compile time only)
; SGPRBlocks: 0
; VGPRBlocks: 0
; NumSGPRsForWavesPerEU: 1
; NumVGPRsForWavesPerEU: 1
; Occupancy: 16
; WaveLimiterHint : 0
; COMPUTE_PGM_RSRC2:SCRATCH_EN: 0
; COMPUTE_PGM_RSRC2:USER_SGPR: 15
; COMPUTE_PGM_RSRC2:TRAP_HANDLER: 0
; COMPUTE_PGM_RSRC2:TGID_X_EN: 1
; COMPUTE_PGM_RSRC2:TGID_Y_EN: 0
; COMPUTE_PGM_RSRC2:TGID_Z_EN: 0
; COMPUTE_PGM_RSRC2:TIDIG_COMP_CNT: 0
	.section	.text._ZN7rocprim17ROCPRIM_400000_NS6detail17trampoline_kernelINS0_14default_configENS1_35adjacent_difference_config_selectorILb1EjEEZNS1_24adjacent_difference_implIS3_Lb1ELb0EPjS7_N6thrust23THRUST_200600_302600_NS5minusIjEEEE10hipError_tPvRmT2_T3_mT4_P12ihipStream_tbEUlT_E_NS1_11comp_targetILNS1_3genE4ELNS1_11target_archE910ELNS1_3gpuE8ELNS1_3repE0EEENS1_30default_config_static_selectorELNS0_4arch9wavefront6targetE0EEEvT1_,"axG",@progbits,_ZN7rocprim17ROCPRIM_400000_NS6detail17trampoline_kernelINS0_14default_configENS1_35adjacent_difference_config_selectorILb1EjEEZNS1_24adjacent_difference_implIS3_Lb1ELb0EPjS7_N6thrust23THRUST_200600_302600_NS5minusIjEEEE10hipError_tPvRmT2_T3_mT4_P12ihipStream_tbEUlT_E_NS1_11comp_targetILNS1_3genE4ELNS1_11target_archE910ELNS1_3gpuE8ELNS1_3repE0EEENS1_30default_config_static_selectorELNS0_4arch9wavefront6targetE0EEEvT1_,comdat
	.protected	_ZN7rocprim17ROCPRIM_400000_NS6detail17trampoline_kernelINS0_14default_configENS1_35adjacent_difference_config_selectorILb1EjEEZNS1_24adjacent_difference_implIS3_Lb1ELb0EPjS7_N6thrust23THRUST_200600_302600_NS5minusIjEEEE10hipError_tPvRmT2_T3_mT4_P12ihipStream_tbEUlT_E_NS1_11comp_targetILNS1_3genE4ELNS1_11target_archE910ELNS1_3gpuE8ELNS1_3repE0EEENS1_30default_config_static_selectorELNS0_4arch9wavefront6targetE0EEEvT1_ ; -- Begin function _ZN7rocprim17ROCPRIM_400000_NS6detail17trampoline_kernelINS0_14default_configENS1_35adjacent_difference_config_selectorILb1EjEEZNS1_24adjacent_difference_implIS3_Lb1ELb0EPjS7_N6thrust23THRUST_200600_302600_NS5minusIjEEEE10hipError_tPvRmT2_T3_mT4_P12ihipStream_tbEUlT_E_NS1_11comp_targetILNS1_3genE4ELNS1_11target_archE910ELNS1_3gpuE8ELNS1_3repE0EEENS1_30default_config_static_selectorELNS0_4arch9wavefront6targetE0EEEvT1_
	.globl	_ZN7rocprim17ROCPRIM_400000_NS6detail17trampoline_kernelINS0_14default_configENS1_35adjacent_difference_config_selectorILb1EjEEZNS1_24adjacent_difference_implIS3_Lb1ELb0EPjS7_N6thrust23THRUST_200600_302600_NS5minusIjEEEE10hipError_tPvRmT2_T3_mT4_P12ihipStream_tbEUlT_E_NS1_11comp_targetILNS1_3genE4ELNS1_11target_archE910ELNS1_3gpuE8ELNS1_3repE0EEENS1_30default_config_static_selectorELNS0_4arch9wavefront6targetE0EEEvT1_
	.p2align	8
	.type	_ZN7rocprim17ROCPRIM_400000_NS6detail17trampoline_kernelINS0_14default_configENS1_35adjacent_difference_config_selectorILb1EjEEZNS1_24adjacent_difference_implIS3_Lb1ELb0EPjS7_N6thrust23THRUST_200600_302600_NS5minusIjEEEE10hipError_tPvRmT2_T3_mT4_P12ihipStream_tbEUlT_E_NS1_11comp_targetILNS1_3genE4ELNS1_11target_archE910ELNS1_3gpuE8ELNS1_3repE0EEENS1_30default_config_static_selectorELNS0_4arch9wavefront6targetE0EEEvT1_,@function
_ZN7rocprim17ROCPRIM_400000_NS6detail17trampoline_kernelINS0_14default_configENS1_35adjacent_difference_config_selectorILb1EjEEZNS1_24adjacent_difference_implIS3_Lb1ELb0EPjS7_N6thrust23THRUST_200600_302600_NS5minusIjEEEE10hipError_tPvRmT2_T3_mT4_P12ihipStream_tbEUlT_E_NS1_11comp_targetILNS1_3genE4ELNS1_11target_archE910ELNS1_3gpuE8ELNS1_3repE0EEENS1_30default_config_static_selectorELNS0_4arch9wavefront6targetE0EEEvT1_: ; @_ZN7rocprim17ROCPRIM_400000_NS6detail17trampoline_kernelINS0_14default_configENS1_35adjacent_difference_config_selectorILb1EjEEZNS1_24adjacent_difference_implIS3_Lb1ELb0EPjS7_N6thrust23THRUST_200600_302600_NS5minusIjEEEE10hipError_tPvRmT2_T3_mT4_P12ihipStream_tbEUlT_E_NS1_11comp_targetILNS1_3genE4ELNS1_11target_archE910ELNS1_3gpuE8ELNS1_3repE0EEENS1_30default_config_static_selectorELNS0_4arch9wavefront6targetE0EEEvT1_
; %bb.0:
	.section	.rodata,"a",@progbits
	.p2align	6, 0x0
	.amdhsa_kernel _ZN7rocprim17ROCPRIM_400000_NS6detail17trampoline_kernelINS0_14default_configENS1_35adjacent_difference_config_selectorILb1EjEEZNS1_24adjacent_difference_implIS3_Lb1ELb0EPjS7_N6thrust23THRUST_200600_302600_NS5minusIjEEEE10hipError_tPvRmT2_T3_mT4_P12ihipStream_tbEUlT_E_NS1_11comp_targetILNS1_3genE4ELNS1_11target_archE910ELNS1_3gpuE8ELNS1_3repE0EEENS1_30default_config_static_selectorELNS0_4arch9wavefront6targetE0EEEvT1_
		.amdhsa_group_segment_fixed_size 0
		.amdhsa_private_segment_fixed_size 0
		.amdhsa_kernarg_size 56
		.amdhsa_user_sgpr_count 15
		.amdhsa_user_sgpr_dispatch_ptr 0
		.amdhsa_user_sgpr_queue_ptr 0
		.amdhsa_user_sgpr_kernarg_segment_ptr 1
		.amdhsa_user_sgpr_dispatch_id 0
		.amdhsa_user_sgpr_private_segment_size 0
		.amdhsa_wavefront_size32 1
		.amdhsa_uses_dynamic_stack 0
		.amdhsa_enable_private_segment 0
		.amdhsa_system_sgpr_workgroup_id_x 1
		.amdhsa_system_sgpr_workgroup_id_y 0
		.amdhsa_system_sgpr_workgroup_id_z 0
		.amdhsa_system_sgpr_workgroup_info 0
		.amdhsa_system_vgpr_workitem_id 0
		.amdhsa_next_free_vgpr 1
		.amdhsa_next_free_sgpr 1
		.amdhsa_reserve_vcc 0
		.amdhsa_float_round_mode_32 0
		.amdhsa_float_round_mode_16_64 0
		.amdhsa_float_denorm_mode_32 3
		.amdhsa_float_denorm_mode_16_64 3
		.amdhsa_dx10_clamp 1
		.amdhsa_ieee_mode 1
		.amdhsa_fp16_overflow 0
		.amdhsa_workgroup_processor_mode 1
		.amdhsa_memory_ordered 1
		.amdhsa_forward_progress 0
		.amdhsa_shared_vgpr_count 0
		.amdhsa_exception_fp_ieee_invalid_op 0
		.amdhsa_exception_fp_denorm_src 0
		.amdhsa_exception_fp_ieee_div_zero 0
		.amdhsa_exception_fp_ieee_overflow 0
		.amdhsa_exception_fp_ieee_underflow 0
		.amdhsa_exception_fp_ieee_inexact 0
		.amdhsa_exception_int_div_zero 0
	.end_amdhsa_kernel
	.section	.text._ZN7rocprim17ROCPRIM_400000_NS6detail17trampoline_kernelINS0_14default_configENS1_35adjacent_difference_config_selectorILb1EjEEZNS1_24adjacent_difference_implIS3_Lb1ELb0EPjS7_N6thrust23THRUST_200600_302600_NS5minusIjEEEE10hipError_tPvRmT2_T3_mT4_P12ihipStream_tbEUlT_E_NS1_11comp_targetILNS1_3genE4ELNS1_11target_archE910ELNS1_3gpuE8ELNS1_3repE0EEENS1_30default_config_static_selectorELNS0_4arch9wavefront6targetE0EEEvT1_,"axG",@progbits,_ZN7rocprim17ROCPRIM_400000_NS6detail17trampoline_kernelINS0_14default_configENS1_35adjacent_difference_config_selectorILb1EjEEZNS1_24adjacent_difference_implIS3_Lb1ELb0EPjS7_N6thrust23THRUST_200600_302600_NS5minusIjEEEE10hipError_tPvRmT2_T3_mT4_P12ihipStream_tbEUlT_E_NS1_11comp_targetILNS1_3genE4ELNS1_11target_archE910ELNS1_3gpuE8ELNS1_3repE0EEENS1_30default_config_static_selectorELNS0_4arch9wavefront6targetE0EEEvT1_,comdat
.Lfunc_end175:
	.size	_ZN7rocprim17ROCPRIM_400000_NS6detail17trampoline_kernelINS0_14default_configENS1_35adjacent_difference_config_selectorILb1EjEEZNS1_24adjacent_difference_implIS3_Lb1ELb0EPjS7_N6thrust23THRUST_200600_302600_NS5minusIjEEEE10hipError_tPvRmT2_T3_mT4_P12ihipStream_tbEUlT_E_NS1_11comp_targetILNS1_3genE4ELNS1_11target_archE910ELNS1_3gpuE8ELNS1_3repE0EEENS1_30default_config_static_selectorELNS0_4arch9wavefront6targetE0EEEvT1_, .Lfunc_end175-_ZN7rocprim17ROCPRIM_400000_NS6detail17trampoline_kernelINS0_14default_configENS1_35adjacent_difference_config_selectorILb1EjEEZNS1_24adjacent_difference_implIS3_Lb1ELb0EPjS7_N6thrust23THRUST_200600_302600_NS5minusIjEEEE10hipError_tPvRmT2_T3_mT4_P12ihipStream_tbEUlT_E_NS1_11comp_targetILNS1_3genE4ELNS1_11target_archE910ELNS1_3gpuE8ELNS1_3repE0EEENS1_30default_config_static_selectorELNS0_4arch9wavefront6targetE0EEEvT1_
                                        ; -- End function
	.section	.AMDGPU.csdata,"",@progbits
; Kernel info:
; codeLenInByte = 0
; NumSgprs: 0
; NumVgprs: 0
; ScratchSize: 0
; MemoryBound: 0
; FloatMode: 240
; IeeeMode: 1
; LDSByteSize: 0 bytes/workgroup (compile time only)
; SGPRBlocks: 0
; VGPRBlocks: 0
; NumSGPRsForWavesPerEU: 1
; NumVGPRsForWavesPerEU: 1
; Occupancy: 16
; WaveLimiterHint : 0
; COMPUTE_PGM_RSRC2:SCRATCH_EN: 0
; COMPUTE_PGM_RSRC2:USER_SGPR: 15
; COMPUTE_PGM_RSRC2:TRAP_HANDLER: 0
; COMPUTE_PGM_RSRC2:TGID_X_EN: 1
; COMPUTE_PGM_RSRC2:TGID_Y_EN: 0
; COMPUTE_PGM_RSRC2:TGID_Z_EN: 0
; COMPUTE_PGM_RSRC2:TIDIG_COMP_CNT: 0
	.section	.text._ZN7rocprim17ROCPRIM_400000_NS6detail17trampoline_kernelINS0_14default_configENS1_35adjacent_difference_config_selectorILb1EjEEZNS1_24adjacent_difference_implIS3_Lb1ELb0EPjS7_N6thrust23THRUST_200600_302600_NS5minusIjEEEE10hipError_tPvRmT2_T3_mT4_P12ihipStream_tbEUlT_E_NS1_11comp_targetILNS1_3genE3ELNS1_11target_archE908ELNS1_3gpuE7ELNS1_3repE0EEENS1_30default_config_static_selectorELNS0_4arch9wavefront6targetE0EEEvT1_,"axG",@progbits,_ZN7rocprim17ROCPRIM_400000_NS6detail17trampoline_kernelINS0_14default_configENS1_35adjacent_difference_config_selectorILb1EjEEZNS1_24adjacent_difference_implIS3_Lb1ELb0EPjS7_N6thrust23THRUST_200600_302600_NS5minusIjEEEE10hipError_tPvRmT2_T3_mT4_P12ihipStream_tbEUlT_E_NS1_11comp_targetILNS1_3genE3ELNS1_11target_archE908ELNS1_3gpuE7ELNS1_3repE0EEENS1_30default_config_static_selectorELNS0_4arch9wavefront6targetE0EEEvT1_,comdat
	.protected	_ZN7rocprim17ROCPRIM_400000_NS6detail17trampoline_kernelINS0_14default_configENS1_35adjacent_difference_config_selectorILb1EjEEZNS1_24adjacent_difference_implIS3_Lb1ELb0EPjS7_N6thrust23THRUST_200600_302600_NS5minusIjEEEE10hipError_tPvRmT2_T3_mT4_P12ihipStream_tbEUlT_E_NS1_11comp_targetILNS1_3genE3ELNS1_11target_archE908ELNS1_3gpuE7ELNS1_3repE0EEENS1_30default_config_static_selectorELNS0_4arch9wavefront6targetE0EEEvT1_ ; -- Begin function _ZN7rocprim17ROCPRIM_400000_NS6detail17trampoline_kernelINS0_14default_configENS1_35adjacent_difference_config_selectorILb1EjEEZNS1_24adjacent_difference_implIS3_Lb1ELb0EPjS7_N6thrust23THRUST_200600_302600_NS5minusIjEEEE10hipError_tPvRmT2_T3_mT4_P12ihipStream_tbEUlT_E_NS1_11comp_targetILNS1_3genE3ELNS1_11target_archE908ELNS1_3gpuE7ELNS1_3repE0EEENS1_30default_config_static_selectorELNS0_4arch9wavefront6targetE0EEEvT1_
	.globl	_ZN7rocprim17ROCPRIM_400000_NS6detail17trampoline_kernelINS0_14default_configENS1_35adjacent_difference_config_selectorILb1EjEEZNS1_24adjacent_difference_implIS3_Lb1ELb0EPjS7_N6thrust23THRUST_200600_302600_NS5minusIjEEEE10hipError_tPvRmT2_T3_mT4_P12ihipStream_tbEUlT_E_NS1_11comp_targetILNS1_3genE3ELNS1_11target_archE908ELNS1_3gpuE7ELNS1_3repE0EEENS1_30default_config_static_selectorELNS0_4arch9wavefront6targetE0EEEvT1_
	.p2align	8
	.type	_ZN7rocprim17ROCPRIM_400000_NS6detail17trampoline_kernelINS0_14default_configENS1_35adjacent_difference_config_selectorILb1EjEEZNS1_24adjacent_difference_implIS3_Lb1ELb0EPjS7_N6thrust23THRUST_200600_302600_NS5minusIjEEEE10hipError_tPvRmT2_T3_mT4_P12ihipStream_tbEUlT_E_NS1_11comp_targetILNS1_3genE3ELNS1_11target_archE908ELNS1_3gpuE7ELNS1_3repE0EEENS1_30default_config_static_selectorELNS0_4arch9wavefront6targetE0EEEvT1_,@function
_ZN7rocprim17ROCPRIM_400000_NS6detail17trampoline_kernelINS0_14default_configENS1_35adjacent_difference_config_selectorILb1EjEEZNS1_24adjacent_difference_implIS3_Lb1ELb0EPjS7_N6thrust23THRUST_200600_302600_NS5minusIjEEEE10hipError_tPvRmT2_T3_mT4_P12ihipStream_tbEUlT_E_NS1_11comp_targetILNS1_3genE3ELNS1_11target_archE908ELNS1_3gpuE7ELNS1_3repE0EEENS1_30default_config_static_selectorELNS0_4arch9wavefront6targetE0EEEvT1_: ; @_ZN7rocprim17ROCPRIM_400000_NS6detail17trampoline_kernelINS0_14default_configENS1_35adjacent_difference_config_selectorILb1EjEEZNS1_24adjacent_difference_implIS3_Lb1ELb0EPjS7_N6thrust23THRUST_200600_302600_NS5minusIjEEEE10hipError_tPvRmT2_T3_mT4_P12ihipStream_tbEUlT_E_NS1_11comp_targetILNS1_3genE3ELNS1_11target_archE908ELNS1_3gpuE7ELNS1_3repE0EEENS1_30default_config_static_selectorELNS0_4arch9wavefront6targetE0EEEvT1_
; %bb.0:
	.section	.rodata,"a",@progbits
	.p2align	6, 0x0
	.amdhsa_kernel _ZN7rocprim17ROCPRIM_400000_NS6detail17trampoline_kernelINS0_14default_configENS1_35adjacent_difference_config_selectorILb1EjEEZNS1_24adjacent_difference_implIS3_Lb1ELb0EPjS7_N6thrust23THRUST_200600_302600_NS5minusIjEEEE10hipError_tPvRmT2_T3_mT4_P12ihipStream_tbEUlT_E_NS1_11comp_targetILNS1_3genE3ELNS1_11target_archE908ELNS1_3gpuE7ELNS1_3repE0EEENS1_30default_config_static_selectorELNS0_4arch9wavefront6targetE0EEEvT1_
		.amdhsa_group_segment_fixed_size 0
		.amdhsa_private_segment_fixed_size 0
		.amdhsa_kernarg_size 56
		.amdhsa_user_sgpr_count 15
		.amdhsa_user_sgpr_dispatch_ptr 0
		.amdhsa_user_sgpr_queue_ptr 0
		.amdhsa_user_sgpr_kernarg_segment_ptr 1
		.amdhsa_user_sgpr_dispatch_id 0
		.amdhsa_user_sgpr_private_segment_size 0
		.amdhsa_wavefront_size32 1
		.amdhsa_uses_dynamic_stack 0
		.amdhsa_enable_private_segment 0
		.amdhsa_system_sgpr_workgroup_id_x 1
		.amdhsa_system_sgpr_workgroup_id_y 0
		.amdhsa_system_sgpr_workgroup_id_z 0
		.amdhsa_system_sgpr_workgroup_info 0
		.amdhsa_system_vgpr_workitem_id 0
		.amdhsa_next_free_vgpr 1
		.amdhsa_next_free_sgpr 1
		.amdhsa_reserve_vcc 0
		.amdhsa_float_round_mode_32 0
		.amdhsa_float_round_mode_16_64 0
		.amdhsa_float_denorm_mode_32 3
		.amdhsa_float_denorm_mode_16_64 3
		.amdhsa_dx10_clamp 1
		.amdhsa_ieee_mode 1
		.amdhsa_fp16_overflow 0
		.amdhsa_workgroup_processor_mode 1
		.amdhsa_memory_ordered 1
		.amdhsa_forward_progress 0
		.amdhsa_shared_vgpr_count 0
		.amdhsa_exception_fp_ieee_invalid_op 0
		.amdhsa_exception_fp_denorm_src 0
		.amdhsa_exception_fp_ieee_div_zero 0
		.amdhsa_exception_fp_ieee_overflow 0
		.amdhsa_exception_fp_ieee_underflow 0
		.amdhsa_exception_fp_ieee_inexact 0
		.amdhsa_exception_int_div_zero 0
	.end_amdhsa_kernel
	.section	.text._ZN7rocprim17ROCPRIM_400000_NS6detail17trampoline_kernelINS0_14default_configENS1_35adjacent_difference_config_selectorILb1EjEEZNS1_24adjacent_difference_implIS3_Lb1ELb0EPjS7_N6thrust23THRUST_200600_302600_NS5minusIjEEEE10hipError_tPvRmT2_T3_mT4_P12ihipStream_tbEUlT_E_NS1_11comp_targetILNS1_3genE3ELNS1_11target_archE908ELNS1_3gpuE7ELNS1_3repE0EEENS1_30default_config_static_selectorELNS0_4arch9wavefront6targetE0EEEvT1_,"axG",@progbits,_ZN7rocprim17ROCPRIM_400000_NS6detail17trampoline_kernelINS0_14default_configENS1_35adjacent_difference_config_selectorILb1EjEEZNS1_24adjacent_difference_implIS3_Lb1ELb0EPjS7_N6thrust23THRUST_200600_302600_NS5minusIjEEEE10hipError_tPvRmT2_T3_mT4_P12ihipStream_tbEUlT_E_NS1_11comp_targetILNS1_3genE3ELNS1_11target_archE908ELNS1_3gpuE7ELNS1_3repE0EEENS1_30default_config_static_selectorELNS0_4arch9wavefront6targetE0EEEvT1_,comdat
.Lfunc_end176:
	.size	_ZN7rocprim17ROCPRIM_400000_NS6detail17trampoline_kernelINS0_14default_configENS1_35adjacent_difference_config_selectorILb1EjEEZNS1_24adjacent_difference_implIS3_Lb1ELb0EPjS7_N6thrust23THRUST_200600_302600_NS5minusIjEEEE10hipError_tPvRmT2_T3_mT4_P12ihipStream_tbEUlT_E_NS1_11comp_targetILNS1_3genE3ELNS1_11target_archE908ELNS1_3gpuE7ELNS1_3repE0EEENS1_30default_config_static_selectorELNS0_4arch9wavefront6targetE0EEEvT1_, .Lfunc_end176-_ZN7rocprim17ROCPRIM_400000_NS6detail17trampoline_kernelINS0_14default_configENS1_35adjacent_difference_config_selectorILb1EjEEZNS1_24adjacent_difference_implIS3_Lb1ELb0EPjS7_N6thrust23THRUST_200600_302600_NS5minusIjEEEE10hipError_tPvRmT2_T3_mT4_P12ihipStream_tbEUlT_E_NS1_11comp_targetILNS1_3genE3ELNS1_11target_archE908ELNS1_3gpuE7ELNS1_3repE0EEENS1_30default_config_static_selectorELNS0_4arch9wavefront6targetE0EEEvT1_
                                        ; -- End function
	.section	.AMDGPU.csdata,"",@progbits
; Kernel info:
; codeLenInByte = 0
; NumSgprs: 0
; NumVgprs: 0
; ScratchSize: 0
; MemoryBound: 0
; FloatMode: 240
; IeeeMode: 1
; LDSByteSize: 0 bytes/workgroup (compile time only)
; SGPRBlocks: 0
; VGPRBlocks: 0
; NumSGPRsForWavesPerEU: 1
; NumVGPRsForWavesPerEU: 1
; Occupancy: 16
; WaveLimiterHint : 0
; COMPUTE_PGM_RSRC2:SCRATCH_EN: 0
; COMPUTE_PGM_RSRC2:USER_SGPR: 15
; COMPUTE_PGM_RSRC2:TRAP_HANDLER: 0
; COMPUTE_PGM_RSRC2:TGID_X_EN: 1
; COMPUTE_PGM_RSRC2:TGID_Y_EN: 0
; COMPUTE_PGM_RSRC2:TGID_Z_EN: 0
; COMPUTE_PGM_RSRC2:TIDIG_COMP_CNT: 0
	.section	.text._ZN7rocprim17ROCPRIM_400000_NS6detail17trampoline_kernelINS0_14default_configENS1_35adjacent_difference_config_selectorILb1EjEEZNS1_24adjacent_difference_implIS3_Lb1ELb0EPjS7_N6thrust23THRUST_200600_302600_NS5minusIjEEEE10hipError_tPvRmT2_T3_mT4_P12ihipStream_tbEUlT_E_NS1_11comp_targetILNS1_3genE2ELNS1_11target_archE906ELNS1_3gpuE6ELNS1_3repE0EEENS1_30default_config_static_selectorELNS0_4arch9wavefront6targetE0EEEvT1_,"axG",@progbits,_ZN7rocprim17ROCPRIM_400000_NS6detail17trampoline_kernelINS0_14default_configENS1_35adjacent_difference_config_selectorILb1EjEEZNS1_24adjacent_difference_implIS3_Lb1ELb0EPjS7_N6thrust23THRUST_200600_302600_NS5minusIjEEEE10hipError_tPvRmT2_T3_mT4_P12ihipStream_tbEUlT_E_NS1_11comp_targetILNS1_3genE2ELNS1_11target_archE906ELNS1_3gpuE6ELNS1_3repE0EEENS1_30default_config_static_selectorELNS0_4arch9wavefront6targetE0EEEvT1_,comdat
	.protected	_ZN7rocprim17ROCPRIM_400000_NS6detail17trampoline_kernelINS0_14default_configENS1_35adjacent_difference_config_selectorILb1EjEEZNS1_24adjacent_difference_implIS3_Lb1ELb0EPjS7_N6thrust23THRUST_200600_302600_NS5minusIjEEEE10hipError_tPvRmT2_T3_mT4_P12ihipStream_tbEUlT_E_NS1_11comp_targetILNS1_3genE2ELNS1_11target_archE906ELNS1_3gpuE6ELNS1_3repE0EEENS1_30default_config_static_selectorELNS0_4arch9wavefront6targetE0EEEvT1_ ; -- Begin function _ZN7rocprim17ROCPRIM_400000_NS6detail17trampoline_kernelINS0_14default_configENS1_35adjacent_difference_config_selectorILb1EjEEZNS1_24adjacent_difference_implIS3_Lb1ELb0EPjS7_N6thrust23THRUST_200600_302600_NS5minusIjEEEE10hipError_tPvRmT2_T3_mT4_P12ihipStream_tbEUlT_E_NS1_11comp_targetILNS1_3genE2ELNS1_11target_archE906ELNS1_3gpuE6ELNS1_3repE0EEENS1_30default_config_static_selectorELNS0_4arch9wavefront6targetE0EEEvT1_
	.globl	_ZN7rocprim17ROCPRIM_400000_NS6detail17trampoline_kernelINS0_14default_configENS1_35adjacent_difference_config_selectorILb1EjEEZNS1_24adjacent_difference_implIS3_Lb1ELb0EPjS7_N6thrust23THRUST_200600_302600_NS5minusIjEEEE10hipError_tPvRmT2_T3_mT4_P12ihipStream_tbEUlT_E_NS1_11comp_targetILNS1_3genE2ELNS1_11target_archE906ELNS1_3gpuE6ELNS1_3repE0EEENS1_30default_config_static_selectorELNS0_4arch9wavefront6targetE0EEEvT1_
	.p2align	8
	.type	_ZN7rocprim17ROCPRIM_400000_NS6detail17trampoline_kernelINS0_14default_configENS1_35adjacent_difference_config_selectorILb1EjEEZNS1_24adjacent_difference_implIS3_Lb1ELb0EPjS7_N6thrust23THRUST_200600_302600_NS5minusIjEEEE10hipError_tPvRmT2_T3_mT4_P12ihipStream_tbEUlT_E_NS1_11comp_targetILNS1_3genE2ELNS1_11target_archE906ELNS1_3gpuE6ELNS1_3repE0EEENS1_30default_config_static_selectorELNS0_4arch9wavefront6targetE0EEEvT1_,@function
_ZN7rocprim17ROCPRIM_400000_NS6detail17trampoline_kernelINS0_14default_configENS1_35adjacent_difference_config_selectorILb1EjEEZNS1_24adjacent_difference_implIS3_Lb1ELb0EPjS7_N6thrust23THRUST_200600_302600_NS5minusIjEEEE10hipError_tPvRmT2_T3_mT4_P12ihipStream_tbEUlT_E_NS1_11comp_targetILNS1_3genE2ELNS1_11target_archE906ELNS1_3gpuE6ELNS1_3repE0EEENS1_30default_config_static_selectorELNS0_4arch9wavefront6targetE0EEEvT1_: ; @_ZN7rocprim17ROCPRIM_400000_NS6detail17trampoline_kernelINS0_14default_configENS1_35adjacent_difference_config_selectorILb1EjEEZNS1_24adjacent_difference_implIS3_Lb1ELb0EPjS7_N6thrust23THRUST_200600_302600_NS5minusIjEEEE10hipError_tPvRmT2_T3_mT4_P12ihipStream_tbEUlT_E_NS1_11comp_targetILNS1_3genE2ELNS1_11target_archE906ELNS1_3gpuE6ELNS1_3repE0EEENS1_30default_config_static_selectorELNS0_4arch9wavefront6targetE0EEEvT1_
; %bb.0:
	.section	.rodata,"a",@progbits
	.p2align	6, 0x0
	.amdhsa_kernel _ZN7rocprim17ROCPRIM_400000_NS6detail17trampoline_kernelINS0_14default_configENS1_35adjacent_difference_config_selectorILb1EjEEZNS1_24adjacent_difference_implIS3_Lb1ELb0EPjS7_N6thrust23THRUST_200600_302600_NS5minusIjEEEE10hipError_tPvRmT2_T3_mT4_P12ihipStream_tbEUlT_E_NS1_11comp_targetILNS1_3genE2ELNS1_11target_archE906ELNS1_3gpuE6ELNS1_3repE0EEENS1_30default_config_static_selectorELNS0_4arch9wavefront6targetE0EEEvT1_
		.amdhsa_group_segment_fixed_size 0
		.amdhsa_private_segment_fixed_size 0
		.amdhsa_kernarg_size 56
		.amdhsa_user_sgpr_count 15
		.amdhsa_user_sgpr_dispatch_ptr 0
		.amdhsa_user_sgpr_queue_ptr 0
		.amdhsa_user_sgpr_kernarg_segment_ptr 1
		.amdhsa_user_sgpr_dispatch_id 0
		.amdhsa_user_sgpr_private_segment_size 0
		.amdhsa_wavefront_size32 1
		.amdhsa_uses_dynamic_stack 0
		.amdhsa_enable_private_segment 0
		.amdhsa_system_sgpr_workgroup_id_x 1
		.amdhsa_system_sgpr_workgroup_id_y 0
		.amdhsa_system_sgpr_workgroup_id_z 0
		.amdhsa_system_sgpr_workgroup_info 0
		.amdhsa_system_vgpr_workitem_id 0
		.amdhsa_next_free_vgpr 1
		.amdhsa_next_free_sgpr 1
		.amdhsa_reserve_vcc 0
		.amdhsa_float_round_mode_32 0
		.amdhsa_float_round_mode_16_64 0
		.amdhsa_float_denorm_mode_32 3
		.amdhsa_float_denorm_mode_16_64 3
		.amdhsa_dx10_clamp 1
		.amdhsa_ieee_mode 1
		.amdhsa_fp16_overflow 0
		.amdhsa_workgroup_processor_mode 1
		.amdhsa_memory_ordered 1
		.amdhsa_forward_progress 0
		.amdhsa_shared_vgpr_count 0
		.amdhsa_exception_fp_ieee_invalid_op 0
		.amdhsa_exception_fp_denorm_src 0
		.amdhsa_exception_fp_ieee_div_zero 0
		.amdhsa_exception_fp_ieee_overflow 0
		.amdhsa_exception_fp_ieee_underflow 0
		.amdhsa_exception_fp_ieee_inexact 0
		.amdhsa_exception_int_div_zero 0
	.end_amdhsa_kernel
	.section	.text._ZN7rocprim17ROCPRIM_400000_NS6detail17trampoline_kernelINS0_14default_configENS1_35adjacent_difference_config_selectorILb1EjEEZNS1_24adjacent_difference_implIS3_Lb1ELb0EPjS7_N6thrust23THRUST_200600_302600_NS5minusIjEEEE10hipError_tPvRmT2_T3_mT4_P12ihipStream_tbEUlT_E_NS1_11comp_targetILNS1_3genE2ELNS1_11target_archE906ELNS1_3gpuE6ELNS1_3repE0EEENS1_30default_config_static_selectorELNS0_4arch9wavefront6targetE0EEEvT1_,"axG",@progbits,_ZN7rocprim17ROCPRIM_400000_NS6detail17trampoline_kernelINS0_14default_configENS1_35adjacent_difference_config_selectorILb1EjEEZNS1_24adjacent_difference_implIS3_Lb1ELb0EPjS7_N6thrust23THRUST_200600_302600_NS5minusIjEEEE10hipError_tPvRmT2_T3_mT4_P12ihipStream_tbEUlT_E_NS1_11comp_targetILNS1_3genE2ELNS1_11target_archE906ELNS1_3gpuE6ELNS1_3repE0EEENS1_30default_config_static_selectorELNS0_4arch9wavefront6targetE0EEEvT1_,comdat
.Lfunc_end177:
	.size	_ZN7rocprim17ROCPRIM_400000_NS6detail17trampoline_kernelINS0_14default_configENS1_35adjacent_difference_config_selectorILb1EjEEZNS1_24adjacent_difference_implIS3_Lb1ELb0EPjS7_N6thrust23THRUST_200600_302600_NS5minusIjEEEE10hipError_tPvRmT2_T3_mT4_P12ihipStream_tbEUlT_E_NS1_11comp_targetILNS1_3genE2ELNS1_11target_archE906ELNS1_3gpuE6ELNS1_3repE0EEENS1_30default_config_static_selectorELNS0_4arch9wavefront6targetE0EEEvT1_, .Lfunc_end177-_ZN7rocprim17ROCPRIM_400000_NS6detail17trampoline_kernelINS0_14default_configENS1_35adjacent_difference_config_selectorILb1EjEEZNS1_24adjacent_difference_implIS3_Lb1ELb0EPjS7_N6thrust23THRUST_200600_302600_NS5minusIjEEEE10hipError_tPvRmT2_T3_mT4_P12ihipStream_tbEUlT_E_NS1_11comp_targetILNS1_3genE2ELNS1_11target_archE906ELNS1_3gpuE6ELNS1_3repE0EEENS1_30default_config_static_selectorELNS0_4arch9wavefront6targetE0EEEvT1_
                                        ; -- End function
	.section	.AMDGPU.csdata,"",@progbits
; Kernel info:
; codeLenInByte = 0
; NumSgprs: 0
; NumVgprs: 0
; ScratchSize: 0
; MemoryBound: 0
; FloatMode: 240
; IeeeMode: 1
; LDSByteSize: 0 bytes/workgroup (compile time only)
; SGPRBlocks: 0
; VGPRBlocks: 0
; NumSGPRsForWavesPerEU: 1
; NumVGPRsForWavesPerEU: 1
; Occupancy: 16
; WaveLimiterHint : 0
; COMPUTE_PGM_RSRC2:SCRATCH_EN: 0
; COMPUTE_PGM_RSRC2:USER_SGPR: 15
; COMPUTE_PGM_RSRC2:TRAP_HANDLER: 0
; COMPUTE_PGM_RSRC2:TGID_X_EN: 1
; COMPUTE_PGM_RSRC2:TGID_Y_EN: 0
; COMPUTE_PGM_RSRC2:TGID_Z_EN: 0
; COMPUTE_PGM_RSRC2:TIDIG_COMP_CNT: 0
	.section	.text._ZN7rocprim17ROCPRIM_400000_NS6detail17trampoline_kernelINS0_14default_configENS1_35adjacent_difference_config_selectorILb1EjEEZNS1_24adjacent_difference_implIS3_Lb1ELb0EPjS7_N6thrust23THRUST_200600_302600_NS5minusIjEEEE10hipError_tPvRmT2_T3_mT4_P12ihipStream_tbEUlT_E_NS1_11comp_targetILNS1_3genE9ELNS1_11target_archE1100ELNS1_3gpuE3ELNS1_3repE0EEENS1_30default_config_static_selectorELNS0_4arch9wavefront6targetE0EEEvT1_,"axG",@progbits,_ZN7rocprim17ROCPRIM_400000_NS6detail17trampoline_kernelINS0_14default_configENS1_35adjacent_difference_config_selectorILb1EjEEZNS1_24adjacent_difference_implIS3_Lb1ELb0EPjS7_N6thrust23THRUST_200600_302600_NS5minusIjEEEE10hipError_tPvRmT2_T3_mT4_P12ihipStream_tbEUlT_E_NS1_11comp_targetILNS1_3genE9ELNS1_11target_archE1100ELNS1_3gpuE3ELNS1_3repE0EEENS1_30default_config_static_selectorELNS0_4arch9wavefront6targetE0EEEvT1_,comdat
	.protected	_ZN7rocprim17ROCPRIM_400000_NS6detail17trampoline_kernelINS0_14default_configENS1_35adjacent_difference_config_selectorILb1EjEEZNS1_24adjacent_difference_implIS3_Lb1ELb0EPjS7_N6thrust23THRUST_200600_302600_NS5minusIjEEEE10hipError_tPvRmT2_T3_mT4_P12ihipStream_tbEUlT_E_NS1_11comp_targetILNS1_3genE9ELNS1_11target_archE1100ELNS1_3gpuE3ELNS1_3repE0EEENS1_30default_config_static_selectorELNS0_4arch9wavefront6targetE0EEEvT1_ ; -- Begin function _ZN7rocprim17ROCPRIM_400000_NS6detail17trampoline_kernelINS0_14default_configENS1_35adjacent_difference_config_selectorILb1EjEEZNS1_24adjacent_difference_implIS3_Lb1ELb0EPjS7_N6thrust23THRUST_200600_302600_NS5minusIjEEEE10hipError_tPvRmT2_T3_mT4_P12ihipStream_tbEUlT_E_NS1_11comp_targetILNS1_3genE9ELNS1_11target_archE1100ELNS1_3gpuE3ELNS1_3repE0EEENS1_30default_config_static_selectorELNS0_4arch9wavefront6targetE0EEEvT1_
	.globl	_ZN7rocprim17ROCPRIM_400000_NS6detail17trampoline_kernelINS0_14default_configENS1_35adjacent_difference_config_selectorILb1EjEEZNS1_24adjacent_difference_implIS3_Lb1ELb0EPjS7_N6thrust23THRUST_200600_302600_NS5minusIjEEEE10hipError_tPvRmT2_T3_mT4_P12ihipStream_tbEUlT_E_NS1_11comp_targetILNS1_3genE9ELNS1_11target_archE1100ELNS1_3gpuE3ELNS1_3repE0EEENS1_30default_config_static_selectorELNS0_4arch9wavefront6targetE0EEEvT1_
	.p2align	8
	.type	_ZN7rocprim17ROCPRIM_400000_NS6detail17trampoline_kernelINS0_14default_configENS1_35adjacent_difference_config_selectorILb1EjEEZNS1_24adjacent_difference_implIS3_Lb1ELb0EPjS7_N6thrust23THRUST_200600_302600_NS5minusIjEEEE10hipError_tPvRmT2_T3_mT4_P12ihipStream_tbEUlT_E_NS1_11comp_targetILNS1_3genE9ELNS1_11target_archE1100ELNS1_3gpuE3ELNS1_3repE0EEENS1_30default_config_static_selectorELNS0_4arch9wavefront6targetE0EEEvT1_,@function
_ZN7rocprim17ROCPRIM_400000_NS6detail17trampoline_kernelINS0_14default_configENS1_35adjacent_difference_config_selectorILb1EjEEZNS1_24adjacent_difference_implIS3_Lb1ELb0EPjS7_N6thrust23THRUST_200600_302600_NS5minusIjEEEE10hipError_tPvRmT2_T3_mT4_P12ihipStream_tbEUlT_E_NS1_11comp_targetILNS1_3genE9ELNS1_11target_archE1100ELNS1_3gpuE3ELNS1_3repE0EEENS1_30default_config_static_selectorELNS0_4arch9wavefront6targetE0EEEvT1_: ; @_ZN7rocprim17ROCPRIM_400000_NS6detail17trampoline_kernelINS0_14default_configENS1_35adjacent_difference_config_selectorILb1EjEEZNS1_24adjacent_difference_implIS3_Lb1ELb0EPjS7_N6thrust23THRUST_200600_302600_NS5minusIjEEEE10hipError_tPvRmT2_T3_mT4_P12ihipStream_tbEUlT_E_NS1_11comp_targetILNS1_3genE9ELNS1_11target_archE1100ELNS1_3gpuE3ELNS1_3repE0EEENS1_30default_config_static_selectorELNS0_4arch9wavefront6targetE0EEEvT1_
; %bb.0:
	s_load_b256 s[36:43], s[0:1], 0x0
	s_mov_b32 s2, 0x411a7a30
	s_mov_b32 s8, s15
	s_delay_alu instid0(SALU_CYCLE_1) | instskip(SKIP_2) | instid1(SALU_CYCLE_1)
	s_mul_i32 s30, s8, 0xe80
	s_waitcnt lgkmcnt(0)
	s_lshl_b64 s[34:35], s[38:39], 2
	s_add_u32 s14, s36, s34
	s_addc_u32 s15, s37, s35
	s_add_u32 s2, 0x76, s2
	s_addc_u32 s3, 0, 0
	v_add_co_u32 v1, s2, 0x20000000, s2
	s_delay_alu instid0(VALU_DEP_1) | instskip(SKIP_1) | instid1(VALU_DEP_1)
	s_cmp_lg_u32 s2, 0
	s_addc_u32 s3, s3, 0x11a7b9
	v_readfirstlane_b32 s2, v1
	s_mul_i32 s4, s3, 0xfffff180
	s_delay_alu instid0(VALU_DEP_1)
	s_mul_hi_u32 s5, s2, 0xfffff180
	s_mul_i32 s6, s2, 0xfffff180
	s_sub_i32 s5, s5, s2
	s_mul_hi_u32 s7, s2, s6
	s_add_i32 s5, s5, s4
	s_mul_hi_u32 s9, s3, s6
	s_mul_i32 s4, s3, s6
	s_mul_hi_u32 s6, s2, s5
	s_mul_i32 s2, s2, s5
	s_mul_hi_u32 s10, s3, s5
	s_add_u32 s2, s7, s2
	s_addc_u32 s6, 0, s6
	s_add_u32 s2, s2, s4
	s_mul_i32 s5, s3, s5
	s_addc_u32 s2, s6, s9
	s_addc_u32 s4, s10, 0
	s_add_u32 s2, s2, s5
	s_addc_u32 s4, 0, s4
	v_add_co_u32 v1, s2, v1, s2
	s_delay_alu instid0(VALU_DEP_1) | instskip(SKIP_1) | instid1(VALU_DEP_1)
	s_cmp_lg_u32 s2, 0
	s_addc_u32 s2, s3, s4
	v_readfirstlane_b32 s3, v1
	s_mul_i32 s5, s42, s2
	s_mul_hi_u32 s4, s42, s2
	s_mul_hi_u32 s6, s43, s2
	s_mul_i32 s2, s43, s2
	s_mul_hi_u32 s7, s42, s3
	s_mul_hi_u32 s9, s43, s3
	s_mul_i32 s3, s43, s3
	s_add_u32 s5, s7, s5
	s_addc_u32 s4, 0, s4
	s_add_u32 s3, s5, s3
	s_addc_u32 s3, s4, s9
	s_addc_u32 s4, s6, 0
	s_add_u32 s5, s3, s2
	s_addc_u32 s4, 0, s4
	s_mul_i32 s3, s5, 0xe80
	s_add_u32 s2, s5, 1
	v_sub_co_u32 v1, s3, s42, s3
	s_mul_hi_u32 s6, s5, 0xe80
	s_addc_u32 s7, s4, 0
	s_mul_i32 s9, s4, 0xe80
	s_delay_alu instid0(VALU_DEP_1)
	v_subrev_co_u32 v2, s10, 0xe80, v1
	s_add_u32 s11, s5, 2
	s_addc_u32 s12, s4, 0
	s_add_i32 s6, s6, s9
	s_cmp_lg_u32 s3, 0
	v_readfirstlane_b32 s3, v2
	s_subb_u32 s6, s43, s6
	s_cmp_lg_u32 s10, 0
	s_subb_u32 s9, s6, 0
	s_delay_alu instid0(VALU_DEP_1) | instskip(SKIP_4) | instid1(SALU_CYCLE_1)
	s_cmpk_gt_u32 s3, 0xe7f
	s_cselect_b32 s3, -1, 0
	s_cmp_eq_u32 s9, 0
	v_readfirstlane_b32 s9, v1
	s_cselect_b32 s3, s3, -1
	s_cmp_lg_u32 s3, 0
	s_cselect_b32 s10, s11, s2
	s_cselect_b32 s7, s12, s7
	s_cmpk_gt_u32 s9, 0xe7f
	s_mov_b32 s12, -1
	s_cselect_b32 s2, -1, 0
	s_cmp_eq_u32 s6, 0
	s_cselect_b32 s2, s2, -1
	s_delay_alu instid0(SALU_CYCLE_1)
	s_cmp_lg_u32 s2, 0
	s_load_b128 s[0:3], s[0:1], 0x28
	s_cselect_b32 s6, s7, s4
	s_cselect_b32 s7, s10, s5
	s_mul_i32 s4, s6, 0xe80
	s_mul_hi_u32 s5, s7, 0xe80
	s_mul_i32 s9, s7, 0xe80
	s_add_i32 s5, s5, s4
	s_sub_u32 s4, s42, s9
	s_subb_u32 s5, s43, s5
	s_mov_b32 s9, 0
	s_cmp_lg_u64 s[4:5], 0
	s_cselect_b32 s4, -1, 0
	s_delay_alu instid0(SALU_CYCLE_1) | instskip(NEXT) | instid1(VALU_DEP_1)
	v_cndmask_b32_e64 v1, 0, 1, s4
	v_readfirstlane_b32 s4, v1
	s_delay_alu instid0(VALU_DEP_1)
	s_add_u32 s4, s7, s4
	s_addc_u32 s5, s6, 0
	s_waitcnt lgkmcnt(0)
	s_add_u32 s6, s2, s8
	s_addc_u32 s7, s3, 0
	s_add_u32 s10, s4, -1
	s_addc_u32 s11, s5, -1
	s_mul_i32 s29, s10, 0xfffff180
	v_cmp_ge_u64_e64 s33, s[6:7], s[10:11]
	s_delay_alu instid0(VALU_DEP_1)
	s_and_b32 vcc_lo, exec_lo, s33
	s_cbranch_vccz .LBB178_60
; %bb.1:
	s_mov_b32 s31, s9
	s_add_i32 s16, s29, s42
	s_lshl_b64 s[12:13], s[30:31], 2
	s_mov_b32 s17, exec_lo
	s_add_u32 s12, s14, s12
	s_addc_u32 s13, s15, s13
                                        ; implicit-def: $vgpr1
	v_cmpx_gt_u32_e64 s16, v0
	s_cbranch_execz .LBB178_3
; %bb.2:
	v_lshlrev_b32_e32 v1, 2, v0
	global_load_b32 v1, v1, s[12:13]
.LBB178_3:
	s_or_b32 exec_lo, exec_lo, s17
	v_or_b32_e32 v2, 0x80, v0
	s_delay_alu instid0(VALU_DEP_1)
	v_cmp_gt_u32_e32 vcc_lo, s16, v2
                                        ; implicit-def: $vgpr2
	s_and_saveexec_b32 s17, vcc_lo
	s_cbranch_execz .LBB178_5
; %bb.4:
	v_lshlrev_b32_e32 v2, 2, v0
	global_load_b32 v2, v2, s[12:13] offset:512
.LBB178_5:
	s_or_b32 exec_lo, exec_lo, s17
	v_or_b32_e32 v3, 0x100, v0
	s_delay_alu instid0(VALU_DEP_1)
	v_cmp_gt_u32_e32 vcc_lo, s16, v3
                                        ; implicit-def: $vgpr3
	s_and_saveexec_b32 s17, vcc_lo
	s_cbranch_execz .LBB178_7
; %bb.6:
	v_lshlrev_b32_e32 v3, 2, v0
	global_load_b32 v3, v3, s[12:13] offset:1024
.LBB178_7:
	s_or_b32 exec_lo, exec_lo, s17
	v_or_b32_e32 v4, 0x180, v0
	s_delay_alu instid0(VALU_DEP_1)
	v_cmp_gt_u32_e32 vcc_lo, s16, v4
                                        ; implicit-def: $vgpr4
	s_and_saveexec_b32 s17, vcc_lo
	s_cbranch_execz .LBB178_9
; %bb.8:
	v_lshlrev_b32_e32 v4, 2, v0
	global_load_b32 v4, v4, s[12:13] offset:1536
.LBB178_9:
	s_or_b32 exec_lo, exec_lo, s17
	v_or_b32_e32 v5, 0x200, v0
	s_delay_alu instid0(VALU_DEP_1)
	v_cmp_gt_u32_e32 vcc_lo, s16, v5
                                        ; implicit-def: $vgpr5
	s_and_saveexec_b32 s17, vcc_lo
	s_cbranch_execz .LBB178_11
; %bb.10:
	v_lshlrev_b32_e32 v5, 2, v0
	global_load_b32 v5, v5, s[12:13] offset:2048
.LBB178_11:
	s_or_b32 exec_lo, exec_lo, s17
	v_or_b32_e32 v6, 0x280, v0
	s_delay_alu instid0(VALU_DEP_1)
	v_cmp_gt_u32_e32 vcc_lo, s16, v6
                                        ; implicit-def: $vgpr6
	s_and_saveexec_b32 s17, vcc_lo
	s_cbranch_execz .LBB178_13
; %bb.12:
	v_lshlrev_b32_e32 v6, 2, v0
	global_load_b32 v6, v6, s[12:13] offset:2560
.LBB178_13:
	s_or_b32 exec_lo, exec_lo, s17
	v_or_b32_e32 v7, 0x300, v0
	s_delay_alu instid0(VALU_DEP_1)
	v_cmp_gt_u32_e32 vcc_lo, s16, v7
                                        ; implicit-def: $vgpr7
	s_and_saveexec_b32 s17, vcc_lo
	s_cbranch_execz .LBB178_15
; %bb.14:
	v_lshlrev_b32_e32 v7, 2, v0
	global_load_b32 v7, v7, s[12:13] offset:3072
.LBB178_15:
	s_or_b32 exec_lo, exec_lo, s17
	v_or_b32_e32 v8, 0x380, v0
	s_delay_alu instid0(VALU_DEP_1)
	v_cmp_gt_u32_e32 vcc_lo, s16, v8
                                        ; implicit-def: $vgpr8
	s_and_saveexec_b32 s17, vcc_lo
	s_cbranch_execz .LBB178_17
; %bb.16:
	v_lshlrev_b32_e32 v8, 2, v0
	global_load_b32 v8, v8, s[12:13] offset:3584
.LBB178_17:
	s_or_b32 exec_lo, exec_lo, s17
	v_or_b32_e32 v10, 0x400, v0
	s_mov_b32 s17, exec_lo
                                        ; implicit-def: $vgpr9
	s_delay_alu instid0(VALU_DEP_1)
	v_cmpx_gt_u32_e64 s16, v10
	s_cbranch_execz .LBB178_19
; %bb.18:
	v_lshlrev_b32_e32 v9, 2, v10
	global_load_b32 v9, v9, s[12:13]
.LBB178_19:
	s_or_b32 exec_lo, exec_lo, s17
	v_or_b32_e32 v11, 0x480, v0
	s_mov_b32 s17, exec_lo
                                        ; implicit-def: $vgpr10
	s_delay_alu instid0(VALU_DEP_1)
	v_cmpx_gt_u32_e64 s16, v11
	s_cbranch_execz .LBB178_21
; %bb.20:
	v_lshlrev_b32_e32 v10, 2, v11
	global_load_b32 v10, v10, s[12:13]
.LBB178_21:
	s_or_b32 exec_lo, exec_lo, s17
	v_or_b32_e32 v12, 0x500, v0
	s_mov_b32 s17, exec_lo
                                        ; implicit-def: $vgpr11
	s_delay_alu instid0(VALU_DEP_1)
	v_cmpx_gt_u32_e64 s16, v12
	s_cbranch_execz .LBB178_23
; %bb.22:
	v_lshlrev_b32_e32 v11, 2, v12
	global_load_b32 v11, v11, s[12:13]
.LBB178_23:
	s_or_b32 exec_lo, exec_lo, s17
	v_or_b32_e32 v13, 0x580, v0
	s_mov_b32 s17, exec_lo
                                        ; implicit-def: $vgpr12
	s_delay_alu instid0(VALU_DEP_1)
	v_cmpx_gt_u32_e64 s16, v13
	s_cbranch_execz .LBB178_25
; %bb.24:
	v_lshlrev_b32_e32 v12, 2, v13
	global_load_b32 v12, v12, s[12:13]
.LBB178_25:
	s_or_b32 exec_lo, exec_lo, s17
	v_or_b32_e32 v14, 0x600, v0
	s_mov_b32 s17, exec_lo
                                        ; implicit-def: $vgpr13
	s_delay_alu instid0(VALU_DEP_1)
	v_cmpx_gt_u32_e64 s16, v14
	s_cbranch_execz .LBB178_27
; %bb.26:
	v_lshlrev_b32_e32 v13, 2, v14
	global_load_b32 v13, v13, s[12:13]
.LBB178_27:
	s_or_b32 exec_lo, exec_lo, s17
	v_or_b32_e32 v15, 0x680, v0
	s_mov_b32 s17, exec_lo
                                        ; implicit-def: $vgpr14
	s_delay_alu instid0(VALU_DEP_1)
	v_cmpx_gt_u32_e64 s16, v15
	s_cbranch_execz .LBB178_29
; %bb.28:
	v_lshlrev_b32_e32 v14, 2, v15
	global_load_b32 v14, v14, s[12:13]
.LBB178_29:
	s_or_b32 exec_lo, exec_lo, s17
	v_or_b32_e32 v16, 0x700, v0
	s_mov_b32 s17, exec_lo
                                        ; implicit-def: $vgpr15
	s_delay_alu instid0(VALU_DEP_1)
	v_cmpx_gt_u32_e64 s16, v16
	s_cbranch_execz .LBB178_31
; %bb.30:
	v_lshlrev_b32_e32 v15, 2, v16
	global_load_b32 v15, v15, s[12:13]
.LBB178_31:
	s_or_b32 exec_lo, exec_lo, s17
	v_or_b32_e32 v17, 0x780, v0
	s_mov_b32 s17, exec_lo
                                        ; implicit-def: $vgpr16
	s_delay_alu instid0(VALU_DEP_1)
	v_cmpx_gt_u32_e64 s16, v17
	s_cbranch_execz .LBB178_33
; %bb.32:
	v_lshlrev_b32_e32 v16, 2, v17
	global_load_b32 v16, v16, s[12:13]
.LBB178_33:
	s_or_b32 exec_lo, exec_lo, s17
	v_or_b32_e32 v18, 0x800, v0
	s_mov_b32 s17, exec_lo
                                        ; implicit-def: $vgpr17
	s_delay_alu instid0(VALU_DEP_1)
	v_cmpx_gt_u32_e64 s16, v18
	s_cbranch_execz .LBB178_35
; %bb.34:
	v_lshlrev_b32_e32 v17, 2, v18
	global_load_b32 v17, v17, s[12:13]
.LBB178_35:
	s_or_b32 exec_lo, exec_lo, s17
	v_or_b32_e32 v19, 0x880, v0
	s_mov_b32 s17, exec_lo
                                        ; implicit-def: $vgpr18
	s_delay_alu instid0(VALU_DEP_1)
	v_cmpx_gt_u32_e64 s16, v19
	s_cbranch_execz .LBB178_37
; %bb.36:
	v_lshlrev_b32_e32 v18, 2, v19
	global_load_b32 v18, v18, s[12:13]
.LBB178_37:
	s_or_b32 exec_lo, exec_lo, s17
	v_or_b32_e32 v20, 0x900, v0
	s_mov_b32 s17, exec_lo
                                        ; implicit-def: $vgpr19
	s_delay_alu instid0(VALU_DEP_1)
	v_cmpx_gt_u32_e64 s16, v20
	s_cbranch_execz .LBB178_39
; %bb.38:
	v_lshlrev_b32_e32 v19, 2, v20
	global_load_b32 v19, v19, s[12:13]
.LBB178_39:
	s_or_b32 exec_lo, exec_lo, s17
	v_or_b32_e32 v21, 0x980, v0
	s_mov_b32 s17, exec_lo
                                        ; implicit-def: $vgpr20
	s_delay_alu instid0(VALU_DEP_1)
	v_cmpx_gt_u32_e64 s16, v21
	s_cbranch_execz .LBB178_41
; %bb.40:
	v_lshlrev_b32_e32 v20, 2, v21
	global_load_b32 v20, v20, s[12:13]
.LBB178_41:
	s_or_b32 exec_lo, exec_lo, s17
	v_or_b32_e32 v22, 0xa00, v0
	s_mov_b32 s17, exec_lo
                                        ; implicit-def: $vgpr21
	s_delay_alu instid0(VALU_DEP_1)
	v_cmpx_gt_u32_e64 s16, v22
	s_cbranch_execz .LBB178_43
; %bb.42:
	v_lshlrev_b32_e32 v21, 2, v22
	global_load_b32 v21, v21, s[12:13]
.LBB178_43:
	s_or_b32 exec_lo, exec_lo, s17
	v_or_b32_e32 v23, 0xa80, v0
	s_mov_b32 s17, exec_lo
                                        ; implicit-def: $vgpr22
	s_delay_alu instid0(VALU_DEP_1)
	v_cmpx_gt_u32_e64 s16, v23
	s_cbranch_execz .LBB178_45
; %bb.44:
	v_lshlrev_b32_e32 v22, 2, v23
	global_load_b32 v22, v22, s[12:13]
.LBB178_45:
	s_or_b32 exec_lo, exec_lo, s17
	v_or_b32_e32 v24, 0xb00, v0
	s_mov_b32 s17, exec_lo
                                        ; implicit-def: $vgpr23
	s_delay_alu instid0(VALU_DEP_1)
	v_cmpx_gt_u32_e64 s16, v24
	s_cbranch_execz .LBB178_47
; %bb.46:
	v_lshlrev_b32_e32 v23, 2, v24
	global_load_b32 v23, v23, s[12:13]
.LBB178_47:
	s_or_b32 exec_lo, exec_lo, s17
	v_or_b32_e32 v25, 0xb80, v0
	s_mov_b32 s17, exec_lo
                                        ; implicit-def: $vgpr24
	s_delay_alu instid0(VALU_DEP_1)
	v_cmpx_gt_u32_e64 s16, v25
	s_cbranch_execz .LBB178_49
; %bb.48:
	v_lshlrev_b32_e32 v24, 2, v25
	global_load_b32 v24, v24, s[12:13]
.LBB178_49:
	s_or_b32 exec_lo, exec_lo, s17
	v_or_b32_e32 v26, 0xc00, v0
	s_mov_b32 s17, exec_lo
                                        ; implicit-def: $vgpr25
	s_delay_alu instid0(VALU_DEP_1)
	v_cmpx_gt_u32_e64 s16, v26
	s_cbranch_execz .LBB178_51
; %bb.50:
	v_lshlrev_b32_e32 v25, 2, v26
	global_load_b32 v25, v25, s[12:13]
.LBB178_51:
	s_or_b32 exec_lo, exec_lo, s17
	v_or_b32_e32 v27, 0xc80, v0
	s_mov_b32 s17, exec_lo
                                        ; implicit-def: $vgpr26
	s_delay_alu instid0(VALU_DEP_1)
	v_cmpx_gt_u32_e64 s16, v27
	s_cbranch_execz .LBB178_53
; %bb.52:
	v_lshlrev_b32_e32 v26, 2, v27
	global_load_b32 v26, v26, s[12:13]
.LBB178_53:
	s_or_b32 exec_lo, exec_lo, s17
	v_or_b32_e32 v28, 0xd00, v0
	s_mov_b32 s17, exec_lo
                                        ; implicit-def: $vgpr27
	s_delay_alu instid0(VALU_DEP_1)
	v_cmpx_gt_u32_e64 s16, v28
	s_cbranch_execz .LBB178_55
; %bb.54:
	v_lshlrev_b32_e32 v27, 2, v28
	global_load_b32 v27, v27, s[12:13]
.LBB178_55:
	s_or_b32 exec_lo, exec_lo, s17
	v_or_b32_e32 v29, 0xd80, v0
	s_mov_b32 s17, exec_lo
                                        ; implicit-def: $vgpr28
	s_delay_alu instid0(VALU_DEP_1)
	v_cmpx_gt_u32_e64 s16, v29
	s_cbranch_execz .LBB178_57
; %bb.56:
	v_lshlrev_b32_e32 v28, 2, v29
	global_load_b32 v28, v28, s[12:13]
.LBB178_57:
	s_or_b32 exec_lo, exec_lo, s17
	v_or_b32_e32 v30, 0xe00, v0
                                        ; implicit-def: $vgpr29
	s_delay_alu instid0(VALU_DEP_1)
	v_cmp_gt_u32_e32 vcc_lo, s16, v30
	s_and_saveexec_b32 s16, vcc_lo
	s_cbranch_execz .LBB178_59
; %bb.58:
	v_lshlrev_b32_e32 v29, 2, v30
	global_load_b32 v29, v29, s[12:13]
.LBB178_59:
	s_or_b32 exec_lo, exec_lo, s16
	v_lshlrev_b32_e32 v30, 2, v0
	s_mov_b32 s12, 0
	s_waitcnt vmcnt(0)
	ds_store_2addr_stride64_b32 v30, v1, v2 offset1:2
	ds_store_2addr_stride64_b32 v30, v3, v4 offset0:4 offset1:6
	ds_store_2addr_stride64_b32 v30, v5, v6 offset0:8 offset1:10
	;; [unrolled: 1-line block ×13, first 2 shown]
	ds_store_b32 v30, v29 offset:14336
	s_waitcnt lgkmcnt(0)
	s_barrier
.LBB178_60:
	v_lshlrev_b32_e32 v31, 2, v0
	s_and_b32 vcc_lo, exec_lo, s12
	s_cbranch_vccz .LBB178_62
; %bb.61:
	s_mov_b32 s31, 0
	s_delay_alu instid0(SALU_CYCLE_1) | instskip(NEXT) | instid1(SALU_CYCLE_1)
	s_lshl_b64 s[12:13], s[30:31], 2
	s_add_u32 s12, s14, s12
	s_addc_u32 s13, s15, s13
	v_add_co_u32 v7, s14, s12, v31
	s_delay_alu instid0(VALU_DEP_1)
	v_add_co_ci_u32_e64 v8, null, s13, 0, s14
	s_clause 0x6
	global_load_b32 v9, v31, s[12:13] offset:512
	global_load_b32 v10, v31, s[12:13] offset:1024
	;; [unrolled: 1-line block ×7, first 2 shown]
	v_add_co_u32 v1, vcc_lo, v7, 0x2000
	v_add_co_ci_u32_e32 v2, vcc_lo, 0, v8, vcc_lo
	v_add_co_u32 v3, vcc_lo, 0x1000, v7
	v_add_co_ci_u32_e32 v4, vcc_lo, 0, v8, vcc_lo
	;; [unrolled: 2-line block ×3, first 2 shown]
	s_clause 0xa
	global_load_b32 v16, v[1:2], off offset:-4096
	global_load_b32 v17, v31, s[12:13]
	global_load_b32 v18, v[1:2], off
	global_load_b32 v19, v[3:4], off offset:512
	global_load_b32 v20, v[3:4], off offset:1024
	;; [unrolled: 1-line block ×8, first 2 shown]
	v_add_co_u32 v1, vcc_lo, 0x3000, v7
	v_add_co_ci_u32_e32 v2, vcc_lo, 0, v8, vcc_lo
	s_clause 0xa
	global_load_b32 v7, v[5:6], off offset:1024
	global_load_b32 v8, v[5:6], off offset:1536
	;; [unrolled: 1-line block ×6, first 2 shown]
	global_load_b32 v6, v[1:2], off
	global_load_b32 v28, v[1:2], off offset:512
	global_load_b32 v29, v[1:2], off offset:1024
	;; [unrolled: 1-line block ×4, first 2 shown]
	s_waitcnt vmcnt(20)
	ds_store_2addr_stride64_b32 v31, v17, v9 offset1:2
	ds_store_2addr_stride64_b32 v31, v10, v11 offset0:4 offset1:6
	ds_store_2addr_stride64_b32 v31, v12, v13 offset0:8 offset1:10
	;; [unrolled: 1-line block ×3, first 2 shown]
	s_waitcnt vmcnt(18)
	ds_store_2addr_stride64_b32 v31, v16, v19 offset0:16 offset1:18
	s_waitcnt vmcnt(16)
	ds_store_2addr_stride64_b32 v31, v20, v21 offset0:20 offset1:22
	;; [unrolled: 2-line block ×10, first 2 shown]
	s_waitcnt vmcnt(0)
	ds_store_b32 v31, v1 offset:14336
	s_waitcnt lgkmcnt(0)
	s_barrier
.LBB178_62:
	v_mul_u32_u24_e32 v1, 29, v0
	buffer_gl0_inv
	s_cmp_eq_u64 s[6:7], 0
	v_lshlrev_b32_e32 v27, 2, v1
	ds_load_b32 v29, v27 offset:112
	ds_load_2addr_b32 v[1:2], v27 offset0:26 offset1:27
	ds_load_2addr_b32 v[3:4], v27 offset0:24 offset1:25
	ds_load_2addr_b32 v[5:6], v27 offset1:1
	ds_load_2addr_b32 v[7:8], v27 offset0:2 offset1:3
	ds_load_2addr_b32 v[9:10], v27 offset0:4 offset1:5
	;; [unrolled: 1-line block ×11, first 2 shown]
	s_waitcnt lgkmcnt(0)
	s_barrier
	buffer_gl0_inv
	s_cbranch_scc1 .LBB178_67
; %bb.63:
	s_lshl_b64 s[2:3], s[2:3], 2
	s_delay_alu instid0(SALU_CYCLE_1) | instskip(SKIP_2) | instid1(SALU_CYCLE_1)
	s_add_u32 s2, s0, s2
	s_addc_u32 s3, s1, s3
	s_lshl_b64 s[0:1], s[8:9], 2
	s_add_u32 s0, s2, s0
	s_addc_u32 s1, s3, s1
	s_add_u32 s0, s0, -4
	s_addc_u32 s1, s1, -1
	s_cmp_eq_u64 s[6:7], s[10:11]
	s_load_b32 s0, s[0:1], 0x0
	s_cbranch_scc1 .LBB178_68
; %bb.64:
	s_waitcnt lgkmcnt(0)
	v_mov_b32_e32 v30, s0
	s_mov_b32 s1, 0
	s_mov_b32 s2, exec_lo
	ds_store_b32 v31, v29
	s_waitcnt lgkmcnt(0)
	s_barrier
	buffer_gl0_inv
	v_cmpx_ne_u32_e32 0, v0
	s_cbranch_execz .LBB178_66
; %bb.65:
	v_add_nc_u32_e32 v30, -4, v31
	ds_load_b32 v30, v30
.LBB178_66:
	s_or_b32 exec_lo, exec_lo, s2
	s_waitcnt lgkmcnt(0)
	v_sub_nc_u32_e32 v32, v5, v30
	s_branch .LBB178_69
.LBB178_67:
                                        ; implicit-def: $vgpr32
                                        ; implicit-def: $vgpr33
                                        ; implicit-def: $vgpr34
                                        ; implicit-def: $vgpr35
                                        ; implicit-def: $vgpr36
                                        ; implicit-def: $vgpr37
                                        ; implicit-def: $vgpr38
                                        ; implicit-def: $vgpr39
                                        ; implicit-def: $vgpr40
                                        ; implicit-def: $vgpr41
                                        ; implicit-def: $vgpr42
                                        ; implicit-def: $vgpr44
                                        ; implicit-def: $vgpr45
                                        ; implicit-def: $vgpr48
                                        ; implicit-def: $vgpr49
                                        ; implicit-def: $vgpr52
                                        ; implicit-def: $vgpr53
                                        ; implicit-def: $vgpr54
                                        ; implicit-def: $vgpr55
                                        ; implicit-def: $vgpr56
                                        ; implicit-def: $vgpr57
                                        ; implicit-def: $vgpr58
                                        ; implicit-def: $vgpr59
                                        ; implicit-def: $vgpr51
                                        ; implicit-def: $vgpr43
                                        ; implicit-def: $vgpr46
                                        ; implicit-def: $vgpr47
                                        ; implicit-def: $vgpr50
                                        ; implicit-def: $vgpr30
	s_branch .LBB178_74
.LBB178_68:
	s_mov_b32 s1, -1
                                        ; implicit-def: $vgpr32
.LBB178_69:
	v_dual_mov_b32 v33, v5 :: v_dual_mov_b32 v34, v6
	v_dual_mov_b32 v35, v7 :: v_dual_mov_b32 v36, v8
	;; [unrolled: 1-line block ×14, first 2 shown]
	s_and_b32 vcc_lo, exec_lo, s1
	s_cbranch_vccz .LBB178_73
; %bb.70:
	v_mul_u32_u24_e32 v32, 29, v0
	s_waitcnt lgkmcnt(0)
	v_mov_b32_e32 v33, s0
	s_mov_b32 s0, exec_lo
	ds_store_b32 v31, v29
	s_waitcnt lgkmcnt(0)
	s_barrier
	buffer_gl0_inv
	v_cmpx_ne_u32_e32 0, v0
	s_cbranch_execz .LBB178_72
; %bb.71:
	v_add_nc_u32_e32 v30, -4, v31
	ds_load_b32 v33, v30
.LBB178_72:
	s_or_b32 exec_lo, exec_lo, s0
	v_add_nc_u32_e32 v30, 28, v32
	s_mul_i32 s0, s6, 0xfffff180
	v_add_nc_u32_e32 v34, 27, v32
	s_add_i32 s0, s0, s42
	v_add_nc_u32_e32 v36, 24, v32
	v_cmp_gt_u32_e32 vcc_lo, s0, v30
	v_add_nc_u32_e32 v60, 2, v32
	v_add_nc_u32_e32 v61, 1, v32
	v_dual_cndmask_b32 v30, 0, v2 :: v_dual_add_nc_u32 v35, 26, v32
	v_cmp_gt_u32_e32 vcc_lo, s0, v34
	v_add_nc_u32_e32 v34, 25, v32
	v_cndmask_b32_e32 v50, 0, v1, vcc_lo
	s_delay_alu instid0(VALU_DEP_4) | instskip(SKIP_1) | instid1(VALU_DEP_4)
	v_cmp_gt_u32_e32 vcc_lo, s0, v35
	v_cndmask_b32_e32 v47, 0, v4, vcc_lo
	v_cmp_gt_u32_e32 vcc_lo, s0, v34
	v_add_nc_u32_e32 v35, 23, v32
	v_add_nc_u32_e32 v34, 22, v32
	v_cndmask_b32_e32 v46, 0, v3, vcc_lo
	v_cmp_gt_u32_e32 vcc_lo, s0, v36
	v_add_nc_u32_e32 v36, 20, v32
	v_cndmask_b32_e32 v43, 0, v28, vcc_lo
	v_cmp_gt_u32_e32 vcc_lo, s0, v35
	v_add_nc_u32_e32 v35, 21, v32
	v_cndmask_b32_e32 v51, 0, v27, vcc_lo
	v_cmp_gt_u32_e32 vcc_lo, s0, v34
	v_dual_cndmask_b32 v59, 0, v26 :: v_dual_add_nc_u32 v34, 19, v32
	s_delay_alu instid0(VALU_DEP_4)
	v_cmp_gt_u32_e32 vcc_lo, s0, v35
	v_dual_cndmask_b32 v58, 0, v25 :: v_dual_add_nc_u32 v35, 18, v32
	v_cmp_gt_u32_e32 vcc_lo, s0, v36
	v_add_nc_u32_e32 v36, 16, v32
	v_cndmask_b32_e32 v57, 0, v24, vcc_lo
	v_cmp_gt_u32_e32 vcc_lo, s0, v34
	v_add_nc_u32_e32 v34, 17, v32
	v_cndmask_b32_e32 v56, 0, v23, vcc_lo
	;; [unrolled: 3-line block ×5, first 2 shown]
	v_cmp_gt_u32_e32 vcc_lo, s0, v35
	v_dual_cndmask_b32 v52, 0, v19 :: v_dual_add_nc_u32 v35, 13, v32
	v_cmp_gt_u32_e32 vcc_lo, s0, v34
	v_dual_cndmask_b32 v49, 0, v18 :: v_dual_add_nc_u32 v34, 11, v32
	s_delay_alu instid0(VALU_DEP_3)
	v_cmp_gt_u32_e32 vcc_lo, s0, v35
	v_dual_cndmask_b32 v48, 0, v17 :: v_dual_add_nc_u32 v35, 10, v32
	v_cmp_gt_u32_e32 vcc_lo, s0, v36
	v_add_nc_u32_e32 v36, 8, v32
	v_cndmask_b32_e32 v45, 0, v16, vcc_lo
	v_cmp_gt_u32_e32 vcc_lo, s0, v34
	v_add_nc_u32_e32 v34, 9, v32
	v_cndmask_b32_e32 v44, 0, v15, vcc_lo
	v_cmp_gt_u32_e32 vcc_lo, s0, v35
	v_dual_cndmask_b32 v42, 0, v14 :: v_dual_add_nc_u32 v35, 7, v32
	s_delay_alu instid0(VALU_DEP_4)
	v_cmp_gt_u32_e32 vcc_lo, s0, v34
	v_dual_cndmask_b32 v41, 0, v13 :: v_dual_add_nc_u32 v34, 6, v32
	v_cmp_gt_u32_e32 vcc_lo, s0, v36
	v_add_nc_u32_e32 v36, 4, v32
	v_cndmask_b32_e32 v40, 0, v12, vcc_lo
	v_cmp_gt_u32_e32 vcc_lo, s0, v35
	v_add_nc_u32_e32 v35, 5, v32
	v_cndmask_b32_e32 v39, 0, v11, vcc_lo
	;; [unrolled: 3-line block ×3, first 2 shown]
	v_cmp_gt_u32_e32 vcc_lo, s0, v35
	v_cndmask_b32_e32 v37, 0, v9, vcc_lo
	v_cmp_gt_u32_e32 vcc_lo, s0, v36
	v_cndmask_b32_e32 v36, 0, v8, vcc_lo
	;; [unrolled: 2-line block ×3, first 2 shown]
	v_cmp_gt_u32_e32 vcc_lo, s0, v32
	s_waitcnt lgkmcnt(0)
	v_cndmask_b32_e32 v32, 0, v33, vcc_lo
	v_cmp_gt_u32_e32 vcc_lo, s0, v60
	s_delay_alu instid0(VALU_DEP_2)
	v_sub_nc_u32_e32 v32, v5, v32
	v_cndmask_b32_e32 v34, 0, v6, vcc_lo
	v_cmp_gt_u32_e32 vcc_lo, s0, v61
	v_cndmask_b32_e32 v33, 0, v5, vcc_lo
.LBB178_73:
	s_waitcnt lgkmcnt(0)
	s_cbranch_execnz .LBB178_84
.LBB178_74:
	v_cmp_ne_u32_e32 vcc_lo, 0, v0
	s_cmp_eq_u64 s[4:5], 1
	s_cbranch_scc1 .LBB178_78
; %bb.75:
	v_mov_b32_e32 v32, v5
	s_mov_b32 s0, 0
	ds_store_b32 v31, v29
	s_waitcnt lgkmcnt(0)
	s_barrier
	buffer_gl0_inv
	s_and_saveexec_b32 s1, vcc_lo
	s_cbranch_execz .LBB178_77
; %bb.76:
	v_add_nc_u32_e32 v30, -4, v31
	ds_load_b32 v30, v30
	s_waitcnt lgkmcnt(0)
	v_sub_nc_u32_e32 v32, v5, v30
.LBB178_77:
	s_or_b32 exec_lo, exec_lo, s1
	s_branch .LBB178_79
.LBB178_78:
	s_mov_b32 s0, -1
                                        ; implicit-def: $vgpr32
.LBB178_79:
	v_dual_mov_b32 v34, v6 :: v_dual_mov_b32 v35, v7
	v_dual_mov_b32 v36, v8 :: v_dual_mov_b32 v37, v9
	;; [unrolled: 1-line block ×13, first 2 shown]
	v_mov_b32_e32 v30, v2
	s_and_not1_b32 vcc_lo, exec_lo, s0
	s_cbranch_vccnz .LBB178_83
; %bb.80:
	v_mad_u32_u24 v30, v0, 29, 28
	v_mad_u32_u24 v32, v0, 29, 27
	;; [unrolled: 1-line block ×4, first 2 shown]
	v_mul_u32_u24_e32 v33, 29, v0
	v_cmp_gt_u32_e32 vcc_lo, s42, v30
	v_mad_u32_u24 v30, v0, 29, 25
	v_cmp_gt_u32_e64 s0, s42, v32
	v_mad_u32_u24 v32, v0, 29, 24
	v_cmp_gt_u32_e64 s1, s42, v34
	;; [unrolled: 2-line block ×5, first 2 shown]
	v_cmp_gt_u32_e64 s5, s42, v35
	v_cmp_gt_u32_e64 s6, s42, v30
	v_mad_u32_u24 v30, v0, 29, 18
	v_cmp_gt_u32_e64 s7, s42, v32
	v_mad_u32_u24 v32, v0, 29, 16
	v_mad_u32_u24 v34, v0, 29, 19
	;; [unrolled: 1-line block ×3, first 2 shown]
	v_cmp_gt_u32_e64 s9, s42, v30
	v_mad_u32_u24 v30, v0, 29, 15
	v_cmp_gt_u32_e64 s11, s42, v32
	v_mad_u32_u24 v32, v0, 29, 13
	v_cmp_gt_u32_e64 s8, s42, v34
	v_cmp_gt_u32_e64 s10, s42, v35
	;; [unrolled: 1-line block ×3, first 2 shown]
	v_mad_u32_u24 v30, v0, 29, 11
	v_mad_u32_u24 v34, v0, 29, 14
	;; [unrolled: 1-line block ×3, first 2 shown]
	v_cmp_gt_u32_e64 s14, s42, v32
	v_mad_u32_u24 v32, v0, 29, 10
	v_cmp_gt_u32_e64 s16, s42, v30
	v_mad_u32_u24 v30, v0, 29, 8
	v_cmp_gt_u32_e64 s13, s42, v34
	v_cmp_gt_u32_e64 s15, s42, v35
	v_mad_u32_u24 v34, v0, 29, 9
	v_mad_u32_u24 v35, v0, 29, 7
	v_cmp_gt_u32_e64 s17, s42, v32
	v_mad_u32_u24 v32, v0, 29, 6
	v_cmp_gt_u32_e64 s19, s42, v30
	v_mad_u32_u24 v30, v0, 29, 5
	v_cmp_gt_u32_e64 s18, s42, v34
	v_cmp_gt_u32_e64 s20, s42, v35
	v_mad_u32_u24 v34, v0, 29, 4
	v_cmp_gt_u32_e64 s21, s42, v32
	v_mad_u32_u24 v32, v0, 29, 3
	v_mad_u32_u24 v35, v0, 29, 2
	v_cmp_gt_u32_e64 s22, s42, v30
	v_mad_u32_u24 v30, v0, 29, 1
	v_cmp_ne_u32_e64 s27, 0, v0
	v_cmp_gt_u32_e64 s28, s42, v33
	v_cmp_gt_u32_e64 s23, s42, v34
	;; [unrolled: 1-line block ×5, first 2 shown]
	v_mov_b32_e32 v32, v5
	s_and_b32 s28, s27, s28
	ds_store_b32 v31, v29
	s_waitcnt lgkmcnt(0)
	s_barrier
	buffer_gl0_inv
	s_and_saveexec_b32 s27, s28
	s_cbranch_execz .LBB178_82
; %bb.81:
	v_add_nc_u32_e32 v30, -4, v31
	ds_load_b32 v30, v30
	s_waitcnt lgkmcnt(0)
	v_sub_nc_u32_e32 v32, v5, v30
.LBB178_82:
	s_or_b32 exec_lo, exec_lo, s27
	v_cndmask_b32_e32 v30, 0, v2, vcc_lo
	v_cndmask_b32_e64 v50, 0, v1, s0
	v_cndmask_b32_e64 v47, 0, v4, s1
	;; [unrolled: 1-line block ×27, first 2 shown]
.LBB178_83:
	s_delay_alu instid0(VALU_DEP_1)
	v_mov_b32_e32 v33, v5
.LBB178_84:
	s_delay_alu instid0(VALU_DEP_1) | instskip(NEXT) | instid1(VALU_DEP_4)
	v_sub_nc_u32_e32 v33, v6, v33
	v_sub_nc_u32_e32 v34, v7, v34
	v_sub_nc_u32_e32 v35, v8, v35
	v_sub_nc_u32_e32 v36, v9, v36
	v_sub_nc_u32_e32 v37, v10, v37
	v_sub_nc_u32_e32 v38, v11, v38
	v_sub_nc_u32_e32 v39, v12, v39
	v_sub_nc_u32_e32 v40, v13, v40
	v_sub_nc_u32_e32 v41, v14, v41
	v_sub_nc_u32_e32 v42, v15, v42
	v_sub_nc_u32_e32 v44, v16, v44
	v_sub_nc_u32_e32 v45, v17, v45
	v_sub_nc_u32_e32 v48, v18, v48
	v_sub_nc_u32_e32 v49, v19, v49
	v_sub_nc_u32_e32 v52, v20, v52
	v_sub_nc_u32_e32 v53, v21, v53
	v_sub_nc_u32_e32 v54, v22, v54
	v_sub_nc_u32_e32 v55, v23, v55
	v_sub_nc_u32_e32 v56, v24, v56
	v_sub_nc_u32_e32 v57, v25, v57
	v_sub_nc_u32_e32 v58, v26, v58
	v_sub_nc_u32_e32 v59, v27, v59
	v_sub_nc_u32_e32 v60, v28, v51
	v_sub_nc_u32_e32 v43, v3, v43
	v_sub_nc_u32_e32 v46, v4, v46
	v_sub_nc_u32_e32 v47, v1, v47
	v_sub_nc_u32_e32 v50, v2, v50
	v_sub_nc_u32_e32 v51, v29, v30
	v_mul_u32_u24_e32 v61, 0x74, v0
	v_mul_i32_i24_e32 v62, 0xffffff90, v0
	s_add_u32 s1, s40, s34
	s_addc_u32 s0, s41, s35
	s_and_b32 vcc_lo, exec_lo, s33
	s_barrier
	buffer_gl0_inv
	s_cbranch_vccz .LBB178_142
; %bb.85:
	v_mad_u32_u24 v1, 0x74, v0, v62
	ds_store_2addr_b32 v61, v32, v33 offset1:1
	ds_store_2addr_b32 v61, v34, v35 offset0:2 offset1:3
	ds_store_2addr_b32 v61, v36, v37 offset0:4 offset1:5
	;; [unrolled: 1-line block ×13, first 2 shown]
	ds_store_b32 v61, v51 offset:112
	s_waitcnt lgkmcnt(0)
	s_barrier
	buffer_gl0_inv
	ds_load_2addr_stride64_b32 v[29:30], v1 offset0:2 offset1:4
	ds_load_2addr_stride64_b32 v[27:28], v1 offset0:6 offset1:8
	;; [unrolled: 1-line block ×14, first 2 shown]
	s_mov_b32 s31, 0
	s_add_i32 s29, s29, s42
	s_lshl_b64 s[2:3], s[30:31], 2
	s_delay_alu instid0(SALU_CYCLE_1) | instskip(SKIP_2) | instid1(VALU_DEP_1)
	s_add_u32 s2, s1, s2
	s_addc_u32 s3, s0, s3
	v_add_co_u32 v3, s2, s2, v31
	v_add_co_ci_u32_e64 v4, null, s3, 0, s2
	s_mov_b32 s2, exec_lo
	v_cmpx_gt_u32_e64 s29, v0
	s_cbranch_execz .LBB178_87
; %bb.86:
	v_add_nc_u32_e32 v63, v61, v62
	ds_load_b32 v63, v63
	s_waitcnt lgkmcnt(0)
	global_store_b32 v[3:4], v63, off
.LBB178_87:
	s_or_b32 exec_lo, exec_lo, s2
	v_or_b32_e32 v63, 0x80, v0
	s_mov_b32 s2, exec_lo
	s_delay_alu instid0(VALU_DEP_1)
	v_cmpx_gt_u32_e64 s29, v63
	s_cbranch_execz .LBB178_89
; %bb.88:
	s_waitcnt lgkmcnt(13)
	global_store_b32 v[3:4], v29, off offset:512
.LBB178_89:
	s_or_b32 exec_lo, exec_lo, s2
	s_waitcnt lgkmcnt(13)
	v_or_b32_e32 v29, 0x100, v0
	s_mov_b32 s2, exec_lo
	s_delay_alu instid0(VALU_DEP_1)
	v_cmpx_gt_u32_e64 s29, v29
	s_cbranch_execz .LBB178_91
; %bb.90:
	global_store_b32 v[3:4], v30, off offset:1024
.LBB178_91:
	s_or_b32 exec_lo, exec_lo, s2
	v_or_b32_e32 v29, 0x180, v0
	s_mov_b32 s2, exec_lo
	s_delay_alu instid0(VALU_DEP_1)
	v_cmpx_gt_u32_e64 s29, v29
	s_cbranch_execz .LBB178_93
; %bb.92:
	s_waitcnt lgkmcnt(12)
	global_store_b32 v[3:4], v27, off offset:1536
.LBB178_93:
	s_or_b32 exec_lo, exec_lo, s2
	s_waitcnt lgkmcnt(12)
	v_or_b32_e32 v27, 0x200, v0
	s_mov_b32 s2, exec_lo
	s_delay_alu instid0(VALU_DEP_1)
	v_cmpx_gt_u32_e64 s29, v27
	s_cbranch_execz .LBB178_95
; %bb.94:
	global_store_b32 v[3:4], v28, off offset:2048
.LBB178_95:
	;; [unrolled: 20-line block ×3, first 2 shown]
	s_or_b32 exec_lo, exec_lo, s2
	v_or_b32_e32 v25, 0x380, v0
	s_mov_b32 s2, exec_lo
	s_delay_alu instid0(VALU_DEP_1)
	v_cmpx_gt_u32_e64 s29, v25
	s_cbranch_execz .LBB178_101
; %bb.100:
	s_waitcnt lgkmcnt(10)
	global_store_b32 v[3:4], v23, off offset:3584
.LBB178_101:
	s_or_b32 exec_lo, exec_lo, s2
	s_waitcnt lgkmcnt(10)
	v_or_b32_e32 v23, 0x400, v0
	s_mov_b32 s2, exec_lo
	s_delay_alu instid0(VALU_DEP_1)
	v_cmpx_gt_u32_e64 s29, v23
	s_cbranch_execz .LBB178_103
; %bb.102:
	v_add_co_u32 v25, vcc_lo, 0x1000, v3
	v_add_co_ci_u32_e32 v26, vcc_lo, 0, v4, vcc_lo
	global_store_b32 v[25:26], v24, off
.LBB178_103:
	s_or_b32 exec_lo, exec_lo, s2
	v_or_b32_e32 v23, 0x480, v0
	s_mov_b32 s2, exec_lo
	s_delay_alu instid0(VALU_DEP_1)
	v_cmpx_gt_u32_e64 s29, v23
	s_cbranch_execz .LBB178_105
; %bb.104:
	v_add_co_u32 v23, vcc_lo, 0x1000, v3
	v_add_co_ci_u32_e32 v24, vcc_lo, 0, v4, vcc_lo
	s_waitcnt lgkmcnt(9)
	global_store_b32 v[23:24], v21, off offset:512
.LBB178_105:
	s_or_b32 exec_lo, exec_lo, s2
	s_waitcnt lgkmcnt(9)
	v_or_b32_e32 v21, 0x500, v0
	s_mov_b32 s2, exec_lo
	s_delay_alu instid0(VALU_DEP_1)
	v_cmpx_gt_u32_e64 s29, v21
	s_cbranch_execz .LBB178_107
; %bb.106:
	v_add_co_u32 v23, vcc_lo, 0x1000, v3
	v_add_co_ci_u32_e32 v24, vcc_lo, 0, v4, vcc_lo
	global_store_b32 v[23:24], v22, off offset:1024
.LBB178_107:
	s_or_b32 exec_lo, exec_lo, s2
	v_or_b32_e32 v21, 0x580, v0
	s_mov_b32 s2, exec_lo
	s_delay_alu instid0(VALU_DEP_1)
	v_cmpx_gt_u32_e64 s29, v21
	s_cbranch_execz .LBB178_109
; %bb.108:
	v_add_co_u32 v21, vcc_lo, 0x1000, v3
	v_add_co_ci_u32_e32 v22, vcc_lo, 0, v4, vcc_lo
	s_waitcnt lgkmcnt(8)
	global_store_b32 v[21:22], v19, off offset:1536
.LBB178_109:
	s_or_b32 exec_lo, exec_lo, s2
	s_waitcnt lgkmcnt(8)
	v_or_b32_e32 v19, 0x600, v0
	s_mov_b32 s2, exec_lo
	s_delay_alu instid0(VALU_DEP_1)
	v_cmpx_gt_u32_e64 s29, v19
	s_cbranch_execz .LBB178_111
; %bb.110:
	v_add_co_u32 v21, vcc_lo, 0x1000, v3
	v_add_co_ci_u32_e32 v22, vcc_lo, 0, v4, vcc_lo
	global_store_b32 v[21:22], v20, off offset:2048
.LBB178_111:
	;; [unrolled: 24-line block ×3, first 2 shown]
	s_or_b32 exec_lo, exec_lo, s2
	v_or_b32_e32 v17, 0x780, v0
	s_mov_b32 s2, exec_lo
	s_delay_alu instid0(VALU_DEP_1)
	v_cmpx_gt_u32_e64 s29, v17
	s_cbranch_execz .LBB178_117
; %bb.116:
	v_add_co_u32 v17, vcc_lo, 0x1000, v3
	v_add_co_ci_u32_e32 v18, vcc_lo, 0, v4, vcc_lo
	s_waitcnt lgkmcnt(6)
	global_store_b32 v[17:18], v15, off offset:3584
.LBB178_117:
	s_or_b32 exec_lo, exec_lo, s2
	s_waitcnt lgkmcnt(6)
	v_or_b32_e32 v15, 0x800, v0
	s_mov_b32 s2, exec_lo
	s_delay_alu instid0(VALU_DEP_1)
	v_cmpx_gt_u32_e64 s29, v15
	s_cbranch_execz .LBB178_119
; %bb.118:
	v_add_co_u32 v17, vcc_lo, 0x2000, v3
	v_add_co_ci_u32_e32 v18, vcc_lo, 0, v4, vcc_lo
	global_store_b32 v[17:18], v16, off
.LBB178_119:
	s_or_b32 exec_lo, exec_lo, s2
	v_or_b32_e32 v15, 0x880, v0
	s_mov_b32 s2, exec_lo
	s_delay_alu instid0(VALU_DEP_1)
	v_cmpx_gt_u32_e64 s29, v15
	s_cbranch_execz .LBB178_121
; %bb.120:
	v_add_co_u32 v15, vcc_lo, 0x2000, v3
	v_add_co_ci_u32_e32 v16, vcc_lo, 0, v4, vcc_lo
	s_waitcnt lgkmcnt(5)
	global_store_b32 v[15:16], v13, off offset:512
.LBB178_121:
	s_or_b32 exec_lo, exec_lo, s2
	s_waitcnt lgkmcnt(5)
	v_or_b32_e32 v13, 0x900, v0
	s_mov_b32 s2, exec_lo
	s_delay_alu instid0(VALU_DEP_1)
	v_cmpx_gt_u32_e64 s29, v13
	s_cbranch_execz .LBB178_123
; %bb.122:
	v_add_co_u32 v15, vcc_lo, 0x2000, v3
	v_add_co_ci_u32_e32 v16, vcc_lo, 0, v4, vcc_lo
	global_store_b32 v[15:16], v14, off offset:1024
.LBB178_123:
	s_or_b32 exec_lo, exec_lo, s2
	v_or_b32_e32 v13, 0x980, v0
	s_mov_b32 s2, exec_lo
	s_delay_alu instid0(VALU_DEP_1)
	v_cmpx_gt_u32_e64 s29, v13
	s_cbranch_execz .LBB178_125
; %bb.124:
	v_add_co_u32 v13, vcc_lo, 0x2000, v3
	v_add_co_ci_u32_e32 v14, vcc_lo, 0, v4, vcc_lo
	s_waitcnt lgkmcnt(4)
	global_store_b32 v[13:14], v11, off offset:1536
.LBB178_125:
	s_or_b32 exec_lo, exec_lo, s2
	s_waitcnt lgkmcnt(4)
	v_or_b32_e32 v11, 0xa00, v0
	s_mov_b32 s2, exec_lo
	s_delay_alu instid0(VALU_DEP_1)
	v_cmpx_gt_u32_e64 s29, v11
	s_cbranch_execz .LBB178_127
; %bb.126:
	v_add_co_u32 v13, vcc_lo, 0x2000, v3
	v_add_co_ci_u32_e32 v14, vcc_lo, 0, v4, vcc_lo
	global_store_b32 v[13:14], v12, off offset:2048
.LBB178_127:
	;; [unrolled: 24-line block ×3, first 2 shown]
	s_or_b32 exec_lo, exec_lo, s2
	v_or_b32_e32 v9, 0xb80, v0
	s_mov_b32 s2, exec_lo
	s_delay_alu instid0(VALU_DEP_1)
	v_cmpx_gt_u32_e64 s29, v9
	s_cbranch_execz .LBB178_133
; %bb.132:
	v_add_co_u32 v9, vcc_lo, 0x2000, v3
	v_add_co_ci_u32_e32 v10, vcc_lo, 0, v4, vcc_lo
	s_waitcnt lgkmcnt(2)
	global_store_b32 v[9:10], v7, off offset:3584
.LBB178_133:
	s_or_b32 exec_lo, exec_lo, s2
	s_waitcnt lgkmcnt(2)
	v_or_b32_e32 v7, 0xc00, v0
	s_mov_b32 s2, exec_lo
	s_delay_alu instid0(VALU_DEP_1)
	v_cmpx_gt_u32_e64 s29, v7
	s_cbranch_execz .LBB178_135
; %bb.134:
	v_add_co_u32 v9, vcc_lo, 0x3000, v3
	v_add_co_ci_u32_e32 v10, vcc_lo, 0, v4, vcc_lo
	global_store_b32 v[9:10], v8, off
.LBB178_135:
	s_or_b32 exec_lo, exec_lo, s2
	v_or_b32_e32 v7, 0xc80, v0
	s_mov_b32 s2, exec_lo
	s_delay_alu instid0(VALU_DEP_1)
	v_cmpx_gt_u32_e64 s29, v7
	s_cbranch_execz .LBB178_137
; %bb.136:
	v_add_co_u32 v7, vcc_lo, 0x3000, v3
	v_add_co_ci_u32_e32 v8, vcc_lo, 0, v4, vcc_lo
	s_waitcnt lgkmcnt(1)
	global_store_b32 v[7:8], v5, off offset:512
.LBB178_137:
	s_or_b32 exec_lo, exec_lo, s2
	s_waitcnt lgkmcnt(1)
	v_or_b32_e32 v5, 0xd00, v0
	s_mov_b32 s2, exec_lo
	s_delay_alu instid0(VALU_DEP_1)
	v_cmpx_gt_u32_e64 s29, v5
	s_cbranch_execz .LBB178_139
; %bb.138:
	v_add_co_u32 v7, vcc_lo, 0x3000, v3
	v_add_co_ci_u32_e32 v8, vcc_lo, 0, v4, vcc_lo
	global_store_b32 v[7:8], v6, off offset:1024
.LBB178_139:
	s_or_b32 exec_lo, exec_lo, s2
	v_or_b32_e32 v5, 0xd80, v0
	s_mov_b32 s2, exec_lo
	s_delay_alu instid0(VALU_DEP_1)
	v_cmpx_gt_u32_e64 s29, v5
	s_cbranch_execz .LBB178_141
; %bb.140:
	v_add_co_u32 v5, vcc_lo, 0x3000, v3
	v_add_co_ci_u32_e32 v6, vcc_lo, 0, v4, vcc_lo
	s_waitcnt lgkmcnt(0)
	global_store_b32 v[5:6], v1, off offset:1536
.LBB178_141:
	s_or_b32 exec_lo, exec_lo, s2
	s_waitcnt lgkmcnt(0)
	v_or_b32_e32 v1, 0xe00, v0
	s_delay_alu instid0(VALU_DEP_1)
	v_cmp_gt_u32_e64 s2, s29, v1
	s_branch .LBB178_144
.LBB178_142:
	s_mov_b32 s2, 0
                                        ; implicit-def: $vgpr2
                                        ; implicit-def: $vgpr3_vgpr4
	s_cbranch_execz .LBB178_144
; %bb.143:
	v_mad_u32_u24 v2, 0x74, v0, v62
	ds_store_2addr_b32 v61, v32, v33 offset1:1
	ds_store_2addr_b32 v61, v34, v35 offset0:2 offset1:3
	ds_store_2addr_b32 v61, v36, v37 offset0:4 offset1:5
	ds_store_2addr_b32 v61, v38, v39 offset0:6 offset1:7
	ds_store_2addr_b32 v61, v40, v41 offset0:8 offset1:9
	ds_store_2addr_b32 v61, v42, v44 offset0:10 offset1:11
	ds_store_2addr_b32 v61, v45, v48 offset0:12 offset1:13
	ds_store_2addr_b32 v61, v49, v52 offset0:14 offset1:15
	ds_store_2addr_b32 v61, v53, v54 offset0:16 offset1:17
	ds_store_2addr_b32 v61, v55, v56 offset0:18 offset1:19
	ds_store_2addr_b32 v61, v57, v58 offset0:20 offset1:21
	ds_store_2addr_b32 v61, v59, v60 offset0:22 offset1:23
	ds_store_2addr_b32 v61, v43, v46 offset0:24 offset1:25
	ds_store_2addr_b32 v61, v47, v50 offset0:26 offset1:27
	ds_store_b32 v61, v51 offset:112
	s_waitcnt lgkmcnt(0)
	s_waitcnt_vscnt null, 0x0
	s_barrier
	buffer_gl0_inv
	ds_load_2addr_stride64_b32 v[0:1], v2 offset1:2
	ds_load_2addr_stride64_b32 v[5:6], v2 offset0:4 offset1:6
	s_mov_b32 s31, 0
	ds_load_2addr_stride64_b32 v[7:8], v2 offset0:8 offset1:10
	ds_load_2addr_stride64_b32 v[9:10], v2 offset0:12 offset1:14
	;; [unrolled: 1-line block ×12, first 2 shown]
	ds_load_b32 v2, v2 offset:14336
	s_lshl_b64 s[4:5], s[30:31], 2
	s_delay_alu instid0(SALU_CYCLE_1) | instskip(SKIP_2) | instid1(VALU_DEP_1)
	s_add_u32 s4, s1, s4
	s_addc_u32 s5, s0, s5
	v_add_co_u32 v3, s0, s4, v31
	v_add_co_ci_u32_e64 v4, null, s5, 0, s0
	s_or_b32 s2, s2, exec_lo
	s_waitcnt lgkmcnt(14)
	global_store_b32 v31, v1, s[4:5] offset:512
	s_waitcnt lgkmcnt(13)
	s_clause 0x1
	global_store_b32 v31, v5, s[4:5] offset:1024
	global_store_b32 v31, v6, s[4:5] offset:1536
	s_waitcnt lgkmcnt(12)
	s_clause 0x1
	global_store_b32 v31, v7, s[4:5] offset:2048
	;; [unrolled: 4-line block ×3, first 2 shown]
	global_store_b32 v31, v10, s[4:5] offset:3584
	v_add_co_u32 v5, vcc_lo, v3, 0x2000
	v_add_co_ci_u32_e32 v6, vcc_lo, 0, v4, vcc_lo
	v_add_co_u32 v7, vcc_lo, 0x3000, v3
	v_add_co_ci_u32_e32 v8, vcc_lo, 0, v4, vcc_lo
	;; [unrolled: 2-line block ×3, first 2 shown]
	v_add_co_u32 v32, vcc_lo, 0x2000, v3
	s_waitcnt lgkmcnt(1)
	s_clause 0x1
	global_store_b32 v[7:8], v29, off offset:1024
	global_store_b32 v[5:6], v11, off offset:-4096
	v_add_co_ci_u32_e32 v33, vcc_lo, 0, v4, vcc_lo
	s_clause 0x12
	global_store_b32 v31, v0, s[4:5]
	global_store_b32 v[5:6], v19, off
	global_store_b32 v[9:10], v12, off offset:512
	global_store_b32 v[9:10], v13, off offset:1024
	;; [unrolled: 1-line block ×14, first 2 shown]
	global_store_b32 v[7:8], v27, off
	global_store_b32 v[7:8], v28, off offset:512
	global_store_b32 v[7:8], v30, off offset:1536
.LBB178_144:
	s_delay_alu instid0(VALU_DEP_1)
	s_and_saveexec_b32 s0, s2
	s_cbranch_execnz .LBB178_146
; %bb.145:
	s_nop 0
	s_sendmsg sendmsg(MSG_DEALLOC_VGPRS)
	s_endpgm
.LBB178_146:
	v_add_co_u32 v0, vcc_lo, 0x3000, v3
	v_add_co_ci_u32_e32 v1, vcc_lo, 0, v4, vcc_lo
	s_waitcnt lgkmcnt(0)
	global_store_b32 v[0:1], v2, off offset:2048
	s_nop 0
	s_sendmsg sendmsg(MSG_DEALLOC_VGPRS)
	s_endpgm
	.section	.rodata,"a",@progbits
	.p2align	6, 0x0
	.amdhsa_kernel _ZN7rocprim17ROCPRIM_400000_NS6detail17trampoline_kernelINS0_14default_configENS1_35adjacent_difference_config_selectorILb1EjEEZNS1_24adjacent_difference_implIS3_Lb1ELb0EPjS7_N6thrust23THRUST_200600_302600_NS5minusIjEEEE10hipError_tPvRmT2_T3_mT4_P12ihipStream_tbEUlT_E_NS1_11comp_targetILNS1_3genE9ELNS1_11target_archE1100ELNS1_3gpuE3ELNS1_3repE0EEENS1_30default_config_static_selectorELNS0_4arch9wavefront6targetE0EEEvT1_
		.amdhsa_group_segment_fixed_size 14848
		.amdhsa_private_segment_fixed_size 0
		.amdhsa_kernarg_size 56
		.amdhsa_user_sgpr_count 15
		.amdhsa_user_sgpr_dispatch_ptr 0
		.amdhsa_user_sgpr_queue_ptr 0
		.amdhsa_user_sgpr_kernarg_segment_ptr 1
		.amdhsa_user_sgpr_dispatch_id 0
		.amdhsa_user_sgpr_private_segment_size 0
		.amdhsa_wavefront_size32 1
		.amdhsa_uses_dynamic_stack 0
		.amdhsa_enable_private_segment 0
		.amdhsa_system_sgpr_workgroup_id_x 1
		.amdhsa_system_sgpr_workgroup_id_y 0
		.amdhsa_system_sgpr_workgroup_id_z 0
		.amdhsa_system_sgpr_workgroup_info 0
		.amdhsa_system_vgpr_workitem_id 0
		.amdhsa_next_free_vgpr 64
		.amdhsa_next_free_sgpr 44
		.amdhsa_reserve_vcc 1
		.amdhsa_float_round_mode_32 0
		.amdhsa_float_round_mode_16_64 0
		.amdhsa_float_denorm_mode_32 3
		.amdhsa_float_denorm_mode_16_64 3
		.amdhsa_dx10_clamp 1
		.amdhsa_ieee_mode 1
		.amdhsa_fp16_overflow 0
		.amdhsa_workgroup_processor_mode 1
		.amdhsa_memory_ordered 1
		.amdhsa_forward_progress 0
		.amdhsa_shared_vgpr_count 0
		.amdhsa_exception_fp_ieee_invalid_op 0
		.amdhsa_exception_fp_denorm_src 0
		.amdhsa_exception_fp_ieee_div_zero 0
		.amdhsa_exception_fp_ieee_overflow 0
		.amdhsa_exception_fp_ieee_underflow 0
		.amdhsa_exception_fp_ieee_inexact 0
		.amdhsa_exception_int_div_zero 0
	.end_amdhsa_kernel
	.section	.text._ZN7rocprim17ROCPRIM_400000_NS6detail17trampoline_kernelINS0_14default_configENS1_35adjacent_difference_config_selectorILb1EjEEZNS1_24adjacent_difference_implIS3_Lb1ELb0EPjS7_N6thrust23THRUST_200600_302600_NS5minusIjEEEE10hipError_tPvRmT2_T3_mT4_P12ihipStream_tbEUlT_E_NS1_11comp_targetILNS1_3genE9ELNS1_11target_archE1100ELNS1_3gpuE3ELNS1_3repE0EEENS1_30default_config_static_selectorELNS0_4arch9wavefront6targetE0EEEvT1_,"axG",@progbits,_ZN7rocprim17ROCPRIM_400000_NS6detail17trampoline_kernelINS0_14default_configENS1_35adjacent_difference_config_selectorILb1EjEEZNS1_24adjacent_difference_implIS3_Lb1ELb0EPjS7_N6thrust23THRUST_200600_302600_NS5minusIjEEEE10hipError_tPvRmT2_T3_mT4_P12ihipStream_tbEUlT_E_NS1_11comp_targetILNS1_3genE9ELNS1_11target_archE1100ELNS1_3gpuE3ELNS1_3repE0EEENS1_30default_config_static_selectorELNS0_4arch9wavefront6targetE0EEEvT1_,comdat
.Lfunc_end178:
	.size	_ZN7rocprim17ROCPRIM_400000_NS6detail17trampoline_kernelINS0_14default_configENS1_35adjacent_difference_config_selectorILb1EjEEZNS1_24adjacent_difference_implIS3_Lb1ELb0EPjS7_N6thrust23THRUST_200600_302600_NS5minusIjEEEE10hipError_tPvRmT2_T3_mT4_P12ihipStream_tbEUlT_E_NS1_11comp_targetILNS1_3genE9ELNS1_11target_archE1100ELNS1_3gpuE3ELNS1_3repE0EEENS1_30default_config_static_selectorELNS0_4arch9wavefront6targetE0EEEvT1_, .Lfunc_end178-_ZN7rocprim17ROCPRIM_400000_NS6detail17trampoline_kernelINS0_14default_configENS1_35adjacent_difference_config_selectorILb1EjEEZNS1_24adjacent_difference_implIS3_Lb1ELb0EPjS7_N6thrust23THRUST_200600_302600_NS5minusIjEEEE10hipError_tPvRmT2_T3_mT4_P12ihipStream_tbEUlT_E_NS1_11comp_targetILNS1_3genE9ELNS1_11target_archE1100ELNS1_3gpuE3ELNS1_3repE0EEENS1_30default_config_static_selectorELNS0_4arch9wavefront6targetE0EEEvT1_
                                        ; -- End function
	.section	.AMDGPU.csdata,"",@progbits
; Kernel info:
; codeLenInByte = 7064
; NumSgprs: 46
; NumVgprs: 64
; ScratchSize: 0
; MemoryBound: 0
; FloatMode: 240
; IeeeMode: 1
; LDSByteSize: 14848 bytes/workgroup (compile time only)
; SGPRBlocks: 5
; VGPRBlocks: 7
; NumSGPRsForWavesPerEU: 46
; NumVGPRsForWavesPerEU: 64
; Occupancy: 8
; WaveLimiterHint : 1
; COMPUTE_PGM_RSRC2:SCRATCH_EN: 0
; COMPUTE_PGM_RSRC2:USER_SGPR: 15
; COMPUTE_PGM_RSRC2:TRAP_HANDLER: 0
; COMPUTE_PGM_RSRC2:TGID_X_EN: 1
; COMPUTE_PGM_RSRC2:TGID_Y_EN: 0
; COMPUTE_PGM_RSRC2:TGID_Z_EN: 0
; COMPUTE_PGM_RSRC2:TIDIG_COMP_CNT: 0
	.section	.text._ZN7rocprim17ROCPRIM_400000_NS6detail17trampoline_kernelINS0_14default_configENS1_35adjacent_difference_config_selectorILb1EjEEZNS1_24adjacent_difference_implIS3_Lb1ELb0EPjS7_N6thrust23THRUST_200600_302600_NS5minusIjEEEE10hipError_tPvRmT2_T3_mT4_P12ihipStream_tbEUlT_E_NS1_11comp_targetILNS1_3genE8ELNS1_11target_archE1030ELNS1_3gpuE2ELNS1_3repE0EEENS1_30default_config_static_selectorELNS0_4arch9wavefront6targetE0EEEvT1_,"axG",@progbits,_ZN7rocprim17ROCPRIM_400000_NS6detail17trampoline_kernelINS0_14default_configENS1_35adjacent_difference_config_selectorILb1EjEEZNS1_24adjacent_difference_implIS3_Lb1ELb0EPjS7_N6thrust23THRUST_200600_302600_NS5minusIjEEEE10hipError_tPvRmT2_T3_mT4_P12ihipStream_tbEUlT_E_NS1_11comp_targetILNS1_3genE8ELNS1_11target_archE1030ELNS1_3gpuE2ELNS1_3repE0EEENS1_30default_config_static_selectorELNS0_4arch9wavefront6targetE0EEEvT1_,comdat
	.protected	_ZN7rocprim17ROCPRIM_400000_NS6detail17trampoline_kernelINS0_14default_configENS1_35adjacent_difference_config_selectorILb1EjEEZNS1_24adjacent_difference_implIS3_Lb1ELb0EPjS7_N6thrust23THRUST_200600_302600_NS5minusIjEEEE10hipError_tPvRmT2_T3_mT4_P12ihipStream_tbEUlT_E_NS1_11comp_targetILNS1_3genE8ELNS1_11target_archE1030ELNS1_3gpuE2ELNS1_3repE0EEENS1_30default_config_static_selectorELNS0_4arch9wavefront6targetE0EEEvT1_ ; -- Begin function _ZN7rocprim17ROCPRIM_400000_NS6detail17trampoline_kernelINS0_14default_configENS1_35adjacent_difference_config_selectorILb1EjEEZNS1_24adjacent_difference_implIS3_Lb1ELb0EPjS7_N6thrust23THRUST_200600_302600_NS5minusIjEEEE10hipError_tPvRmT2_T3_mT4_P12ihipStream_tbEUlT_E_NS1_11comp_targetILNS1_3genE8ELNS1_11target_archE1030ELNS1_3gpuE2ELNS1_3repE0EEENS1_30default_config_static_selectorELNS0_4arch9wavefront6targetE0EEEvT1_
	.globl	_ZN7rocprim17ROCPRIM_400000_NS6detail17trampoline_kernelINS0_14default_configENS1_35adjacent_difference_config_selectorILb1EjEEZNS1_24adjacent_difference_implIS3_Lb1ELb0EPjS7_N6thrust23THRUST_200600_302600_NS5minusIjEEEE10hipError_tPvRmT2_T3_mT4_P12ihipStream_tbEUlT_E_NS1_11comp_targetILNS1_3genE8ELNS1_11target_archE1030ELNS1_3gpuE2ELNS1_3repE0EEENS1_30default_config_static_selectorELNS0_4arch9wavefront6targetE0EEEvT1_
	.p2align	8
	.type	_ZN7rocprim17ROCPRIM_400000_NS6detail17trampoline_kernelINS0_14default_configENS1_35adjacent_difference_config_selectorILb1EjEEZNS1_24adjacent_difference_implIS3_Lb1ELb0EPjS7_N6thrust23THRUST_200600_302600_NS5minusIjEEEE10hipError_tPvRmT2_T3_mT4_P12ihipStream_tbEUlT_E_NS1_11comp_targetILNS1_3genE8ELNS1_11target_archE1030ELNS1_3gpuE2ELNS1_3repE0EEENS1_30default_config_static_selectorELNS0_4arch9wavefront6targetE0EEEvT1_,@function
_ZN7rocprim17ROCPRIM_400000_NS6detail17trampoline_kernelINS0_14default_configENS1_35adjacent_difference_config_selectorILb1EjEEZNS1_24adjacent_difference_implIS3_Lb1ELb0EPjS7_N6thrust23THRUST_200600_302600_NS5minusIjEEEE10hipError_tPvRmT2_T3_mT4_P12ihipStream_tbEUlT_E_NS1_11comp_targetILNS1_3genE8ELNS1_11target_archE1030ELNS1_3gpuE2ELNS1_3repE0EEENS1_30default_config_static_selectorELNS0_4arch9wavefront6targetE0EEEvT1_: ; @_ZN7rocprim17ROCPRIM_400000_NS6detail17trampoline_kernelINS0_14default_configENS1_35adjacent_difference_config_selectorILb1EjEEZNS1_24adjacent_difference_implIS3_Lb1ELb0EPjS7_N6thrust23THRUST_200600_302600_NS5minusIjEEEE10hipError_tPvRmT2_T3_mT4_P12ihipStream_tbEUlT_E_NS1_11comp_targetILNS1_3genE8ELNS1_11target_archE1030ELNS1_3gpuE2ELNS1_3repE0EEENS1_30default_config_static_selectorELNS0_4arch9wavefront6targetE0EEEvT1_
; %bb.0:
	.section	.rodata,"a",@progbits
	.p2align	6, 0x0
	.amdhsa_kernel _ZN7rocprim17ROCPRIM_400000_NS6detail17trampoline_kernelINS0_14default_configENS1_35adjacent_difference_config_selectorILb1EjEEZNS1_24adjacent_difference_implIS3_Lb1ELb0EPjS7_N6thrust23THRUST_200600_302600_NS5minusIjEEEE10hipError_tPvRmT2_T3_mT4_P12ihipStream_tbEUlT_E_NS1_11comp_targetILNS1_3genE8ELNS1_11target_archE1030ELNS1_3gpuE2ELNS1_3repE0EEENS1_30default_config_static_selectorELNS0_4arch9wavefront6targetE0EEEvT1_
		.amdhsa_group_segment_fixed_size 0
		.amdhsa_private_segment_fixed_size 0
		.amdhsa_kernarg_size 56
		.amdhsa_user_sgpr_count 15
		.amdhsa_user_sgpr_dispatch_ptr 0
		.amdhsa_user_sgpr_queue_ptr 0
		.amdhsa_user_sgpr_kernarg_segment_ptr 1
		.amdhsa_user_sgpr_dispatch_id 0
		.amdhsa_user_sgpr_private_segment_size 0
		.amdhsa_wavefront_size32 1
		.amdhsa_uses_dynamic_stack 0
		.amdhsa_enable_private_segment 0
		.amdhsa_system_sgpr_workgroup_id_x 1
		.amdhsa_system_sgpr_workgroup_id_y 0
		.amdhsa_system_sgpr_workgroup_id_z 0
		.amdhsa_system_sgpr_workgroup_info 0
		.amdhsa_system_vgpr_workitem_id 0
		.amdhsa_next_free_vgpr 1
		.amdhsa_next_free_sgpr 1
		.amdhsa_reserve_vcc 0
		.amdhsa_float_round_mode_32 0
		.amdhsa_float_round_mode_16_64 0
		.amdhsa_float_denorm_mode_32 3
		.amdhsa_float_denorm_mode_16_64 3
		.amdhsa_dx10_clamp 1
		.amdhsa_ieee_mode 1
		.amdhsa_fp16_overflow 0
		.amdhsa_workgroup_processor_mode 1
		.amdhsa_memory_ordered 1
		.amdhsa_forward_progress 0
		.amdhsa_shared_vgpr_count 0
		.amdhsa_exception_fp_ieee_invalid_op 0
		.amdhsa_exception_fp_denorm_src 0
		.amdhsa_exception_fp_ieee_div_zero 0
		.amdhsa_exception_fp_ieee_overflow 0
		.amdhsa_exception_fp_ieee_underflow 0
		.amdhsa_exception_fp_ieee_inexact 0
		.amdhsa_exception_int_div_zero 0
	.end_amdhsa_kernel
	.section	.text._ZN7rocprim17ROCPRIM_400000_NS6detail17trampoline_kernelINS0_14default_configENS1_35adjacent_difference_config_selectorILb1EjEEZNS1_24adjacent_difference_implIS3_Lb1ELb0EPjS7_N6thrust23THRUST_200600_302600_NS5minusIjEEEE10hipError_tPvRmT2_T3_mT4_P12ihipStream_tbEUlT_E_NS1_11comp_targetILNS1_3genE8ELNS1_11target_archE1030ELNS1_3gpuE2ELNS1_3repE0EEENS1_30default_config_static_selectorELNS0_4arch9wavefront6targetE0EEEvT1_,"axG",@progbits,_ZN7rocprim17ROCPRIM_400000_NS6detail17trampoline_kernelINS0_14default_configENS1_35adjacent_difference_config_selectorILb1EjEEZNS1_24adjacent_difference_implIS3_Lb1ELb0EPjS7_N6thrust23THRUST_200600_302600_NS5minusIjEEEE10hipError_tPvRmT2_T3_mT4_P12ihipStream_tbEUlT_E_NS1_11comp_targetILNS1_3genE8ELNS1_11target_archE1030ELNS1_3gpuE2ELNS1_3repE0EEENS1_30default_config_static_selectorELNS0_4arch9wavefront6targetE0EEEvT1_,comdat
.Lfunc_end179:
	.size	_ZN7rocprim17ROCPRIM_400000_NS6detail17trampoline_kernelINS0_14default_configENS1_35adjacent_difference_config_selectorILb1EjEEZNS1_24adjacent_difference_implIS3_Lb1ELb0EPjS7_N6thrust23THRUST_200600_302600_NS5minusIjEEEE10hipError_tPvRmT2_T3_mT4_P12ihipStream_tbEUlT_E_NS1_11comp_targetILNS1_3genE8ELNS1_11target_archE1030ELNS1_3gpuE2ELNS1_3repE0EEENS1_30default_config_static_selectorELNS0_4arch9wavefront6targetE0EEEvT1_, .Lfunc_end179-_ZN7rocprim17ROCPRIM_400000_NS6detail17trampoline_kernelINS0_14default_configENS1_35adjacent_difference_config_selectorILb1EjEEZNS1_24adjacent_difference_implIS3_Lb1ELb0EPjS7_N6thrust23THRUST_200600_302600_NS5minusIjEEEE10hipError_tPvRmT2_T3_mT4_P12ihipStream_tbEUlT_E_NS1_11comp_targetILNS1_3genE8ELNS1_11target_archE1030ELNS1_3gpuE2ELNS1_3repE0EEENS1_30default_config_static_selectorELNS0_4arch9wavefront6targetE0EEEvT1_
                                        ; -- End function
	.section	.AMDGPU.csdata,"",@progbits
; Kernel info:
; codeLenInByte = 0
; NumSgprs: 0
; NumVgprs: 0
; ScratchSize: 0
; MemoryBound: 0
; FloatMode: 240
; IeeeMode: 1
; LDSByteSize: 0 bytes/workgroup (compile time only)
; SGPRBlocks: 0
; VGPRBlocks: 0
; NumSGPRsForWavesPerEU: 1
; NumVGPRsForWavesPerEU: 1
; Occupancy: 16
; WaveLimiterHint : 0
; COMPUTE_PGM_RSRC2:SCRATCH_EN: 0
; COMPUTE_PGM_RSRC2:USER_SGPR: 15
; COMPUTE_PGM_RSRC2:TRAP_HANDLER: 0
; COMPUTE_PGM_RSRC2:TGID_X_EN: 1
; COMPUTE_PGM_RSRC2:TGID_Y_EN: 0
; COMPUTE_PGM_RSRC2:TGID_Z_EN: 0
; COMPUTE_PGM_RSRC2:TIDIG_COMP_CNT: 0
	.section	.text._ZN7rocprim17ROCPRIM_400000_NS6detail17trampoline_kernelINS0_14default_configENS1_35adjacent_difference_config_selectorILb0EjEEZNS1_24adjacent_difference_implIS3_Lb0ELb0EPjS7_N6thrust23THRUST_200600_302600_NS4plusIjEEEE10hipError_tPvRmT2_T3_mT4_P12ihipStream_tbEUlT_E_NS1_11comp_targetILNS1_3genE0ELNS1_11target_archE4294967295ELNS1_3gpuE0ELNS1_3repE0EEENS1_30default_config_static_selectorELNS0_4arch9wavefront6targetE0EEEvT1_,"axG",@progbits,_ZN7rocprim17ROCPRIM_400000_NS6detail17trampoline_kernelINS0_14default_configENS1_35adjacent_difference_config_selectorILb0EjEEZNS1_24adjacent_difference_implIS3_Lb0ELb0EPjS7_N6thrust23THRUST_200600_302600_NS4plusIjEEEE10hipError_tPvRmT2_T3_mT4_P12ihipStream_tbEUlT_E_NS1_11comp_targetILNS1_3genE0ELNS1_11target_archE4294967295ELNS1_3gpuE0ELNS1_3repE0EEENS1_30default_config_static_selectorELNS0_4arch9wavefront6targetE0EEEvT1_,comdat
	.protected	_ZN7rocprim17ROCPRIM_400000_NS6detail17trampoline_kernelINS0_14default_configENS1_35adjacent_difference_config_selectorILb0EjEEZNS1_24adjacent_difference_implIS3_Lb0ELb0EPjS7_N6thrust23THRUST_200600_302600_NS4plusIjEEEE10hipError_tPvRmT2_T3_mT4_P12ihipStream_tbEUlT_E_NS1_11comp_targetILNS1_3genE0ELNS1_11target_archE4294967295ELNS1_3gpuE0ELNS1_3repE0EEENS1_30default_config_static_selectorELNS0_4arch9wavefront6targetE0EEEvT1_ ; -- Begin function _ZN7rocprim17ROCPRIM_400000_NS6detail17trampoline_kernelINS0_14default_configENS1_35adjacent_difference_config_selectorILb0EjEEZNS1_24adjacent_difference_implIS3_Lb0ELb0EPjS7_N6thrust23THRUST_200600_302600_NS4plusIjEEEE10hipError_tPvRmT2_T3_mT4_P12ihipStream_tbEUlT_E_NS1_11comp_targetILNS1_3genE0ELNS1_11target_archE4294967295ELNS1_3gpuE0ELNS1_3repE0EEENS1_30default_config_static_selectorELNS0_4arch9wavefront6targetE0EEEvT1_
	.globl	_ZN7rocprim17ROCPRIM_400000_NS6detail17trampoline_kernelINS0_14default_configENS1_35adjacent_difference_config_selectorILb0EjEEZNS1_24adjacent_difference_implIS3_Lb0ELb0EPjS7_N6thrust23THRUST_200600_302600_NS4plusIjEEEE10hipError_tPvRmT2_T3_mT4_P12ihipStream_tbEUlT_E_NS1_11comp_targetILNS1_3genE0ELNS1_11target_archE4294967295ELNS1_3gpuE0ELNS1_3repE0EEENS1_30default_config_static_selectorELNS0_4arch9wavefront6targetE0EEEvT1_
	.p2align	8
	.type	_ZN7rocprim17ROCPRIM_400000_NS6detail17trampoline_kernelINS0_14default_configENS1_35adjacent_difference_config_selectorILb0EjEEZNS1_24adjacent_difference_implIS3_Lb0ELb0EPjS7_N6thrust23THRUST_200600_302600_NS4plusIjEEEE10hipError_tPvRmT2_T3_mT4_P12ihipStream_tbEUlT_E_NS1_11comp_targetILNS1_3genE0ELNS1_11target_archE4294967295ELNS1_3gpuE0ELNS1_3repE0EEENS1_30default_config_static_selectorELNS0_4arch9wavefront6targetE0EEEvT1_,@function
_ZN7rocprim17ROCPRIM_400000_NS6detail17trampoline_kernelINS0_14default_configENS1_35adjacent_difference_config_selectorILb0EjEEZNS1_24adjacent_difference_implIS3_Lb0ELb0EPjS7_N6thrust23THRUST_200600_302600_NS4plusIjEEEE10hipError_tPvRmT2_T3_mT4_P12ihipStream_tbEUlT_E_NS1_11comp_targetILNS1_3genE0ELNS1_11target_archE4294967295ELNS1_3gpuE0ELNS1_3repE0EEENS1_30default_config_static_selectorELNS0_4arch9wavefront6targetE0EEEvT1_: ; @_ZN7rocprim17ROCPRIM_400000_NS6detail17trampoline_kernelINS0_14default_configENS1_35adjacent_difference_config_selectorILb0EjEEZNS1_24adjacent_difference_implIS3_Lb0ELb0EPjS7_N6thrust23THRUST_200600_302600_NS4plusIjEEEE10hipError_tPvRmT2_T3_mT4_P12ihipStream_tbEUlT_E_NS1_11comp_targetILNS1_3genE0ELNS1_11target_archE4294967295ELNS1_3gpuE0ELNS1_3repE0EEENS1_30default_config_static_selectorELNS0_4arch9wavefront6targetE0EEEvT1_
; %bb.0:
	.section	.rodata,"a",@progbits
	.p2align	6, 0x0
	.amdhsa_kernel _ZN7rocprim17ROCPRIM_400000_NS6detail17trampoline_kernelINS0_14default_configENS1_35adjacent_difference_config_selectorILb0EjEEZNS1_24adjacent_difference_implIS3_Lb0ELb0EPjS7_N6thrust23THRUST_200600_302600_NS4plusIjEEEE10hipError_tPvRmT2_T3_mT4_P12ihipStream_tbEUlT_E_NS1_11comp_targetILNS1_3genE0ELNS1_11target_archE4294967295ELNS1_3gpuE0ELNS1_3repE0EEENS1_30default_config_static_selectorELNS0_4arch9wavefront6targetE0EEEvT1_
		.amdhsa_group_segment_fixed_size 0
		.amdhsa_private_segment_fixed_size 0
		.amdhsa_kernarg_size 56
		.amdhsa_user_sgpr_count 15
		.amdhsa_user_sgpr_dispatch_ptr 0
		.amdhsa_user_sgpr_queue_ptr 0
		.amdhsa_user_sgpr_kernarg_segment_ptr 1
		.amdhsa_user_sgpr_dispatch_id 0
		.amdhsa_user_sgpr_private_segment_size 0
		.amdhsa_wavefront_size32 1
		.amdhsa_uses_dynamic_stack 0
		.amdhsa_enable_private_segment 0
		.amdhsa_system_sgpr_workgroup_id_x 1
		.amdhsa_system_sgpr_workgroup_id_y 0
		.amdhsa_system_sgpr_workgroup_id_z 0
		.amdhsa_system_sgpr_workgroup_info 0
		.amdhsa_system_vgpr_workitem_id 0
		.amdhsa_next_free_vgpr 1
		.amdhsa_next_free_sgpr 1
		.amdhsa_reserve_vcc 0
		.amdhsa_float_round_mode_32 0
		.amdhsa_float_round_mode_16_64 0
		.amdhsa_float_denorm_mode_32 3
		.amdhsa_float_denorm_mode_16_64 3
		.amdhsa_dx10_clamp 1
		.amdhsa_ieee_mode 1
		.amdhsa_fp16_overflow 0
		.amdhsa_workgroup_processor_mode 1
		.amdhsa_memory_ordered 1
		.amdhsa_forward_progress 0
		.amdhsa_shared_vgpr_count 0
		.amdhsa_exception_fp_ieee_invalid_op 0
		.amdhsa_exception_fp_denorm_src 0
		.amdhsa_exception_fp_ieee_div_zero 0
		.amdhsa_exception_fp_ieee_overflow 0
		.amdhsa_exception_fp_ieee_underflow 0
		.amdhsa_exception_fp_ieee_inexact 0
		.amdhsa_exception_int_div_zero 0
	.end_amdhsa_kernel
	.section	.text._ZN7rocprim17ROCPRIM_400000_NS6detail17trampoline_kernelINS0_14default_configENS1_35adjacent_difference_config_selectorILb0EjEEZNS1_24adjacent_difference_implIS3_Lb0ELb0EPjS7_N6thrust23THRUST_200600_302600_NS4plusIjEEEE10hipError_tPvRmT2_T3_mT4_P12ihipStream_tbEUlT_E_NS1_11comp_targetILNS1_3genE0ELNS1_11target_archE4294967295ELNS1_3gpuE0ELNS1_3repE0EEENS1_30default_config_static_selectorELNS0_4arch9wavefront6targetE0EEEvT1_,"axG",@progbits,_ZN7rocprim17ROCPRIM_400000_NS6detail17trampoline_kernelINS0_14default_configENS1_35adjacent_difference_config_selectorILb0EjEEZNS1_24adjacent_difference_implIS3_Lb0ELb0EPjS7_N6thrust23THRUST_200600_302600_NS4plusIjEEEE10hipError_tPvRmT2_T3_mT4_P12ihipStream_tbEUlT_E_NS1_11comp_targetILNS1_3genE0ELNS1_11target_archE4294967295ELNS1_3gpuE0ELNS1_3repE0EEENS1_30default_config_static_selectorELNS0_4arch9wavefront6targetE0EEEvT1_,comdat
.Lfunc_end180:
	.size	_ZN7rocprim17ROCPRIM_400000_NS6detail17trampoline_kernelINS0_14default_configENS1_35adjacent_difference_config_selectorILb0EjEEZNS1_24adjacent_difference_implIS3_Lb0ELb0EPjS7_N6thrust23THRUST_200600_302600_NS4plusIjEEEE10hipError_tPvRmT2_T3_mT4_P12ihipStream_tbEUlT_E_NS1_11comp_targetILNS1_3genE0ELNS1_11target_archE4294967295ELNS1_3gpuE0ELNS1_3repE0EEENS1_30default_config_static_selectorELNS0_4arch9wavefront6targetE0EEEvT1_, .Lfunc_end180-_ZN7rocprim17ROCPRIM_400000_NS6detail17trampoline_kernelINS0_14default_configENS1_35adjacent_difference_config_selectorILb0EjEEZNS1_24adjacent_difference_implIS3_Lb0ELb0EPjS7_N6thrust23THRUST_200600_302600_NS4plusIjEEEE10hipError_tPvRmT2_T3_mT4_P12ihipStream_tbEUlT_E_NS1_11comp_targetILNS1_3genE0ELNS1_11target_archE4294967295ELNS1_3gpuE0ELNS1_3repE0EEENS1_30default_config_static_selectorELNS0_4arch9wavefront6targetE0EEEvT1_
                                        ; -- End function
	.section	.AMDGPU.csdata,"",@progbits
; Kernel info:
; codeLenInByte = 0
; NumSgprs: 0
; NumVgprs: 0
; ScratchSize: 0
; MemoryBound: 0
; FloatMode: 240
; IeeeMode: 1
; LDSByteSize: 0 bytes/workgroup (compile time only)
; SGPRBlocks: 0
; VGPRBlocks: 0
; NumSGPRsForWavesPerEU: 1
; NumVGPRsForWavesPerEU: 1
; Occupancy: 16
; WaveLimiterHint : 0
; COMPUTE_PGM_RSRC2:SCRATCH_EN: 0
; COMPUTE_PGM_RSRC2:USER_SGPR: 15
; COMPUTE_PGM_RSRC2:TRAP_HANDLER: 0
; COMPUTE_PGM_RSRC2:TGID_X_EN: 1
; COMPUTE_PGM_RSRC2:TGID_Y_EN: 0
; COMPUTE_PGM_RSRC2:TGID_Z_EN: 0
; COMPUTE_PGM_RSRC2:TIDIG_COMP_CNT: 0
	.section	.text._ZN7rocprim17ROCPRIM_400000_NS6detail17trampoline_kernelINS0_14default_configENS1_35adjacent_difference_config_selectorILb0EjEEZNS1_24adjacent_difference_implIS3_Lb0ELb0EPjS7_N6thrust23THRUST_200600_302600_NS4plusIjEEEE10hipError_tPvRmT2_T3_mT4_P12ihipStream_tbEUlT_E_NS1_11comp_targetILNS1_3genE10ELNS1_11target_archE1201ELNS1_3gpuE5ELNS1_3repE0EEENS1_30default_config_static_selectorELNS0_4arch9wavefront6targetE0EEEvT1_,"axG",@progbits,_ZN7rocprim17ROCPRIM_400000_NS6detail17trampoline_kernelINS0_14default_configENS1_35adjacent_difference_config_selectorILb0EjEEZNS1_24adjacent_difference_implIS3_Lb0ELb0EPjS7_N6thrust23THRUST_200600_302600_NS4plusIjEEEE10hipError_tPvRmT2_T3_mT4_P12ihipStream_tbEUlT_E_NS1_11comp_targetILNS1_3genE10ELNS1_11target_archE1201ELNS1_3gpuE5ELNS1_3repE0EEENS1_30default_config_static_selectorELNS0_4arch9wavefront6targetE0EEEvT1_,comdat
	.protected	_ZN7rocprim17ROCPRIM_400000_NS6detail17trampoline_kernelINS0_14default_configENS1_35adjacent_difference_config_selectorILb0EjEEZNS1_24adjacent_difference_implIS3_Lb0ELb0EPjS7_N6thrust23THRUST_200600_302600_NS4plusIjEEEE10hipError_tPvRmT2_T3_mT4_P12ihipStream_tbEUlT_E_NS1_11comp_targetILNS1_3genE10ELNS1_11target_archE1201ELNS1_3gpuE5ELNS1_3repE0EEENS1_30default_config_static_selectorELNS0_4arch9wavefront6targetE0EEEvT1_ ; -- Begin function _ZN7rocprim17ROCPRIM_400000_NS6detail17trampoline_kernelINS0_14default_configENS1_35adjacent_difference_config_selectorILb0EjEEZNS1_24adjacent_difference_implIS3_Lb0ELb0EPjS7_N6thrust23THRUST_200600_302600_NS4plusIjEEEE10hipError_tPvRmT2_T3_mT4_P12ihipStream_tbEUlT_E_NS1_11comp_targetILNS1_3genE10ELNS1_11target_archE1201ELNS1_3gpuE5ELNS1_3repE0EEENS1_30default_config_static_selectorELNS0_4arch9wavefront6targetE0EEEvT1_
	.globl	_ZN7rocprim17ROCPRIM_400000_NS6detail17trampoline_kernelINS0_14default_configENS1_35adjacent_difference_config_selectorILb0EjEEZNS1_24adjacent_difference_implIS3_Lb0ELb0EPjS7_N6thrust23THRUST_200600_302600_NS4plusIjEEEE10hipError_tPvRmT2_T3_mT4_P12ihipStream_tbEUlT_E_NS1_11comp_targetILNS1_3genE10ELNS1_11target_archE1201ELNS1_3gpuE5ELNS1_3repE0EEENS1_30default_config_static_selectorELNS0_4arch9wavefront6targetE0EEEvT1_
	.p2align	8
	.type	_ZN7rocprim17ROCPRIM_400000_NS6detail17trampoline_kernelINS0_14default_configENS1_35adjacent_difference_config_selectorILb0EjEEZNS1_24adjacent_difference_implIS3_Lb0ELb0EPjS7_N6thrust23THRUST_200600_302600_NS4plusIjEEEE10hipError_tPvRmT2_T3_mT4_P12ihipStream_tbEUlT_E_NS1_11comp_targetILNS1_3genE10ELNS1_11target_archE1201ELNS1_3gpuE5ELNS1_3repE0EEENS1_30default_config_static_selectorELNS0_4arch9wavefront6targetE0EEEvT1_,@function
_ZN7rocprim17ROCPRIM_400000_NS6detail17trampoline_kernelINS0_14default_configENS1_35adjacent_difference_config_selectorILb0EjEEZNS1_24adjacent_difference_implIS3_Lb0ELb0EPjS7_N6thrust23THRUST_200600_302600_NS4plusIjEEEE10hipError_tPvRmT2_T3_mT4_P12ihipStream_tbEUlT_E_NS1_11comp_targetILNS1_3genE10ELNS1_11target_archE1201ELNS1_3gpuE5ELNS1_3repE0EEENS1_30default_config_static_selectorELNS0_4arch9wavefront6targetE0EEEvT1_: ; @_ZN7rocprim17ROCPRIM_400000_NS6detail17trampoline_kernelINS0_14default_configENS1_35adjacent_difference_config_selectorILb0EjEEZNS1_24adjacent_difference_implIS3_Lb0ELb0EPjS7_N6thrust23THRUST_200600_302600_NS4plusIjEEEE10hipError_tPvRmT2_T3_mT4_P12ihipStream_tbEUlT_E_NS1_11comp_targetILNS1_3genE10ELNS1_11target_archE1201ELNS1_3gpuE5ELNS1_3repE0EEENS1_30default_config_static_selectorELNS0_4arch9wavefront6targetE0EEEvT1_
; %bb.0:
	.section	.rodata,"a",@progbits
	.p2align	6, 0x0
	.amdhsa_kernel _ZN7rocprim17ROCPRIM_400000_NS6detail17trampoline_kernelINS0_14default_configENS1_35adjacent_difference_config_selectorILb0EjEEZNS1_24adjacent_difference_implIS3_Lb0ELb0EPjS7_N6thrust23THRUST_200600_302600_NS4plusIjEEEE10hipError_tPvRmT2_T3_mT4_P12ihipStream_tbEUlT_E_NS1_11comp_targetILNS1_3genE10ELNS1_11target_archE1201ELNS1_3gpuE5ELNS1_3repE0EEENS1_30default_config_static_selectorELNS0_4arch9wavefront6targetE0EEEvT1_
		.amdhsa_group_segment_fixed_size 0
		.amdhsa_private_segment_fixed_size 0
		.amdhsa_kernarg_size 56
		.amdhsa_user_sgpr_count 15
		.amdhsa_user_sgpr_dispatch_ptr 0
		.amdhsa_user_sgpr_queue_ptr 0
		.amdhsa_user_sgpr_kernarg_segment_ptr 1
		.amdhsa_user_sgpr_dispatch_id 0
		.amdhsa_user_sgpr_private_segment_size 0
		.amdhsa_wavefront_size32 1
		.amdhsa_uses_dynamic_stack 0
		.amdhsa_enable_private_segment 0
		.amdhsa_system_sgpr_workgroup_id_x 1
		.amdhsa_system_sgpr_workgroup_id_y 0
		.amdhsa_system_sgpr_workgroup_id_z 0
		.amdhsa_system_sgpr_workgroup_info 0
		.amdhsa_system_vgpr_workitem_id 0
		.amdhsa_next_free_vgpr 1
		.amdhsa_next_free_sgpr 1
		.amdhsa_reserve_vcc 0
		.amdhsa_float_round_mode_32 0
		.amdhsa_float_round_mode_16_64 0
		.amdhsa_float_denorm_mode_32 3
		.amdhsa_float_denorm_mode_16_64 3
		.amdhsa_dx10_clamp 1
		.amdhsa_ieee_mode 1
		.amdhsa_fp16_overflow 0
		.amdhsa_workgroup_processor_mode 1
		.amdhsa_memory_ordered 1
		.amdhsa_forward_progress 0
		.amdhsa_shared_vgpr_count 0
		.amdhsa_exception_fp_ieee_invalid_op 0
		.amdhsa_exception_fp_denorm_src 0
		.amdhsa_exception_fp_ieee_div_zero 0
		.amdhsa_exception_fp_ieee_overflow 0
		.amdhsa_exception_fp_ieee_underflow 0
		.amdhsa_exception_fp_ieee_inexact 0
		.amdhsa_exception_int_div_zero 0
	.end_amdhsa_kernel
	.section	.text._ZN7rocprim17ROCPRIM_400000_NS6detail17trampoline_kernelINS0_14default_configENS1_35adjacent_difference_config_selectorILb0EjEEZNS1_24adjacent_difference_implIS3_Lb0ELb0EPjS7_N6thrust23THRUST_200600_302600_NS4plusIjEEEE10hipError_tPvRmT2_T3_mT4_P12ihipStream_tbEUlT_E_NS1_11comp_targetILNS1_3genE10ELNS1_11target_archE1201ELNS1_3gpuE5ELNS1_3repE0EEENS1_30default_config_static_selectorELNS0_4arch9wavefront6targetE0EEEvT1_,"axG",@progbits,_ZN7rocprim17ROCPRIM_400000_NS6detail17trampoline_kernelINS0_14default_configENS1_35adjacent_difference_config_selectorILb0EjEEZNS1_24adjacent_difference_implIS3_Lb0ELb0EPjS7_N6thrust23THRUST_200600_302600_NS4plusIjEEEE10hipError_tPvRmT2_T3_mT4_P12ihipStream_tbEUlT_E_NS1_11comp_targetILNS1_3genE10ELNS1_11target_archE1201ELNS1_3gpuE5ELNS1_3repE0EEENS1_30default_config_static_selectorELNS0_4arch9wavefront6targetE0EEEvT1_,comdat
.Lfunc_end181:
	.size	_ZN7rocprim17ROCPRIM_400000_NS6detail17trampoline_kernelINS0_14default_configENS1_35adjacent_difference_config_selectorILb0EjEEZNS1_24adjacent_difference_implIS3_Lb0ELb0EPjS7_N6thrust23THRUST_200600_302600_NS4plusIjEEEE10hipError_tPvRmT2_T3_mT4_P12ihipStream_tbEUlT_E_NS1_11comp_targetILNS1_3genE10ELNS1_11target_archE1201ELNS1_3gpuE5ELNS1_3repE0EEENS1_30default_config_static_selectorELNS0_4arch9wavefront6targetE0EEEvT1_, .Lfunc_end181-_ZN7rocprim17ROCPRIM_400000_NS6detail17trampoline_kernelINS0_14default_configENS1_35adjacent_difference_config_selectorILb0EjEEZNS1_24adjacent_difference_implIS3_Lb0ELb0EPjS7_N6thrust23THRUST_200600_302600_NS4plusIjEEEE10hipError_tPvRmT2_T3_mT4_P12ihipStream_tbEUlT_E_NS1_11comp_targetILNS1_3genE10ELNS1_11target_archE1201ELNS1_3gpuE5ELNS1_3repE0EEENS1_30default_config_static_selectorELNS0_4arch9wavefront6targetE0EEEvT1_
                                        ; -- End function
	.section	.AMDGPU.csdata,"",@progbits
; Kernel info:
; codeLenInByte = 0
; NumSgprs: 0
; NumVgprs: 0
; ScratchSize: 0
; MemoryBound: 0
; FloatMode: 240
; IeeeMode: 1
; LDSByteSize: 0 bytes/workgroup (compile time only)
; SGPRBlocks: 0
; VGPRBlocks: 0
; NumSGPRsForWavesPerEU: 1
; NumVGPRsForWavesPerEU: 1
; Occupancy: 16
; WaveLimiterHint : 0
; COMPUTE_PGM_RSRC2:SCRATCH_EN: 0
; COMPUTE_PGM_RSRC2:USER_SGPR: 15
; COMPUTE_PGM_RSRC2:TRAP_HANDLER: 0
; COMPUTE_PGM_RSRC2:TGID_X_EN: 1
; COMPUTE_PGM_RSRC2:TGID_Y_EN: 0
; COMPUTE_PGM_RSRC2:TGID_Z_EN: 0
; COMPUTE_PGM_RSRC2:TIDIG_COMP_CNT: 0
	.section	.text._ZN7rocprim17ROCPRIM_400000_NS6detail17trampoline_kernelINS0_14default_configENS1_35adjacent_difference_config_selectorILb0EjEEZNS1_24adjacent_difference_implIS3_Lb0ELb0EPjS7_N6thrust23THRUST_200600_302600_NS4plusIjEEEE10hipError_tPvRmT2_T3_mT4_P12ihipStream_tbEUlT_E_NS1_11comp_targetILNS1_3genE5ELNS1_11target_archE942ELNS1_3gpuE9ELNS1_3repE0EEENS1_30default_config_static_selectorELNS0_4arch9wavefront6targetE0EEEvT1_,"axG",@progbits,_ZN7rocprim17ROCPRIM_400000_NS6detail17trampoline_kernelINS0_14default_configENS1_35adjacent_difference_config_selectorILb0EjEEZNS1_24adjacent_difference_implIS3_Lb0ELb0EPjS7_N6thrust23THRUST_200600_302600_NS4plusIjEEEE10hipError_tPvRmT2_T3_mT4_P12ihipStream_tbEUlT_E_NS1_11comp_targetILNS1_3genE5ELNS1_11target_archE942ELNS1_3gpuE9ELNS1_3repE0EEENS1_30default_config_static_selectorELNS0_4arch9wavefront6targetE0EEEvT1_,comdat
	.protected	_ZN7rocprim17ROCPRIM_400000_NS6detail17trampoline_kernelINS0_14default_configENS1_35adjacent_difference_config_selectorILb0EjEEZNS1_24adjacent_difference_implIS3_Lb0ELb0EPjS7_N6thrust23THRUST_200600_302600_NS4plusIjEEEE10hipError_tPvRmT2_T3_mT4_P12ihipStream_tbEUlT_E_NS1_11comp_targetILNS1_3genE5ELNS1_11target_archE942ELNS1_3gpuE9ELNS1_3repE0EEENS1_30default_config_static_selectorELNS0_4arch9wavefront6targetE0EEEvT1_ ; -- Begin function _ZN7rocprim17ROCPRIM_400000_NS6detail17trampoline_kernelINS0_14default_configENS1_35adjacent_difference_config_selectorILb0EjEEZNS1_24adjacent_difference_implIS3_Lb0ELb0EPjS7_N6thrust23THRUST_200600_302600_NS4plusIjEEEE10hipError_tPvRmT2_T3_mT4_P12ihipStream_tbEUlT_E_NS1_11comp_targetILNS1_3genE5ELNS1_11target_archE942ELNS1_3gpuE9ELNS1_3repE0EEENS1_30default_config_static_selectorELNS0_4arch9wavefront6targetE0EEEvT1_
	.globl	_ZN7rocprim17ROCPRIM_400000_NS6detail17trampoline_kernelINS0_14default_configENS1_35adjacent_difference_config_selectorILb0EjEEZNS1_24adjacent_difference_implIS3_Lb0ELb0EPjS7_N6thrust23THRUST_200600_302600_NS4plusIjEEEE10hipError_tPvRmT2_T3_mT4_P12ihipStream_tbEUlT_E_NS1_11comp_targetILNS1_3genE5ELNS1_11target_archE942ELNS1_3gpuE9ELNS1_3repE0EEENS1_30default_config_static_selectorELNS0_4arch9wavefront6targetE0EEEvT1_
	.p2align	8
	.type	_ZN7rocprim17ROCPRIM_400000_NS6detail17trampoline_kernelINS0_14default_configENS1_35adjacent_difference_config_selectorILb0EjEEZNS1_24adjacent_difference_implIS3_Lb0ELb0EPjS7_N6thrust23THRUST_200600_302600_NS4plusIjEEEE10hipError_tPvRmT2_T3_mT4_P12ihipStream_tbEUlT_E_NS1_11comp_targetILNS1_3genE5ELNS1_11target_archE942ELNS1_3gpuE9ELNS1_3repE0EEENS1_30default_config_static_selectorELNS0_4arch9wavefront6targetE0EEEvT1_,@function
_ZN7rocprim17ROCPRIM_400000_NS6detail17trampoline_kernelINS0_14default_configENS1_35adjacent_difference_config_selectorILb0EjEEZNS1_24adjacent_difference_implIS3_Lb0ELb0EPjS7_N6thrust23THRUST_200600_302600_NS4plusIjEEEE10hipError_tPvRmT2_T3_mT4_P12ihipStream_tbEUlT_E_NS1_11comp_targetILNS1_3genE5ELNS1_11target_archE942ELNS1_3gpuE9ELNS1_3repE0EEENS1_30default_config_static_selectorELNS0_4arch9wavefront6targetE0EEEvT1_: ; @_ZN7rocprim17ROCPRIM_400000_NS6detail17trampoline_kernelINS0_14default_configENS1_35adjacent_difference_config_selectorILb0EjEEZNS1_24adjacent_difference_implIS3_Lb0ELb0EPjS7_N6thrust23THRUST_200600_302600_NS4plusIjEEEE10hipError_tPvRmT2_T3_mT4_P12ihipStream_tbEUlT_E_NS1_11comp_targetILNS1_3genE5ELNS1_11target_archE942ELNS1_3gpuE9ELNS1_3repE0EEENS1_30default_config_static_selectorELNS0_4arch9wavefront6targetE0EEEvT1_
; %bb.0:
	.section	.rodata,"a",@progbits
	.p2align	6, 0x0
	.amdhsa_kernel _ZN7rocprim17ROCPRIM_400000_NS6detail17trampoline_kernelINS0_14default_configENS1_35adjacent_difference_config_selectorILb0EjEEZNS1_24adjacent_difference_implIS3_Lb0ELb0EPjS7_N6thrust23THRUST_200600_302600_NS4plusIjEEEE10hipError_tPvRmT2_T3_mT4_P12ihipStream_tbEUlT_E_NS1_11comp_targetILNS1_3genE5ELNS1_11target_archE942ELNS1_3gpuE9ELNS1_3repE0EEENS1_30default_config_static_selectorELNS0_4arch9wavefront6targetE0EEEvT1_
		.amdhsa_group_segment_fixed_size 0
		.amdhsa_private_segment_fixed_size 0
		.amdhsa_kernarg_size 56
		.amdhsa_user_sgpr_count 15
		.amdhsa_user_sgpr_dispatch_ptr 0
		.amdhsa_user_sgpr_queue_ptr 0
		.amdhsa_user_sgpr_kernarg_segment_ptr 1
		.amdhsa_user_sgpr_dispatch_id 0
		.amdhsa_user_sgpr_private_segment_size 0
		.amdhsa_wavefront_size32 1
		.amdhsa_uses_dynamic_stack 0
		.amdhsa_enable_private_segment 0
		.amdhsa_system_sgpr_workgroup_id_x 1
		.amdhsa_system_sgpr_workgroup_id_y 0
		.amdhsa_system_sgpr_workgroup_id_z 0
		.amdhsa_system_sgpr_workgroup_info 0
		.amdhsa_system_vgpr_workitem_id 0
		.amdhsa_next_free_vgpr 1
		.amdhsa_next_free_sgpr 1
		.amdhsa_reserve_vcc 0
		.amdhsa_float_round_mode_32 0
		.amdhsa_float_round_mode_16_64 0
		.amdhsa_float_denorm_mode_32 3
		.amdhsa_float_denorm_mode_16_64 3
		.amdhsa_dx10_clamp 1
		.amdhsa_ieee_mode 1
		.amdhsa_fp16_overflow 0
		.amdhsa_workgroup_processor_mode 1
		.amdhsa_memory_ordered 1
		.amdhsa_forward_progress 0
		.amdhsa_shared_vgpr_count 0
		.amdhsa_exception_fp_ieee_invalid_op 0
		.amdhsa_exception_fp_denorm_src 0
		.amdhsa_exception_fp_ieee_div_zero 0
		.amdhsa_exception_fp_ieee_overflow 0
		.amdhsa_exception_fp_ieee_underflow 0
		.amdhsa_exception_fp_ieee_inexact 0
		.amdhsa_exception_int_div_zero 0
	.end_amdhsa_kernel
	.section	.text._ZN7rocprim17ROCPRIM_400000_NS6detail17trampoline_kernelINS0_14default_configENS1_35adjacent_difference_config_selectorILb0EjEEZNS1_24adjacent_difference_implIS3_Lb0ELb0EPjS7_N6thrust23THRUST_200600_302600_NS4plusIjEEEE10hipError_tPvRmT2_T3_mT4_P12ihipStream_tbEUlT_E_NS1_11comp_targetILNS1_3genE5ELNS1_11target_archE942ELNS1_3gpuE9ELNS1_3repE0EEENS1_30default_config_static_selectorELNS0_4arch9wavefront6targetE0EEEvT1_,"axG",@progbits,_ZN7rocprim17ROCPRIM_400000_NS6detail17trampoline_kernelINS0_14default_configENS1_35adjacent_difference_config_selectorILb0EjEEZNS1_24adjacent_difference_implIS3_Lb0ELb0EPjS7_N6thrust23THRUST_200600_302600_NS4plusIjEEEE10hipError_tPvRmT2_T3_mT4_P12ihipStream_tbEUlT_E_NS1_11comp_targetILNS1_3genE5ELNS1_11target_archE942ELNS1_3gpuE9ELNS1_3repE0EEENS1_30default_config_static_selectorELNS0_4arch9wavefront6targetE0EEEvT1_,comdat
.Lfunc_end182:
	.size	_ZN7rocprim17ROCPRIM_400000_NS6detail17trampoline_kernelINS0_14default_configENS1_35adjacent_difference_config_selectorILb0EjEEZNS1_24adjacent_difference_implIS3_Lb0ELb0EPjS7_N6thrust23THRUST_200600_302600_NS4plusIjEEEE10hipError_tPvRmT2_T3_mT4_P12ihipStream_tbEUlT_E_NS1_11comp_targetILNS1_3genE5ELNS1_11target_archE942ELNS1_3gpuE9ELNS1_3repE0EEENS1_30default_config_static_selectorELNS0_4arch9wavefront6targetE0EEEvT1_, .Lfunc_end182-_ZN7rocprim17ROCPRIM_400000_NS6detail17trampoline_kernelINS0_14default_configENS1_35adjacent_difference_config_selectorILb0EjEEZNS1_24adjacent_difference_implIS3_Lb0ELb0EPjS7_N6thrust23THRUST_200600_302600_NS4plusIjEEEE10hipError_tPvRmT2_T3_mT4_P12ihipStream_tbEUlT_E_NS1_11comp_targetILNS1_3genE5ELNS1_11target_archE942ELNS1_3gpuE9ELNS1_3repE0EEENS1_30default_config_static_selectorELNS0_4arch9wavefront6targetE0EEEvT1_
                                        ; -- End function
	.section	.AMDGPU.csdata,"",@progbits
; Kernel info:
; codeLenInByte = 0
; NumSgprs: 0
; NumVgprs: 0
; ScratchSize: 0
; MemoryBound: 0
; FloatMode: 240
; IeeeMode: 1
; LDSByteSize: 0 bytes/workgroup (compile time only)
; SGPRBlocks: 0
; VGPRBlocks: 0
; NumSGPRsForWavesPerEU: 1
; NumVGPRsForWavesPerEU: 1
; Occupancy: 16
; WaveLimiterHint : 0
; COMPUTE_PGM_RSRC2:SCRATCH_EN: 0
; COMPUTE_PGM_RSRC2:USER_SGPR: 15
; COMPUTE_PGM_RSRC2:TRAP_HANDLER: 0
; COMPUTE_PGM_RSRC2:TGID_X_EN: 1
; COMPUTE_PGM_RSRC2:TGID_Y_EN: 0
; COMPUTE_PGM_RSRC2:TGID_Z_EN: 0
; COMPUTE_PGM_RSRC2:TIDIG_COMP_CNT: 0
	.section	.text._ZN7rocprim17ROCPRIM_400000_NS6detail17trampoline_kernelINS0_14default_configENS1_35adjacent_difference_config_selectorILb0EjEEZNS1_24adjacent_difference_implIS3_Lb0ELb0EPjS7_N6thrust23THRUST_200600_302600_NS4plusIjEEEE10hipError_tPvRmT2_T3_mT4_P12ihipStream_tbEUlT_E_NS1_11comp_targetILNS1_3genE4ELNS1_11target_archE910ELNS1_3gpuE8ELNS1_3repE0EEENS1_30default_config_static_selectorELNS0_4arch9wavefront6targetE0EEEvT1_,"axG",@progbits,_ZN7rocprim17ROCPRIM_400000_NS6detail17trampoline_kernelINS0_14default_configENS1_35adjacent_difference_config_selectorILb0EjEEZNS1_24adjacent_difference_implIS3_Lb0ELb0EPjS7_N6thrust23THRUST_200600_302600_NS4plusIjEEEE10hipError_tPvRmT2_T3_mT4_P12ihipStream_tbEUlT_E_NS1_11comp_targetILNS1_3genE4ELNS1_11target_archE910ELNS1_3gpuE8ELNS1_3repE0EEENS1_30default_config_static_selectorELNS0_4arch9wavefront6targetE0EEEvT1_,comdat
	.protected	_ZN7rocprim17ROCPRIM_400000_NS6detail17trampoline_kernelINS0_14default_configENS1_35adjacent_difference_config_selectorILb0EjEEZNS1_24adjacent_difference_implIS3_Lb0ELb0EPjS7_N6thrust23THRUST_200600_302600_NS4plusIjEEEE10hipError_tPvRmT2_T3_mT4_P12ihipStream_tbEUlT_E_NS1_11comp_targetILNS1_3genE4ELNS1_11target_archE910ELNS1_3gpuE8ELNS1_3repE0EEENS1_30default_config_static_selectorELNS0_4arch9wavefront6targetE0EEEvT1_ ; -- Begin function _ZN7rocprim17ROCPRIM_400000_NS6detail17trampoline_kernelINS0_14default_configENS1_35adjacent_difference_config_selectorILb0EjEEZNS1_24adjacent_difference_implIS3_Lb0ELb0EPjS7_N6thrust23THRUST_200600_302600_NS4plusIjEEEE10hipError_tPvRmT2_T3_mT4_P12ihipStream_tbEUlT_E_NS1_11comp_targetILNS1_3genE4ELNS1_11target_archE910ELNS1_3gpuE8ELNS1_3repE0EEENS1_30default_config_static_selectorELNS0_4arch9wavefront6targetE0EEEvT1_
	.globl	_ZN7rocprim17ROCPRIM_400000_NS6detail17trampoline_kernelINS0_14default_configENS1_35adjacent_difference_config_selectorILb0EjEEZNS1_24adjacent_difference_implIS3_Lb0ELb0EPjS7_N6thrust23THRUST_200600_302600_NS4plusIjEEEE10hipError_tPvRmT2_T3_mT4_P12ihipStream_tbEUlT_E_NS1_11comp_targetILNS1_3genE4ELNS1_11target_archE910ELNS1_3gpuE8ELNS1_3repE0EEENS1_30default_config_static_selectorELNS0_4arch9wavefront6targetE0EEEvT1_
	.p2align	8
	.type	_ZN7rocprim17ROCPRIM_400000_NS6detail17trampoline_kernelINS0_14default_configENS1_35adjacent_difference_config_selectorILb0EjEEZNS1_24adjacent_difference_implIS3_Lb0ELb0EPjS7_N6thrust23THRUST_200600_302600_NS4plusIjEEEE10hipError_tPvRmT2_T3_mT4_P12ihipStream_tbEUlT_E_NS1_11comp_targetILNS1_3genE4ELNS1_11target_archE910ELNS1_3gpuE8ELNS1_3repE0EEENS1_30default_config_static_selectorELNS0_4arch9wavefront6targetE0EEEvT1_,@function
_ZN7rocprim17ROCPRIM_400000_NS6detail17trampoline_kernelINS0_14default_configENS1_35adjacent_difference_config_selectorILb0EjEEZNS1_24adjacent_difference_implIS3_Lb0ELb0EPjS7_N6thrust23THRUST_200600_302600_NS4plusIjEEEE10hipError_tPvRmT2_T3_mT4_P12ihipStream_tbEUlT_E_NS1_11comp_targetILNS1_3genE4ELNS1_11target_archE910ELNS1_3gpuE8ELNS1_3repE0EEENS1_30default_config_static_selectorELNS0_4arch9wavefront6targetE0EEEvT1_: ; @_ZN7rocprim17ROCPRIM_400000_NS6detail17trampoline_kernelINS0_14default_configENS1_35adjacent_difference_config_selectorILb0EjEEZNS1_24adjacent_difference_implIS3_Lb0ELb0EPjS7_N6thrust23THRUST_200600_302600_NS4plusIjEEEE10hipError_tPvRmT2_T3_mT4_P12ihipStream_tbEUlT_E_NS1_11comp_targetILNS1_3genE4ELNS1_11target_archE910ELNS1_3gpuE8ELNS1_3repE0EEENS1_30default_config_static_selectorELNS0_4arch9wavefront6targetE0EEEvT1_
; %bb.0:
	.section	.rodata,"a",@progbits
	.p2align	6, 0x0
	.amdhsa_kernel _ZN7rocprim17ROCPRIM_400000_NS6detail17trampoline_kernelINS0_14default_configENS1_35adjacent_difference_config_selectorILb0EjEEZNS1_24adjacent_difference_implIS3_Lb0ELb0EPjS7_N6thrust23THRUST_200600_302600_NS4plusIjEEEE10hipError_tPvRmT2_T3_mT4_P12ihipStream_tbEUlT_E_NS1_11comp_targetILNS1_3genE4ELNS1_11target_archE910ELNS1_3gpuE8ELNS1_3repE0EEENS1_30default_config_static_selectorELNS0_4arch9wavefront6targetE0EEEvT1_
		.amdhsa_group_segment_fixed_size 0
		.amdhsa_private_segment_fixed_size 0
		.amdhsa_kernarg_size 56
		.amdhsa_user_sgpr_count 15
		.amdhsa_user_sgpr_dispatch_ptr 0
		.amdhsa_user_sgpr_queue_ptr 0
		.amdhsa_user_sgpr_kernarg_segment_ptr 1
		.amdhsa_user_sgpr_dispatch_id 0
		.amdhsa_user_sgpr_private_segment_size 0
		.amdhsa_wavefront_size32 1
		.amdhsa_uses_dynamic_stack 0
		.amdhsa_enable_private_segment 0
		.amdhsa_system_sgpr_workgroup_id_x 1
		.amdhsa_system_sgpr_workgroup_id_y 0
		.amdhsa_system_sgpr_workgroup_id_z 0
		.amdhsa_system_sgpr_workgroup_info 0
		.amdhsa_system_vgpr_workitem_id 0
		.amdhsa_next_free_vgpr 1
		.amdhsa_next_free_sgpr 1
		.amdhsa_reserve_vcc 0
		.amdhsa_float_round_mode_32 0
		.amdhsa_float_round_mode_16_64 0
		.amdhsa_float_denorm_mode_32 3
		.amdhsa_float_denorm_mode_16_64 3
		.amdhsa_dx10_clamp 1
		.amdhsa_ieee_mode 1
		.amdhsa_fp16_overflow 0
		.amdhsa_workgroup_processor_mode 1
		.amdhsa_memory_ordered 1
		.amdhsa_forward_progress 0
		.amdhsa_shared_vgpr_count 0
		.amdhsa_exception_fp_ieee_invalid_op 0
		.amdhsa_exception_fp_denorm_src 0
		.amdhsa_exception_fp_ieee_div_zero 0
		.amdhsa_exception_fp_ieee_overflow 0
		.amdhsa_exception_fp_ieee_underflow 0
		.amdhsa_exception_fp_ieee_inexact 0
		.amdhsa_exception_int_div_zero 0
	.end_amdhsa_kernel
	.section	.text._ZN7rocprim17ROCPRIM_400000_NS6detail17trampoline_kernelINS0_14default_configENS1_35adjacent_difference_config_selectorILb0EjEEZNS1_24adjacent_difference_implIS3_Lb0ELb0EPjS7_N6thrust23THRUST_200600_302600_NS4plusIjEEEE10hipError_tPvRmT2_T3_mT4_P12ihipStream_tbEUlT_E_NS1_11comp_targetILNS1_3genE4ELNS1_11target_archE910ELNS1_3gpuE8ELNS1_3repE0EEENS1_30default_config_static_selectorELNS0_4arch9wavefront6targetE0EEEvT1_,"axG",@progbits,_ZN7rocprim17ROCPRIM_400000_NS6detail17trampoline_kernelINS0_14default_configENS1_35adjacent_difference_config_selectorILb0EjEEZNS1_24adjacent_difference_implIS3_Lb0ELb0EPjS7_N6thrust23THRUST_200600_302600_NS4plusIjEEEE10hipError_tPvRmT2_T3_mT4_P12ihipStream_tbEUlT_E_NS1_11comp_targetILNS1_3genE4ELNS1_11target_archE910ELNS1_3gpuE8ELNS1_3repE0EEENS1_30default_config_static_selectorELNS0_4arch9wavefront6targetE0EEEvT1_,comdat
.Lfunc_end183:
	.size	_ZN7rocprim17ROCPRIM_400000_NS6detail17trampoline_kernelINS0_14default_configENS1_35adjacent_difference_config_selectorILb0EjEEZNS1_24adjacent_difference_implIS3_Lb0ELb0EPjS7_N6thrust23THRUST_200600_302600_NS4plusIjEEEE10hipError_tPvRmT2_T3_mT4_P12ihipStream_tbEUlT_E_NS1_11comp_targetILNS1_3genE4ELNS1_11target_archE910ELNS1_3gpuE8ELNS1_3repE0EEENS1_30default_config_static_selectorELNS0_4arch9wavefront6targetE0EEEvT1_, .Lfunc_end183-_ZN7rocprim17ROCPRIM_400000_NS6detail17trampoline_kernelINS0_14default_configENS1_35adjacent_difference_config_selectorILb0EjEEZNS1_24adjacent_difference_implIS3_Lb0ELb0EPjS7_N6thrust23THRUST_200600_302600_NS4plusIjEEEE10hipError_tPvRmT2_T3_mT4_P12ihipStream_tbEUlT_E_NS1_11comp_targetILNS1_3genE4ELNS1_11target_archE910ELNS1_3gpuE8ELNS1_3repE0EEENS1_30default_config_static_selectorELNS0_4arch9wavefront6targetE0EEEvT1_
                                        ; -- End function
	.section	.AMDGPU.csdata,"",@progbits
; Kernel info:
; codeLenInByte = 0
; NumSgprs: 0
; NumVgprs: 0
; ScratchSize: 0
; MemoryBound: 0
; FloatMode: 240
; IeeeMode: 1
; LDSByteSize: 0 bytes/workgroup (compile time only)
; SGPRBlocks: 0
; VGPRBlocks: 0
; NumSGPRsForWavesPerEU: 1
; NumVGPRsForWavesPerEU: 1
; Occupancy: 16
; WaveLimiterHint : 0
; COMPUTE_PGM_RSRC2:SCRATCH_EN: 0
; COMPUTE_PGM_RSRC2:USER_SGPR: 15
; COMPUTE_PGM_RSRC2:TRAP_HANDLER: 0
; COMPUTE_PGM_RSRC2:TGID_X_EN: 1
; COMPUTE_PGM_RSRC2:TGID_Y_EN: 0
; COMPUTE_PGM_RSRC2:TGID_Z_EN: 0
; COMPUTE_PGM_RSRC2:TIDIG_COMP_CNT: 0
	.section	.text._ZN7rocprim17ROCPRIM_400000_NS6detail17trampoline_kernelINS0_14default_configENS1_35adjacent_difference_config_selectorILb0EjEEZNS1_24adjacent_difference_implIS3_Lb0ELb0EPjS7_N6thrust23THRUST_200600_302600_NS4plusIjEEEE10hipError_tPvRmT2_T3_mT4_P12ihipStream_tbEUlT_E_NS1_11comp_targetILNS1_3genE3ELNS1_11target_archE908ELNS1_3gpuE7ELNS1_3repE0EEENS1_30default_config_static_selectorELNS0_4arch9wavefront6targetE0EEEvT1_,"axG",@progbits,_ZN7rocprim17ROCPRIM_400000_NS6detail17trampoline_kernelINS0_14default_configENS1_35adjacent_difference_config_selectorILb0EjEEZNS1_24adjacent_difference_implIS3_Lb0ELb0EPjS7_N6thrust23THRUST_200600_302600_NS4plusIjEEEE10hipError_tPvRmT2_T3_mT4_P12ihipStream_tbEUlT_E_NS1_11comp_targetILNS1_3genE3ELNS1_11target_archE908ELNS1_3gpuE7ELNS1_3repE0EEENS1_30default_config_static_selectorELNS0_4arch9wavefront6targetE0EEEvT1_,comdat
	.protected	_ZN7rocprim17ROCPRIM_400000_NS6detail17trampoline_kernelINS0_14default_configENS1_35adjacent_difference_config_selectorILb0EjEEZNS1_24adjacent_difference_implIS3_Lb0ELb0EPjS7_N6thrust23THRUST_200600_302600_NS4plusIjEEEE10hipError_tPvRmT2_T3_mT4_P12ihipStream_tbEUlT_E_NS1_11comp_targetILNS1_3genE3ELNS1_11target_archE908ELNS1_3gpuE7ELNS1_3repE0EEENS1_30default_config_static_selectorELNS0_4arch9wavefront6targetE0EEEvT1_ ; -- Begin function _ZN7rocprim17ROCPRIM_400000_NS6detail17trampoline_kernelINS0_14default_configENS1_35adjacent_difference_config_selectorILb0EjEEZNS1_24adjacent_difference_implIS3_Lb0ELb0EPjS7_N6thrust23THRUST_200600_302600_NS4plusIjEEEE10hipError_tPvRmT2_T3_mT4_P12ihipStream_tbEUlT_E_NS1_11comp_targetILNS1_3genE3ELNS1_11target_archE908ELNS1_3gpuE7ELNS1_3repE0EEENS1_30default_config_static_selectorELNS0_4arch9wavefront6targetE0EEEvT1_
	.globl	_ZN7rocprim17ROCPRIM_400000_NS6detail17trampoline_kernelINS0_14default_configENS1_35adjacent_difference_config_selectorILb0EjEEZNS1_24adjacent_difference_implIS3_Lb0ELb0EPjS7_N6thrust23THRUST_200600_302600_NS4plusIjEEEE10hipError_tPvRmT2_T3_mT4_P12ihipStream_tbEUlT_E_NS1_11comp_targetILNS1_3genE3ELNS1_11target_archE908ELNS1_3gpuE7ELNS1_3repE0EEENS1_30default_config_static_selectorELNS0_4arch9wavefront6targetE0EEEvT1_
	.p2align	8
	.type	_ZN7rocprim17ROCPRIM_400000_NS6detail17trampoline_kernelINS0_14default_configENS1_35adjacent_difference_config_selectorILb0EjEEZNS1_24adjacent_difference_implIS3_Lb0ELb0EPjS7_N6thrust23THRUST_200600_302600_NS4plusIjEEEE10hipError_tPvRmT2_T3_mT4_P12ihipStream_tbEUlT_E_NS1_11comp_targetILNS1_3genE3ELNS1_11target_archE908ELNS1_3gpuE7ELNS1_3repE0EEENS1_30default_config_static_selectorELNS0_4arch9wavefront6targetE0EEEvT1_,@function
_ZN7rocprim17ROCPRIM_400000_NS6detail17trampoline_kernelINS0_14default_configENS1_35adjacent_difference_config_selectorILb0EjEEZNS1_24adjacent_difference_implIS3_Lb0ELb0EPjS7_N6thrust23THRUST_200600_302600_NS4plusIjEEEE10hipError_tPvRmT2_T3_mT4_P12ihipStream_tbEUlT_E_NS1_11comp_targetILNS1_3genE3ELNS1_11target_archE908ELNS1_3gpuE7ELNS1_3repE0EEENS1_30default_config_static_selectorELNS0_4arch9wavefront6targetE0EEEvT1_: ; @_ZN7rocprim17ROCPRIM_400000_NS6detail17trampoline_kernelINS0_14default_configENS1_35adjacent_difference_config_selectorILb0EjEEZNS1_24adjacent_difference_implIS3_Lb0ELb0EPjS7_N6thrust23THRUST_200600_302600_NS4plusIjEEEE10hipError_tPvRmT2_T3_mT4_P12ihipStream_tbEUlT_E_NS1_11comp_targetILNS1_3genE3ELNS1_11target_archE908ELNS1_3gpuE7ELNS1_3repE0EEENS1_30default_config_static_selectorELNS0_4arch9wavefront6targetE0EEEvT1_
; %bb.0:
	.section	.rodata,"a",@progbits
	.p2align	6, 0x0
	.amdhsa_kernel _ZN7rocprim17ROCPRIM_400000_NS6detail17trampoline_kernelINS0_14default_configENS1_35adjacent_difference_config_selectorILb0EjEEZNS1_24adjacent_difference_implIS3_Lb0ELb0EPjS7_N6thrust23THRUST_200600_302600_NS4plusIjEEEE10hipError_tPvRmT2_T3_mT4_P12ihipStream_tbEUlT_E_NS1_11comp_targetILNS1_3genE3ELNS1_11target_archE908ELNS1_3gpuE7ELNS1_3repE0EEENS1_30default_config_static_selectorELNS0_4arch9wavefront6targetE0EEEvT1_
		.amdhsa_group_segment_fixed_size 0
		.amdhsa_private_segment_fixed_size 0
		.amdhsa_kernarg_size 56
		.amdhsa_user_sgpr_count 15
		.amdhsa_user_sgpr_dispatch_ptr 0
		.amdhsa_user_sgpr_queue_ptr 0
		.amdhsa_user_sgpr_kernarg_segment_ptr 1
		.amdhsa_user_sgpr_dispatch_id 0
		.amdhsa_user_sgpr_private_segment_size 0
		.amdhsa_wavefront_size32 1
		.amdhsa_uses_dynamic_stack 0
		.amdhsa_enable_private_segment 0
		.amdhsa_system_sgpr_workgroup_id_x 1
		.amdhsa_system_sgpr_workgroup_id_y 0
		.amdhsa_system_sgpr_workgroup_id_z 0
		.amdhsa_system_sgpr_workgroup_info 0
		.amdhsa_system_vgpr_workitem_id 0
		.amdhsa_next_free_vgpr 1
		.amdhsa_next_free_sgpr 1
		.amdhsa_reserve_vcc 0
		.amdhsa_float_round_mode_32 0
		.amdhsa_float_round_mode_16_64 0
		.amdhsa_float_denorm_mode_32 3
		.amdhsa_float_denorm_mode_16_64 3
		.amdhsa_dx10_clamp 1
		.amdhsa_ieee_mode 1
		.amdhsa_fp16_overflow 0
		.amdhsa_workgroup_processor_mode 1
		.amdhsa_memory_ordered 1
		.amdhsa_forward_progress 0
		.amdhsa_shared_vgpr_count 0
		.amdhsa_exception_fp_ieee_invalid_op 0
		.amdhsa_exception_fp_denorm_src 0
		.amdhsa_exception_fp_ieee_div_zero 0
		.amdhsa_exception_fp_ieee_overflow 0
		.amdhsa_exception_fp_ieee_underflow 0
		.amdhsa_exception_fp_ieee_inexact 0
		.amdhsa_exception_int_div_zero 0
	.end_amdhsa_kernel
	.section	.text._ZN7rocprim17ROCPRIM_400000_NS6detail17trampoline_kernelINS0_14default_configENS1_35adjacent_difference_config_selectorILb0EjEEZNS1_24adjacent_difference_implIS3_Lb0ELb0EPjS7_N6thrust23THRUST_200600_302600_NS4plusIjEEEE10hipError_tPvRmT2_T3_mT4_P12ihipStream_tbEUlT_E_NS1_11comp_targetILNS1_3genE3ELNS1_11target_archE908ELNS1_3gpuE7ELNS1_3repE0EEENS1_30default_config_static_selectorELNS0_4arch9wavefront6targetE0EEEvT1_,"axG",@progbits,_ZN7rocprim17ROCPRIM_400000_NS6detail17trampoline_kernelINS0_14default_configENS1_35adjacent_difference_config_selectorILb0EjEEZNS1_24adjacent_difference_implIS3_Lb0ELb0EPjS7_N6thrust23THRUST_200600_302600_NS4plusIjEEEE10hipError_tPvRmT2_T3_mT4_P12ihipStream_tbEUlT_E_NS1_11comp_targetILNS1_3genE3ELNS1_11target_archE908ELNS1_3gpuE7ELNS1_3repE0EEENS1_30default_config_static_selectorELNS0_4arch9wavefront6targetE0EEEvT1_,comdat
.Lfunc_end184:
	.size	_ZN7rocprim17ROCPRIM_400000_NS6detail17trampoline_kernelINS0_14default_configENS1_35adjacent_difference_config_selectorILb0EjEEZNS1_24adjacent_difference_implIS3_Lb0ELb0EPjS7_N6thrust23THRUST_200600_302600_NS4plusIjEEEE10hipError_tPvRmT2_T3_mT4_P12ihipStream_tbEUlT_E_NS1_11comp_targetILNS1_3genE3ELNS1_11target_archE908ELNS1_3gpuE7ELNS1_3repE0EEENS1_30default_config_static_selectorELNS0_4arch9wavefront6targetE0EEEvT1_, .Lfunc_end184-_ZN7rocprim17ROCPRIM_400000_NS6detail17trampoline_kernelINS0_14default_configENS1_35adjacent_difference_config_selectorILb0EjEEZNS1_24adjacent_difference_implIS3_Lb0ELb0EPjS7_N6thrust23THRUST_200600_302600_NS4plusIjEEEE10hipError_tPvRmT2_T3_mT4_P12ihipStream_tbEUlT_E_NS1_11comp_targetILNS1_3genE3ELNS1_11target_archE908ELNS1_3gpuE7ELNS1_3repE0EEENS1_30default_config_static_selectorELNS0_4arch9wavefront6targetE0EEEvT1_
                                        ; -- End function
	.section	.AMDGPU.csdata,"",@progbits
; Kernel info:
; codeLenInByte = 0
; NumSgprs: 0
; NumVgprs: 0
; ScratchSize: 0
; MemoryBound: 0
; FloatMode: 240
; IeeeMode: 1
; LDSByteSize: 0 bytes/workgroup (compile time only)
; SGPRBlocks: 0
; VGPRBlocks: 0
; NumSGPRsForWavesPerEU: 1
; NumVGPRsForWavesPerEU: 1
; Occupancy: 16
; WaveLimiterHint : 0
; COMPUTE_PGM_RSRC2:SCRATCH_EN: 0
; COMPUTE_PGM_RSRC2:USER_SGPR: 15
; COMPUTE_PGM_RSRC2:TRAP_HANDLER: 0
; COMPUTE_PGM_RSRC2:TGID_X_EN: 1
; COMPUTE_PGM_RSRC2:TGID_Y_EN: 0
; COMPUTE_PGM_RSRC2:TGID_Z_EN: 0
; COMPUTE_PGM_RSRC2:TIDIG_COMP_CNT: 0
	.section	.text._ZN7rocprim17ROCPRIM_400000_NS6detail17trampoline_kernelINS0_14default_configENS1_35adjacent_difference_config_selectorILb0EjEEZNS1_24adjacent_difference_implIS3_Lb0ELb0EPjS7_N6thrust23THRUST_200600_302600_NS4plusIjEEEE10hipError_tPvRmT2_T3_mT4_P12ihipStream_tbEUlT_E_NS1_11comp_targetILNS1_3genE2ELNS1_11target_archE906ELNS1_3gpuE6ELNS1_3repE0EEENS1_30default_config_static_selectorELNS0_4arch9wavefront6targetE0EEEvT1_,"axG",@progbits,_ZN7rocprim17ROCPRIM_400000_NS6detail17trampoline_kernelINS0_14default_configENS1_35adjacent_difference_config_selectorILb0EjEEZNS1_24adjacent_difference_implIS3_Lb0ELb0EPjS7_N6thrust23THRUST_200600_302600_NS4plusIjEEEE10hipError_tPvRmT2_T3_mT4_P12ihipStream_tbEUlT_E_NS1_11comp_targetILNS1_3genE2ELNS1_11target_archE906ELNS1_3gpuE6ELNS1_3repE0EEENS1_30default_config_static_selectorELNS0_4arch9wavefront6targetE0EEEvT1_,comdat
	.protected	_ZN7rocprim17ROCPRIM_400000_NS6detail17trampoline_kernelINS0_14default_configENS1_35adjacent_difference_config_selectorILb0EjEEZNS1_24adjacent_difference_implIS3_Lb0ELb0EPjS7_N6thrust23THRUST_200600_302600_NS4plusIjEEEE10hipError_tPvRmT2_T3_mT4_P12ihipStream_tbEUlT_E_NS1_11comp_targetILNS1_3genE2ELNS1_11target_archE906ELNS1_3gpuE6ELNS1_3repE0EEENS1_30default_config_static_selectorELNS0_4arch9wavefront6targetE0EEEvT1_ ; -- Begin function _ZN7rocprim17ROCPRIM_400000_NS6detail17trampoline_kernelINS0_14default_configENS1_35adjacent_difference_config_selectorILb0EjEEZNS1_24adjacent_difference_implIS3_Lb0ELb0EPjS7_N6thrust23THRUST_200600_302600_NS4plusIjEEEE10hipError_tPvRmT2_T3_mT4_P12ihipStream_tbEUlT_E_NS1_11comp_targetILNS1_3genE2ELNS1_11target_archE906ELNS1_3gpuE6ELNS1_3repE0EEENS1_30default_config_static_selectorELNS0_4arch9wavefront6targetE0EEEvT1_
	.globl	_ZN7rocprim17ROCPRIM_400000_NS6detail17trampoline_kernelINS0_14default_configENS1_35adjacent_difference_config_selectorILb0EjEEZNS1_24adjacent_difference_implIS3_Lb0ELb0EPjS7_N6thrust23THRUST_200600_302600_NS4plusIjEEEE10hipError_tPvRmT2_T3_mT4_P12ihipStream_tbEUlT_E_NS1_11comp_targetILNS1_3genE2ELNS1_11target_archE906ELNS1_3gpuE6ELNS1_3repE0EEENS1_30default_config_static_selectorELNS0_4arch9wavefront6targetE0EEEvT1_
	.p2align	8
	.type	_ZN7rocprim17ROCPRIM_400000_NS6detail17trampoline_kernelINS0_14default_configENS1_35adjacent_difference_config_selectorILb0EjEEZNS1_24adjacent_difference_implIS3_Lb0ELb0EPjS7_N6thrust23THRUST_200600_302600_NS4plusIjEEEE10hipError_tPvRmT2_T3_mT4_P12ihipStream_tbEUlT_E_NS1_11comp_targetILNS1_3genE2ELNS1_11target_archE906ELNS1_3gpuE6ELNS1_3repE0EEENS1_30default_config_static_selectorELNS0_4arch9wavefront6targetE0EEEvT1_,@function
_ZN7rocprim17ROCPRIM_400000_NS6detail17trampoline_kernelINS0_14default_configENS1_35adjacent_difference_config_selectorILb0EjEEZNS1_24adjacent_difference_implIS3_Lb0ELb0EPjS7_N6thrust23THRUST_200600_302600_NS4plusIjEEEE10hipError_tPvRmT2_T3_mT4_P12ihipStream_tbEUlT_E_NS1_11comp_targetILNS1_3genE2ELNS1_11target_archE906ELNS1_3gpuE6ELNS1_3repE0EEENS1_30default_config_static_selectorELNS0_4arch9wavefront6targetE0EEEvT1_: ; @_ZN7rocprim17ROCPRIM_400000_NS6detail17trampoline_kernelINS0_14default_configENS1_35adjacent_difference_config_selectorILb0EjEEZNS1_24adjacent_difference_implIS3_Lb0ELb0EPjS7_N6thrust23THRUST_200600_302600_NS4plusIjEEEE10hipError_tPvRmT2_T3_mT4_P12ihipStream_tbEUlT_E_NS1_11comp_targetILNS1_3genE2ELNS1_11target_archE906ELNS1_3gpuE6ELNS1_3repE0EEENS1_30default_config_static_selectorELNS0_4arch9wavefront6targetE0EEEvT1_
; %bb.0:
	.section	.rodata,"a",@progbits
	.p2align	6, 0x0
	.amdhsa_kernel _ZN7rocprim17ROCPRIM_400000_NS6detail17trampoline_kernelINS0_14default_configENS1_35adjacent_difference_config_selectorILb0EjEEZNS1_24adjacent_difference_implIS3_Lb0ELb0EPjS7_N6thrust23THRUST_200600_302600_NS4plusIjEEEE10hipError_tPvRmT2_T3_mT4_P12ihipStream_tbEUlT_E_NS1_11comp_targetILNS1_3genE2ELNS1_11target_archE906ELNS1_3gpuE6ELNS1_3repE0EEENS1_30default_config_static_selectorELNS0_4arch9wavefront6targetE0EEEvT1_
		.amdhsa_group_segment_fixed_size 0
		.amdhsa_private_segment_fixed_size 0
		.amdhsa_kernarg_size 56
		.amdhsa_user_sgpr_count 15
		.amdhsa_user_sgpr_dispatch_ptr 0
		.amdhsa_user_sgpr_queue_ptr 0
		.amdhsa_user_sgpr_kernarg_segment_ptr 1
		.amdhsa_user_sgpr_dispatch_id 0
		.amdhsa_user_sgpr_private_segment_size 0
		.amdhsa_wavefront_size32 1
		.amdhsa_uses_dynamic_stack 0
		.amdhsa_enable_private_segment 0
		.amdhsa_system_sgpr_workgroup_id_x 1
		.amdhsa_system_sgpr_workgroup_id_y 0
		.amdhsa_system_sgpr_workgroup_id_z 0
		.amdhsa_system_sgpr_workgroup_info 0
		.amdhsa_system_vgpr_workitem_id 0
		.amdhsa_next_free_vgpr 1
		.amdhsa_next_free_sgpr 1
		.amdhsa_reserve_vcc 0
		.amdhsa_float_round_mode_32 0
		.amdhsa_float_round_mode_16_64 0
		.amdhsa_float_denorm_mode_32 3
		.amdhsa_float_denorm_mode_16_64 3
		.amdhsa_dx10_clamp 1
		.amdhsa_ieee_mode 1
		.amdhsa_fp16_overflow 0
		.amdhsa_workgroup_processor_mode 1
		.amdhsa_memory_ordered 1
		.amdhsa_forward_progress 0
		.amdhsa_shared_vgpr_count 0
		.amdhsa_exception_fp_ieee_invalid_op 0
		.amdhsa_exception_fp_denorm_src 0
		.amdhsa_exception_fp_ieee_div_zero 0
		.amdhsa_exception_fp_ieee_overflow 0
		.amdhsa_exception_fp_ieee_underflow 0
		.amdhsa_exception_fp_ieee_inexact 0
		.amdhsa_exception_int_div_zero 0
	.end_amdhsa_kernel
	.section	.text._ZN7rocprim17ROCPRIM_400000_NS6detail17trampoline_kernelINS0_14default_configENS1_35adjacent_difference_config_selectorILb0EjEEZNS1_24adjacent_difference_implIS3_Lb0ELb0EPjS7_N6thrust23THRUST_200600_302600_NS4plusIjEEEE10hipError_tPvRmT2_T3_mT4_P12ihipStream_tbEUlT_E_NS1_11comp_targetILNS1_3genE2ELNS1_11target_archE906ELNS1_3gpuE6ELNS1_3repE0EEENS1_30default_config_static_selectorELNS0_4arch9wavefront6targetE0EEEvT1_,"axG",@progbits,_ZN7rocprim17ROCPRIM_400000_NS6detail17trampoline_kernelINS0_14default_configENS1_35adjacent_difference_config_selectorILb0EjEEZNS1_24adjacent_difference_implIS3_Lb0ELb0EPjS7_N6thrust23THRUST_200600_302600_NS4plusIjEEEE10hipError_tPvRmT2_T3_mT4_P12ihipStream_tbEUlT_E_NS1_11comp_targetILNS1_3genE2ELNS1_11target_archE906ELNS1_3gpuE6ELNS1_3repE0EEENS1_30default_config_static_selectorELNS0_4arch9wavefront6targetE0EEEvT1_,comdat
.Lfunc_end185:
	.size	_ZN7rocprim17ROCPRIM_400000_NS6detail17trampoline_kernelINS0_14default_configENS1_35adjacent_difference_config_selectorILb0EjEEZNS1_24adjacent_difference_implIS3_Lb0ELb0EPjS7_N6thrust23THRUST_200600_302600_NS4plusIjEEEE10hipError_tPvRmT2_T3_mT4_P12ihipStream_tbEUlT_E_NS1_11comp_targetILNS1_3genE2ELNS1_11target_archE906ELNS1_3gpuE6ELNS1_3repE0EEENS1_30default_config_static_selectorELNS0_4arch9wavefront6targetE0EEEvT1_, .Lfunc_end185-_ZN7rocprim17ROCPRIM_400000_NS6detail17trampoline_kernelINS0_14default_configENS1_35adjacent_difference_config_selectorILb0EjEEZNS1_24adjacent_difference_implIS3_Lb0ELb0EPjS7_N6thrust23THRUST_200600_302600_NS4plusIjEEEE10hipError_tPvRmT2_T3_mT4_P12ihipStream_tbEUlT_E_NS1_11comp_targetILNS1_3genE2ELNS1_11target_archE906ELNS1_3gpuE6ELNS1_3repE0EEENS1_30default_config_static_selectorELNS0_4arch9wavefront6targetE0EEEvT1_
                                        ; -- End function
	.section	.AMDGPU.csdata,"",@progbits
; Kernel info:
; codeLenInByte = 0
; NumSgprs: 0
; NumVgprs: 0
; ScratchSize: 0
; MemoryBound: 0
; FloatMode: 240
; IeeeMode: 1
; LDSByteSize: 0 bytes/workgroup (compile time only)
; SGPRBlocks: 0
; VGPRBlocks: 0
; NumSGPRsForWavesPerEU: 1
; NumVGPRsForWavesPerEU: 1
; Occupancy: 16
; WaveLimiterHint : 0
; COMPUTE_PGM_RSRC2:SCRATCH_EN: 0
; COMPUTE_PGM_RSRC2:USER_SGPR: 15
; COMPUTE_PGM_RSRC2:TRAP_HANDLER: 0
; COMPUTE_PGM_RSRC2:TGID_X_EN: 1
; COMPUTE_PGM_RSRC2:TGID_Y_EN: 0
; COMPUTE_PGM_RSRC2:TGID_Z_EN: 0
; COMPUTE_PGM_RSRC2:TIDIG_COMP_CNT: 0
	.section	.text._ZN7rocprim17ROCPRIM_400000_NS6detail17trampoline_kernelINS0_14default_configENS1_35adjacent_difference_config_selectorILb0EjEEZNS1_24adjacent_difference_implIS3_Lb0ELb0EPjS7_N6thrust23THRUST_200600_302600_NS4plusIjEEEE10hipError_tPvRmT2_T3_mT4_P12ihipStream_tbEUlT_E_NS1_11comp_targetILNS1_3genE9ELNS1_11target_archE1100ELNS1_3gpuE3ELNS1_3repE0EEENS1_30default_config_static_selectorELNS0_4arch9wavefront6targetE0EEEvT1_,"axG",@progbits,_ZN7rocprim17ROCPRIM_400000_NS6detail17trampoline_kernelINS0_14default_configENS1_35adjacent_difference_config_selectorILb0EjEEZNS1_24adjacent_difference_implIS3_Lb0ELb0EPjS7_N6thrust23THRUST_200600_302600_NS4plusIjEEEE10hipError_tPvRmT2_T3_mT4_P12ihipStream_tbEUlT_E_NS1_11comp_targetILNS1_3genE9ELNS1_11target_archE1100ELNS1_3gpuE3ELNS1_3repE0EEENS1_30default_config_static_selectorELNS0_4arch9wavefront6targetE0EEEvT1_,comdat
	.protected	_ZN7rocprim17ROCPRIM_400000_NS6detail17trampoline_kernelINS0_14default_configENS1_35adjacent_difference_config_selectorILb0EjEEZNS1_24adjacent_difference_implIS3_Lb0ELb0EPjS7_N6thrust23THRUST_200600_302600_NS4plusIjEEEE10hipError_tPvRmT2_T3_mT4_P12ihipStream_tbEUlT_E_NS1_11comp_targetILNS1_3genE9ELNS1_11target_archE1100ELNS1_3gpuE3ELNS1_3repE0EEENS1_30default_config_static_selectorELNS0_4arch9wavefront6targetE0EEEvT1_ ; -- Begin function _ZN7rocprim17ROCPRIM_400000_NS6detail17trampoline_kernelINS0_14default_configENS1_35adjacent_difference_config_selectorILb0EjEEZNS1_24adjacent_difference_implIS3_Lb0ELb0EPjS7_N6thrust23THRUST_200600_302600_NS4plusIjEEEE10hipError_tPvRmT2_T3_mT4_P12ihipStream_tbEUlT_E_NS1_11comp_targetILNS1_3genE9ELNS1_11target_archE1100ELNS1_3gpuE3ELNS1_3repE0EEENS1_30default_config_static_selectorELNS0_4arch9wavefront6targetE0EEEvT1_
	.globl	_ZN7rocprim17ROCPRIM_400000_NS6detail17trampoline_kernelINS0_14default_configENS1_35adjacent_difference_config_selectorILb0EjEEZNS1_24adjacent_difference_implIS3_Lb0ELb0EPjS7_N6thrust23THRUST_200600_302600_NS4plusIjEEEE10hipError_tPvRmT2_T3_mT4_P12ihipStream_tbEUlT_E_NS1_11comp_targetILNS1_3genE9ELNS1_11target_archE1100ELNS1_3gpuE3ELNS1_3repE0EEENS1_30default_config_static_selectorELNS0_4arch9wavefront6targetE0EEEvT1_
	.p2align	8
	.type	_ZN7rocprim17ROCPRIM_400000_NS6detail17trampoline_kernelINS0_14default_configENS1_35adjacent_difference_config_selectorILb0EjEEZNS1_24adjacent_difference_implIS3_Lb0ELb0EPjS7_N6thrust23THRUST_200600_302600_NS4plusIjEEEE10hipError_tPvRmT2_T3_mT4_P12ihipStream_tbEUlT_E_NS1_11comp_targetILNS1_3genE9ELNS1_11target_archE1100ELNS1_3gpuE3ELNS1_3repE0EEENS1_30default_config_static_selectorELNS0_4arch9wavefront6targetE0EEEvT1_,@function
_ZN7rocprim17ROCPRIM_400000_NS6detail17trampoline_kernelINS0_14default_configENS1_35adjacent_difference_config_selectorILb0EjEEZNS1_24adjacent_difference_implIS3_Lb0ELb0EPjS7_N6thrust23THRUST_200600_302600_NS4plusIjEEEE10hipError_tPvRmT2_T3_mT4_P12ihipStream_tbEUlT_E_NS1_11comp_targetILNS1_3genE9ELNS1_11target_archE1100ELNS1_3gpuE3ELNS1_3repE0EEENS1_30default_config_static_selectorELNS0_4arch9wavefront6targetE0EEEvT1_: ; @_ZN7rocprim17ROCPRIM_400000_NS6detail17trampoline_kernelINS0_14default_configENS1_35adjacent_difference_config_selectorILb0EjEEZNS1_24adjacent_difference_implIS3_Lb0ELb0EPjS7_N6thrust23THRUST_200600_302600_NS4plusIjEEEE10hipError_tPvRmT2_T3_mT4_P12ihipStream_tbEUlT_E_NS1_11comp_targetILNS1_3genE9ELNS1_11target_archE1100ELNS1_3gpuE3ELNS1_3repE0EEENS1_30default_config_static_selectorELNS0_4arch9wavefront6targetE0EEEvT1_
; %bb.0:
	s_load_b256 s[4:11], s[0:1], 0x0
	s_mov_b32 s2, 0x2cccca00
	s_waitcnt lgkmcnt(0)
	s_lshl_b64 s[6:7], s[6:7], 2
	s_delay_alu instid0(SALU_CYCLE_1) | instskip(SKIP_4) | instid1(VALU_DEP_1)
	s_add_u32 s17, s4, s6
	s_addc_u32 s18, s5, s7
	s_add_u32 s2, 0x230, s2
	s_addc_u32 s3, 0, 0
	v_add_co_u32 v1, s2, 0xa0000000, s2
	s_cmp_lg_u32 s2, 0
	s_addc_u32 s3, s3, 0xccccc
	s_delay_alu instid0(VALU_DEP_1) | instskip(SKIP_1) | instid1(VALU_DEP_1)
	v_readfirstlane_b32 s2, v1
	s_mul_i32 s4, s3, 0xffffec00
	s_mul_hi_u32 s5, s2, 0xffffec00
	s_mul_i32 s12, s2, 0xffffec00
	s_sub_i32 s5, s5, s2
	s_mul_hi_u32 s13, s2, s12
	s_add_i32 s5, s5, s4
	s_mul_hi_u32 s14, s3, s12
	s_mul_i32 s4, s3, s12
	s_mul_hi_u32 s12, s2, s5
	s_mul_i32 s2, s2, s5
	s_mul_hi_u32 s16, s3, s5
	s_add_u32 s2, s13, s2
	s_addc_u32 s12, 0, s12
	s_add_u32 s2, s2, s4
	s_mul_i32 s5, s3, s5
	s_addc_u32 s2, s12, s14
	s_addc_u32 s4, s16, 0
	s_add_u32 s2, s2, s5
	s_addc_u32 s4, 0, s4
	v_add_co_u32 v1, s2, v1, s2
	s_delay_alu instid0(VALU_DEP_1) | instskip(SKIP_1) | instid1(VALU_DEP_1)
	s_cmp_lg_u32 s2, 0
	s_addc_u32 s2, s3, s4
	v_readfirstlane_b32 s3, v1
	s_mul_i32 s5, s10, s2
	s_mul_hi_u32 s4, s10, s2
	s_mul_hi_u32 s12, s11, s2
	s_mul_i32 s2, s11, s2
	s_mul_hi_u32 s13, s10, s3
	s_mul_hi_u32 s14, s11, s3
	s_mul_i32 s3, s11, s3
	s_add_u32 s5, s13, s5
	s_addc_u32 s4, 0, s4
	s_add_u32 s3, s5, s3
	s_addc_u32 s3, s4, s14
	s_addc_u32 s4, s12, 0
	s_add_u32 s5, s3, s2
	s_addc_u32 s4, 0, s4
	s_mul_i32 s3, s5, 0x1400
	s_add_u32 s2, s5, 1
	v_sub_co_u32 v1, s3, s10, s3
	s_mul_hi_u32 s12, s5, 0x1400
	s_addc_u32 s13, s4, 0
	s_mul_i32 s14, s4, 0x1400
	s_delay_alu instid0(VALU_DEP_1)
	v_subrev_co_u32 v2, s16, 0x1400, v1
	s_add_u32 s19, s5, 2
	s_addc_u32 s20, s4, 0
	s_add_i32 s12, s12, s14
	s_cmp_lg_u32 s3, 0
	v_readfirstlane_b32 s3, v2
	s_subb_u32 s12, s11, s12
	s_cmp_lg_u32 s16, 0
	s_subb_u32 s14, s12, 0
	s_delay_alu instid0(VALU_DEP_1) | instskip(SKIP_4) | instid1(SALU_CYCLE_1)
	s_cmpk_gt_u32 s3, 0x13ff
	s_cselect_b32 s3, -1, 0
	s_cmp_eq_u32 s14, 0
	v_readfirstlane_b32 s14, v1
	s_cselect_b32 s3, s3, -1
	s_cmp_lg_u32 s3, 0
	s_cselect_b32 s16, s19, s2
	s_cselect_b32 s13, s20, s13
	s_cmpk_gt_u32 s14, 0x13ff
	s_mov_b32 s14, -1
	s_cselect_b32 s2, -1, 0
	s_cmp_eq_u32 s12, 0
	s_cselect_b32 s2, s2, -1
	s_delay_alu instid0(SALU_CYCLE_1)
	s_cmp_lg_u32 s2, 0
	s_load_b64 s[2:3], s[0:1], 0x30
	s_cselect_b32 s4, s13, s4
	s_cselect_b32 s5, s16, s5
	s_mul_i32 s0, s4, 0x1400
	s_mul_hi_u32 s1, s5, 0x1400
	s_mul_i32 s12, s5, 0x1400
	s_add_i32 s1, s1, s0
	s_sub_u32 s0, s10, s12
	s_subb_u32 s1, s11, s1
	s_delay_alu instid0(SALU_CYCLE_1) | instskip(SKIP_1) | instid1(SALU_CYCLE_1)
	s_cmp_lg_u64 s[0:1], 0
	s_cselect_b32 s0, -1, 0
	v_cndmask_b32_e64 v1, 0, 1, s0
	s_delay_alu instid0(VALU_DEP_1) | instskip(NEXT) | instid1(VALU_DEP_1)
	v_readfirstlane_b32 s0, v1
	s_add_u32 s0, s5, s0
	s_addc_u32 s1, s4, 0
	s_waitcnt lgkmcnt(0)
	s_add_u32 s4, s2, s15
	s_addc_u32 s5, s3, 0
	s_add_u32 s12, s0, -1
	s_addc_u32 s13, s1, -1
	s_mul_i32 s2, s15, 0x1400
	v_cmp_ge_u64_e64 s16, s[4:5], s[12:13]
	s_mov_b32 s3, 0
	s_mul_i32 s11, s12, 0xffffec00
	s_delay_alu instid0(VALU_DEP_1)
	s_and_b32 vcc_lo, exec_lo, s16
	s_cbranch_vccz .LBB186_12
; %bb.1:
	s_lshl_b64 s[14:15], s[2:3], 2
	s_add_i32 s19, s11, s10
	s_add_u32 s14, s17, s14
	s_addc_u32 s15, s18, s15
	s_mov_b32 s3, exec_lo
                                        ; implicit-def: $vgpr1_vgpr2_vgpr3_vgpr4_vgpr5
	v_cmpx_gt_u32_e64 s19, v0
	s_cbranch_execz .LBB186_3
; %bb.2:
	v_lshlrev_b32_e32 v1, 2, v0
	global_load_b32 v1, v1, s[14:15]
.LBB186_3:
	s_or_b32 exec_lo, exec_lo, s3
	v_or_b32_e32 v6, 0x400, v0
	s_mov_b32 s3, exec_lo
	s_delay_alu instid0(VALU_DEP_1)
	v_cmpx_gt_u32_e64 s19, v6
	s_cbranch_execz .LBB186_5
; %bb.4:
	v_lshlrev_b32_e32 v2, 2, v6
	global_load_b32 v2, v2, s[14:15]
.LBB186_5:
	s_or_b32 exec_lo, exec_lo, s3
	v_or_b32_e32 v6, 0x800, v0
	s_mov_b32 s3, exec_lo
	s_delay_alu instid0(VALU_DEP_1)
	;; [unrolled: 10-line block ×4, first 2 shown]
	v_cmpx_gt_u32_e64 s19, v6
	s_cbranch_execz .LBB186_11
; %bb.10:
	v_lshlrev_b32_e32 v5, 2, v6
	global_load_b32 v5, v5, s[14:15]
.LBB186_11:
	s_or_b32 exec_lo, exec_lo, s3
	v_lshlrev_b32_e32 v6, 2, v0
	s_mov_b32 s14, 0
	s_waitcnt vmcnt(0)
	ds_store_2addr_stride64_b32 v6, v1, v2 offset1:16
	ds_store_2addr_stride64_b32 v6, v3, v4 offset0:32 offset1:48
	ds_store_b32 v6, v5 offset:16384
	s_waitcnt lgkmcnt(0)
	s_barrier
.LBB186_12:
	v_lshlrev_b32_e32 v8, 2, v0
	s_and_b32 vcc_lo, exec_lo, s14
	s_cbranch_vccz .LBB186_14
; %bb.13:
	s_mov_b32 s3, 0
	s_delay_alu instid0(SALU_CYCLE_1) | instskip(NEXT) | instid1(SALU_CYCLE_1)
	s_lshl_b64 s[14:15], s[2:3], 2
	s_add_u32 s14, s17, s14
	s_addc_u32 s15, s18, s15
	v_add_co_u32 v3, s3, s14, v8
	s_delay_alu instid0(VALU_DEP_1) | instskip(NEXT) | instid1(VALU_DEP_2)
	v_add_co_ci_u32_e64 v4, null, s15, 0, s3
	v_add_co_u32 v1, vcc_lo, v3, 0x2000
	s_delay_alu instid0(VALU_DEP_2)
	v_add_co_ci_u32_e32 v2, vcc_lo, 0, v4, vcc_lo
	v_add_co_u32 v3, vcc_lo, v3, 0x4000
	v_add_co_ci_u32_e32 v4, vcc_lo, 0, v4, vcc_lo
	s_clause 0x4
	global_load_b32 v5, v8, s[14:15]
	global_load_b32 v6, v[1:2], off offset:-4096
	global_load_b32 v1, v[1:2], off
	global_load_b32 v2, v[3:4], off offset:-4096
	global_load_b32 v3, v[3:4], off
	s_waitcnt vmcnt(3)
	ds_store_2addr_stride64_b32 v8, v5, v6 offset1:16
	s_waitcnt vmcnt(1)
	ds_store_2addr_stride64_b32 v8, v1, v2 offset0:32 offset1:48
	s_waitcnt vmcnt(0)
	ds_store_b32 v8, v3 offset:16384
	s_waitcnt lgkmcnt(0)
	s_barrier
.LBB186_14:
	v_mul_u32_u24_e32 v1, 5, v0
	buffer_gl0_inv
	s_cmp_eq_u64 s[4:5], 0
	v_lshlrev_b32_e32 v5, 2, v1
	ds_load_2addr_b32 v[1:2], v5 offset1:1
	ds_load_2addr_b32 v[3:4], v5 offset0:2 offset1:3
	ds_load_b32 v5, v5 offset:16
	s_waitcnt lgkmcnt(0)
	s_barrier
	buffer_gl0_inv
	s_cbranch_scc1 .LBB186_19
; %bb.15:
	s_mov_b32 s3, 0
	s_delay_alu instid0(SALU_CYCLE_1) | instskip(NEXT) | instid1(SALU_CYCLE_1)
	s_lshl_b64 s[14:15], s[2:3], 2
	s_add_u32 s3, s17, s14
	s_addc_u32 s15, s18, s15
	s_add_u32 s14, s3, -4
	s_addc_u32 s15, s15, -1
	s_cmp_eq_u64 s[4:5], s[12:13]
	s_load_b32 s3, s[14:15], 0x0
	s_cbranch_scc1 .LBB186_20
; %bb.16:
	s_waitcnt lgkmcnt(0)
	v_mov_b32_e32 v6, s3
	s_mov_b32 s5, exec_lo
	ds_store_b32 v8, v5
	s_waitcnt lgkmcnt(0)
	s_barrier
	buffer_gl0_inv
	v_cmpx_ne_u32_e32 0, v0
	s_cbranch_execz .LBB186_18
; %bb.17:
	v_add_nc_u32_e32 v6, -4, v8
	ds_load_b32 v6, v6
.LBB186_18:
	s_or_b32 exec_lo, exec_lo, s5
	v_add_nc_u32_e32 v9, v5, v4
	v_add_nc_u32_e32 v10, v4, v3
	;; [unrolled: 1-line block ×4, first 2 shown]
	s_cbranch_execz .LBB186_21
	s_branch .LBB186_24
.LBB186_19:
	s_mov_b32 s3, 0
                                        ; implicit-def: $vgpr9
                                        ; implicit-def: $vgpr10
                                        ; implicit-def: $vgpr11
                                        ; implicit-def: $vgpr12
                                        ; implicit-def: $vgpr6
	s_branch .LBB186_25
.LBB186_20:
                                        ; implicit-def: $vgpr9
                                        ; implicit-def: $vgpr10
                                        ; implicit-def: $vgpr11
                                        ; implicit-def: $vgpr12
                                        ; implicit-def: $vgpr6
.LBB186_21:
	s_waitcnt lgkmcnt(0)
	v_mul_u32_u24_e32 v6, 5, v0
	v_mov_b32_e32 v7, s3
	s_mov_b32 s3, exec_lo
	ds_store_b32 v8, v5
	s_waitcnt lgkmcnt(0)
	s_barrier
	buffer_gl0_inv
	v_cmpx_ne_u32_e32 0, v0
	s_cbranch_execz .LBB186_23
; %bb.22:
	v_add_nc_u32_e32 v7, -4, v8
	ds_load_b32 v7, v7
.LBB186_23:
	s_or_b32 exec_lo, exec_lo, s3
	v_add_nc_u32_e32 v11, v4, v3
	v_add_nc_u32_e32 v9, 4, v6
	s_mul_i32 s3, s4, 0xffffec00
	v_add_nc_u32_e32 v13, v3, v2
	s_add_i32 s3, s3, s10
	v_add_nc_u32_e32 v10, v5, v4
	v_cmp_gt_u32_e32 vcc_lo, s3, v9
	v_add_nc_u32_e32 v15, v2, v1
	v_add_nc_u32_e32 v12, 2, v6
	;; [unrolled: 1-line block ×3, first 2 shown]
	v_cndmask_b32_e32 v9, v5, v10, vcc_lo
	v_add_nc_u32_e32 v10, 3, v6
	s_delay_alu instid0(VALU_DEP_1)
	v_cmp_gt_u32_e32 vcc_lo, s3, v10
	v_cndmask_b32_e32 v10, v4, v11, vcc_lo
	v_cmp_gt_u32_e32 vcc_lo, s3, v12
	v_cndmask_b32_e32 v11, v3, v13, vcc_lo
	;; [unrolled: 2-line block ×3, first 2 shown]
	v_cmp_gt_u32_e32 vcc_lo, s3, v6
	s_waitcnt lgkmcnt(0)
	v_cndmask_b32_e32 v6, 0, v7, vcc_lo
.LBB186_24:
	s_waitcnt lgkmcnt(0)
	s_mov_b32 s3, -1
	s_cbranch_execnz .LBB186_33
.LBB186_25:
	v_add_nc_u32_e32 v9, v5, v4
	v_add_nc_u32_e32 v10, v4, v3
	;; [unrolled: 1-line block ×4, first 2 shown]
	v_cmp_ne_u32_e32 vcc_lo, 0, v0
	s_cmp_lg_u64 s[0:1], 1
	s_cbranch_scc0 .LBB186_29
; %bb.26:
	s_mov_b32 s0, 0
	ds_store_b32 v8, v5
	s_waitcnt lgkmcnt(0)
	s_barrier
	buffer_gl0_inv
                                        ; implicit-def: $vgpr6
	s_and_saveexec_b32 s1, vcc_lo
	s_cbranch_execz .LBB186_28
; %bb.27:
	v_add_nc_u32_e32 v6, -4, v8
	s_or_b32 s3, s3, exec_lo
	ds_load_b32 v6, v6
.LBB186_28:
	s_or_b32 exec_lo, exec_lo, s1
	s_delay_alu instid0(SALU_CYCLE_1)
	s_and_b32 vcc_lo, exec_lo, s0
	s_cbranch_vccnz .LBB186_30
	s_branch .LBB186_33
.LBB186_29:
                                        ; implicit-def: $vgpr6
	s_cbranch_execz .LBB186_33
.LBB186_30:
	s_waitcnt lgkmcnt(0)
	v_mad_u32_u24 v6, v0, 5, 4
	v_mad_u32_u24 v7, v0, 5, 3
	;; [unrolled: 1-line block ×3, first 2 shown]
	v_mul_u32_u24_e32 v13, 5, v0
	ds_store_b32 v8, v5
	v_cmp_gt_u32_e32 vcc_lo, s10, v6
	s_waitcnt lgkmcnt(0)
	s_barrier
	v_cmp_gt_u32_e64 s0, s10, v13
	buffer_gl0_inv
	v_cndmask_b32_e32 v9, v5, v9, vcc_lo
	v_cmp_gt_u32_e32 vcc_lo, s10, v7
                                        ; implicit-def: $vgpr6
	v_cndmask_b32_e32 v10, v4, v10, vcc_lo
	v_mad_u32_u24 v4, v0, 5, 1
	v_cmp_gt_u32_e32 vcc_lo, s10, v14
	s_delay_alu instid0(VALU_DEP_2) | instskip(SKIP_2) | instid1(VALU_DEP_3)
	v_cmp_gt_u32_e64 s1, s10, v4
	v_cndmask_b32_e32 v11, v3, v11, vcc_lo
	v_cmp_ne_u32_e32 vcc_lo, 0, v0
	v_cndmask_b32_e64 v12, v2, v12, s1
	s_and_b32 s1, vcc_lo, s0
	s_delay_alu instid0(SALU_CYCLE_1)
	s_and_saveexec_b32 s0, s1
	s_cbranch_execz .LBB186_32
; %bb.31:
	v_add_nc_u32_e32 v2, -4, v8
	s_or_b32 s3, s3, exec_lo
	ds_load_b32 v6, v2
.LBB186_32:
	s_or_b32 exec_lo, exec_lo, s0
.LBB186_33:
	s_and_saveexec_b32 s0, s3
	s_cbranch_execz .LBB186_35
; %bb.34:
	s_waitcnt lgkmcnt(0)
	v_add_nc_u32_e32 v1, v6, v1
.LBB186_35:
	s_or_b32 exec_lo, exec_lo, s0
	v_mul_u32_u24_e32 v13, 20, v0
	v_lshlrev_b32_e32 v14, 4, v0
	s_add_u32 s1, s8, s6
	s_addc_u32 s0, s9, s7
	s_and_b32 vcc_lo, exec_lo, s16
	s_waitcnt lgkmcnt(0)
	s_barrier
	buffer_gl0_inv
	s_cbranch_vccz .LBB186_45
; %bb.36:
	v_sub_nc_u32_e32 v2, v13, v14
	ds_store_2addr_b32 v13, v1, v12 offset1:1
	ds_store_2addr_b32 v13, v11, v10 offset0:2 offset1:3
	ds_store_b32 v13, v9 offset:16
	s_waitcnt lgkmcnt(0)
	s_barrier
	buffer_gl0_inv
	ds_load_2addr_stride64_b32 v[6:7], v2 offset0:16 offset1:32
	ds_load_2addr_stride64_b32 v[2:3], v2 offset0:48 offset1:64
	s_mov_b32 s3, 0
	s_add_i32 s11, s11, s10
	s_lshl_b64 s[4:5], s[2:3], 2
	s_delay_alu instid0(SALU_CYCLE_1) | instskip(SKIP_2) | instid1(VALU_DEP_1)
	s_add_u32 s3, s1, s4
	s_addc_u32 s4, s0, s5
	v_add_co_u32 v4, s3, s3, v8
	v_add_co_ci_u32_e64 v5, null, s4, 0, s3
	s_mov_b32 s3, exec_lo
	v_cmpx_gt_u32_e64 s11, v0
	s_cbranch_execz .LBB186_38
; %bb.37:
	v_sub_nc_u32_e32 v15, 0, v14
	s_delay_alu instid0(VALU_DEP_1)
	v_add_nc_u32_e32 v15, v13, v15
	ds_load_b32 v15, v15
	s_waitcnt lgkmcnt(0)
	global_store_b32 v[4:5], v15, off
.LBB186_38:
	s_or_b32 exec_lo, exec_lo, s3
	v_or_b32_e32 v15, 0x400, v0
	s_mov_b32 s3, exec_lo
	s_delay_alu instid0(VALU_DEP_1)
	v_cmpx_gt_u32_e64 s11, v15
	s_cbranch_execz .LBB186_40
; %bb.39:
	v_add_co_u32 v15, vcc_lo, 0x1000, v4
	v_add_co_ci_u32_e32 v16, vcc_lo, 0, v5, vcc_lo
	s_waitcnt lgkmcnt(1)
	global_store_b32 v[15:16], v6, off
.LBB186_40:
	s_or_b32 exec_lo, exec_lo, s3
	s_waitcnt lgkmcnt(1)
	v_or_b32_e32 v6, 0x800, v0
	s_mov_b32 s3, exec_lo
	s_delay_alu instid0(VALU_DEP_1)
	v_cmpx_gt_u32_e64 s11, v6
	s_cbranch_execz .LBB186_42
; %bb.41:
	v_add_co_u32 v15, vcc_lo, 0x2000, v4
	v_add_co_ci_u32_e32 v16, vcc_lo, 0, v5, vcc_lo
	global_store_b32 v[15:16], v7, off
.LBB186_42:
	s_or_b32 exec_lo, exec_lo, s3
	v_or_b32_e32 v6, 0xc00, v0
	s_mov_b32 s3, exec_lo
	s_delay_alu instid0(VALU_DEP_1)
	v_cmpx_gt_u32_e64 s11, v6
	s_cbranch_execz .LBB186_44
; %bb.43:
	v_add_co_u32 v6, vcc_lo, 0x3000, v4
	v_add_co_ci_u32_e32 v7, vcc_lo, 0, v5, vcc_lo
	s_waitcnt lgkmcnt(0)
	global_store_b32 v[6:7], v2, off
.LBB186_44:
	s_or_b32 exec_lo, exec_lo, s3
	v_or_b32_e32 v0, 0x1000, v0
	s_delay_alu instid0(VALU_DEP_1)
	v_cmp_gt_u32_e64 s4, s11, v0
	s_branch .LBB186_47
.LBB186_45:
	s_mov_b32 s4, 0
                                        ; implicit-def: $vgpr3
                                        ; implicit-def: $vgpr4_vgpr5
	s_cbranch_execz .LBB186_47
; %bb.46:
	s_waitcnt lgkmcnt(0)
	v_sub_nc_u32_e32 v2, v13, v14
	s_mov_b32 s3, 0
	ds_store_2addr_b32 v13, v1, v12 offset1:1
	ds_store_2addr_b32 v13, v11, v10 offset0:2 offset1:3
	ds_store_b32 v13, v9 offset:16
	s_waitcnt lgkmcnt(0)
	s_waitcnt_vscnt null, 0x0
	s_barrier
	buffer_gl0_inv
	ds_load_2addr_stride64_b32 v[0:1], v2 offset1:16
	ds_load_2addr_stride64_b32 v[6:7], v2 offset0:32 offset1:48
	ds_load_b32 v3, v2 offset:16384
	s_lshl_b64 s[2:3], s[2:3], 2
	s_delay_alu instid0(SALU_CYCLE_1) | instskip(SKIP_2) | instid1(VALU_DEP_1)
	s_add_u32 s2, s1, s2
	s_addc_u32 s3, s0, s3
	v_add_co_u32 v4, s0, s2, v8
	v_add_co_ci_u32_e64 v5, null, s3, 0, s0
	s_or_b32 s4, s4, exec_lo
	s_delay_alu instid0(VALU_DEP_2) | instskip(NEXT) | instid1(VALU_DEP_2)
	v_add_co_u32 v9, vcc_lo, v4, 0x2000
	v_add_co_ci_u32_e32 v10, vcc_lo, 0, v5, vcc_lo
	v_add_co_u32 v11, vcc_lo, 0x3000, v4
	v_add_co_ci_u32_e32 v12, vcc_lo, 0, v5, vcc_lo
	s_waitcnt lgkmcnt(2)
	s_clause 0x1
	global_store_b32 v[9:10], v1, off offset:-4096
	global_store_b32 v8, v0, s[2:3]
	s_waitcnt lgkmcnt(1)
	s_clause 0x1
	global_store_b32 v[9:10], v6, off
	global_store_b32 v[11:12], v7, off
.LBB186_47:
	s_delay_alu instid0(VALU_DEP_1)
	s_and_saveexec_b32 s0, s4
	s_cbranch_execnz .LBB186_49
; %bb.48:
	s_nop 0
	s_sendmsg sendmsg(MSG_DEALLOC_VGPRS)
	s_endpgm
.LBB186_49:
	v_add_co_u32 v0, vcc_lo, 0x4000, v4
	v_add_co_ci_u32_e32 v1, vcc_lo, 0, v5, vcc_lo
	s_waitcnt lgkmcnt(0)
	global_store_b32 v[0:1], v3, off
	s_nop 0
	s_sendmsg sendmsg(MSG_DEALLOC_VGPRS)
	s_endpgm
	.section	.rodata,"a",@progbits
	.p2align	6, 0x0
	.amdhsa_kernel _ZN7rocprim17ROCPRIM_400000_NS6detail17trampoline_kernelINS0_14default_configENS1_35adjacent_difference_config_selectorILb0EjEEZNS1_24adjacent_difference_implIS3_Lb0ELb0EPjS7_N6thrust23THRUST_200600_302600_NS4plusIjEEEE10hipError_tPvRmT2_T3_mT4_P12ihipStream_tbEUlT_E_NS1_11comp_targetILNS1_3genE9ELNS1_11target_archE1100ELNS1_3gpuE3ELNS1_3repE0EEENS1_30default_config_static_selectorELNS0_4arch9wavefront6targetE0EEEvT1_
		.amdhsa_group_segment_fixed_size 20480
		.amdhsa_private_segment_fixed_size 0
		.amdhsa_kernarg_size 56
		.amdhsa_user_sgpr_count 15
		.amdhsa_user_sgpr_dispatch_ptr 0
		.amdhsa_user_sgpr_queue_ptr 0
		.amdhsa_user_sgpr_kernarg_segment_ptr 1
		.amdhsa_user_sgpr_dispatch_id 0
		.amdhsa_user_sgpr_private_segment_size 0
		.amdhsa_wavefront_size32 1
		.amdhsa_uses_dynamic_stack 0
		.amdhsa_enable_private_segment 0
		.amdhsa_system_sgpr_workgroup_id_x 1
		.amdhsa_system_sgpr_workgroup_id_y 0
		.amdhsa_system_sgpr_workgroup_id_z 0
		.amdhsa_system_sgpr_workgroup_info 0
		.amdhsa_system_vgpr_workitem_id 0
		.amdhsa_next_free_vgpr 17
		.amdhsa_next_free_sgpr 21
		.amdhsa_reserve_vcc 1
		.amdhsa_float_round_mode_32 0
		.amdhsa_float_round_mode_16_64 0
		.amdhsa_float_denorm_mode_32 3
		.amdhsa_float_denorm_mode_16_64 3
		.amdhsa_dx10_clamp 1
		.amdhsa_ieee_mode 1
		.amdhsa_fp16_overflow 0
		.amdhsa_workgroup_processor_mode 1
		.amdhsa_memory_ordered 1
		.amdhsa_forward_progress 0
		.amdhsa_shared_vgpr_count 0
		.amdhsa_exception_fp_ieee_invalid_op 0
		.amdhsa_exception_fp_denorm_src 0
		.amdhsa_exception_fp_ieee_div_zero 0
		.amdhsa_exception_fp_ieee_overflow 0
		.amdhsa_exception_fp_ieee_underflow 0
		.amdhsa_exception_fp_ieee_inexact 0
		.amdhsa_exception_int_div_zero 0
	.end_amdhsa_kernel
	.section	.text._ZN7rocprim17ROCPRIM_400000_NS6detail17trampoline_kernelINS0_14default_configENS1_35adjacent_difference_config_selectorILb0EjEEZNS1_24adjacent_difference_implIS3_Lb0ELb0EPjS7_N6thrust23THRUST_200600_302600_NS4plusIjEEEE10hipError_tPvRmT2_T3_mT4_P12ihipStream_tbEUlT_E_NS1_11comp_targetILNS1_3genE9ELNS1_11target_archE1100ELNS1_3gpuE3ELNS1_3repE0EEENS1_30default_config_static_selectorELNS0_4arch9wavefront6targetE0EEEvT1_,"axG",@progbits,_ZN7rocprim17ROCPRIM_400000_NS6detail17trampoline_kernelINS0_14default_configENS1_35adjacent_difference_config_selectorILb0EjEEZNS1_24adjacent_difference_implIS3_Lb0ELb0EPjS7_N6thrust23THRUST_200600_302600_NS4plusIjEEEE10hipError_tPvRmT2_T3_mT4_P12ihipStream_tbEUlT_E_NS1_11comp_targetILNS1_3genE9ELNS1_11target_archE1100ELNS1_3gpuE3ELNS1_3repE0EEENS1_30default_config_static_selectorELNS0_4arch9wavefront6targetE0EEEvT1_,comdat
.Lfunc_end186:
	.size	_ZN7rocprim17ROCPRIM_400000_NS6detail17trampoline_kernelINS0_14default_configENS1_35adjacent_difference_config_selectorILb0EjEEZNS1_24adjacent_difference_implIS3_Lb0ELb0EPjS7_N6thrust23THRUST_200600_302600_NS4plusIjEEEE10hipError_tPvRmT2_T3_mT4_P12ihipStream_tbEUlT_E_NS1_11comp_targetILNS1_3genE9ELNS1_11target_archE1100ELNS1_3gpuE3ELNS1_3repE0EEENS1_30default_config_static_selectorELNS0_4arch9wavefront6targetE0EEEvT1_, .Lfunc_end186-_ZN7rocprim17ROCPRIM_400000_NS6detail17trampoline_kernelINS0_14default_configENS1_35adjacent_difference_config_selectorILb0EjEEZNS1_24adjacent_difference_implIS3_Lb0ELb0EPjS7_N6thrust23THRUST_200600_302600_NS4plusIjEEEE10hipError_tPvRmT2_T3_mT4_P12ihipStream_tbEUlT_E_NS1_11comp_targetILNS1_3genE9ELNS1_11target_archE1100ELNS1_3gpuE3ELNS1_3repE0EEENS1_30default_config_static_selectorELNS0_4arch9wavefront6targetE0EEEvT1_
                                        ; -- End function
	.section	.AMDGPU.csdata,"",@progbits
; Kernel info:
; codeLenInByte = 2308
; NumSgprs: 23
; NumVgprs: 17
; ScratchSize: 0
; MemoryBound: 0
; FloatMode: 240
; IeeeMode: 1
; LDSByteSize: 20480 bytes/workgroup (compile time only)
; SGPRBlocks: 2
; VGPRBlocks: 2
; NumSGPRsForWavesPerEU: 23
; NumVGPRsForWavesPerEU: 17
; Occupancy: 16
; WaveLimiterHint : 1
; COMPUTE_PGM_RSRC2:SCRATCH_EN: 0
; COMPUTE_PGM_RSRC2:USER_SGPR: 15
; COMPUTE_PGM_RSRC2:TRAP_HANDLER: 0
; COMPUTE_PGM_RSRC2:TGID_X_EN: 1
; COMPUTE_PGM_RSRC2:TGID_Y_EN: 0
; COMPUTE_PGM_RSRC2:TGID_Z_EN: 0
; COMPUTE_PGM_RSRC2:TIDIG_COMP_CNT: 0
	.section	.text._ZN7rocprim17ROCPRIM_400000_NS6detail17trampoline_kernelINS0_14default_configENS1_35adjacent_difference_config_selectorILb0EjEEZNS1_24adjacent_difference_implIS3_Lb0ELb0EPjS7_N6thrust23THRUST_200600_302600_NS4plusIjEEEE10hipError_tPvRmT2_T3_mT4_P12ihipStream_tbEUlT_E_NS1_11comp_targetILNS1_3genE8ELNS1_11target_archE1030ELNS1_3gpuE2ELNS1_3repE0EEENS1_30default_config_static_selectorELNS0_4arch9wavefront6targetE0EEEvT1_,"axG",@progbits,_ZN7rocprim17ROCPRIM_400000_NS6detail17trampoline_kernelINS0_14default_configENS1_35adjacent_difference_config_selectorILb0EjEEZNS1_24adjacent_difference_implIS3_Lb0ELb0EPjS7_N6thrust23THRUST_200600_302600_NS4plusIjEEEE10hipError_tPvRmT2_T3_mT4_P12ihipStream_tbEUlT_E_NS1_11comp_targetILNS1_3genE8ELNS1_11target_archE1030ELNS1_3gpuE2ELNS1_3repE0EEENS1_30default_config_static_selectorELNS0_4arch9wavefront6targetE0EEEvT1_,comdat
	.protected	_ZN7rocprim17ROCPRIM_400000_NS6detail17trampoline_kernelINS0_14default_configENS1_35adjacent_difference_config_selectorILb0EjEEZNS1_24adjacent_difference_implIS3_Lb0ELb0EPjS7_N6thrust23THRUST_200600_302600_NS4plusIjEEEE10hipError_tPvRmT2_T3_mT4_P12ihipStream_tbEUlT_E_NS1_11comp_targetILNS1_3genE8ELNS1_11target_archE1030ELNS1_3gpuE2ELNS1_3repE0EEENS1_30default_config_static_selectorELNS0_4arch9wavefront6targetE0EEEvT1_ ; -- Begin function _ZN7rocprim17ROCPRIM_400000_NS6detail17trampoline_kernelINS0_14default_configENS1_35adjacent_difference_config_selectorILb0EjEEZNS1_24adjacent_difference_implIS3_Lb0ELb0EPjS7_N6thrust23THRUST_200600_302600_NS4plusIjEEEE10hipError_tPvRmT2_T3_mT4_P12ihipStream_tbEUlT_E_NS1_11comp_targetILNS1_3genE8ELNS1_11target_archE1030ELNS1_3gpuE2ELNS1_3repE0EEENS1_30default_config_static_selectorELNS0_4arch9wavefront6targetE0EEEvT1_
	.globl	_ZN7rocprim17ROCPRIM_400000_NS6detail17trampoline_kernelINS0_14default_configENS1_35adjacent_difference_config_selectorILb0EjEEZNS1_24adjacent_difference_implIS3_Lb0ELb0EPjS7_N6thrust23THRUST_200600_302600_NS4plusIjEEEE10hipError_tPvRmT2_T3_mT4_P12ihipStream_tbEUlT_E_NS1_11comp_targetILNS1_3genE8ELNS1_11target_archE1030ELNS1_3gpuE2ELNS1_3repE0EEENS1_30default_config_static_selectorELNS0_4arch9wavefront6targetE0EEEvT1_
	.p2align	8
	.type	_ZN7rocprim17ROCPRIM_400000_NS6detail17trampoline_kernelINS0_14default_configENS1_35adjacent_difference_config_selectorILb0EjEEZNS1_24adjacent_difference_implIS3_Lb0ELb0EPjS7_N6thrust23THRUST_200600_302600_NS4plusIjEEEE10hipError_tPvRmT2_T3_mT4_P12ihipStream_tbEUlT_E_NS1_11comp_targetILNS1_3genE8ELNS1_11target_archE1030ELNS1_3gpuE2ELNS1_3repE0EEENS1_30default_config_static_selectorELNS0_4arch9wavefront6targetE0EEEvT1_,@function
_ZN7rocprim17ROCPRIM_400000_NS6detail17trampoline_kernelINS0_14default_configENS1_35adjacent_difference_config_selectorILb0EjEEZNS1_24adjacent_difference_implIS3_Lb0ELb0EPjS7_N6thrust23THRUST_200600_302600_NS4plusIjEEEE10hipError_tPvRmT2_T3_mT4_P12ihipStream_tbEUlT_E_NS1_11comp_targetILNS1_3genE8ELNS1_11target_archE1030ELNS1_3gpuE2ELNS1_3repE0EEENS1_30default_config_static_selectorELNS0_4arch9wavefront6targetE0EEEvT1_: ; @_ZN7rocprim17ROCPRIM_400000_NS6detail17trampoline_kernelINS0_14default_configENS1_35adjacent_difference_config_selectorILb0EjEEZNS1_24adjacent_difference_implIS3_Lb0ELb0EPjS7_N6thrust23THRUST_200600_302600_NS4plusIjEEEE10hipError_tPvRmT2_T3_mT4_P12ihipStream_tbEUlT_E_NS1_11comp_targetILNS1_3genE8ELNS1_11target_archE1030ELNS1_3gpuE2ELNS1_3repE0EEENS1_30default_config_static_selectorELNS0_4arch9wavefront6targetE0EEEvT1_
; %bb.0:
	.section	.rodata,"a",@progbits
	.p2align	6, 0x0
	.amdhsa_kernel _ZN7rocprim17ROCPRIM_400000_NS6detail17trampoline_kernelINS0_14default_configENS1_35adjacent_difference_config_selectorILb0EjEEZNS1_24adjacent_difference_implIS3_Lb0ELb0EPjS7_N6thrust23THRUST_200600_302600_NS4plusIjEEEE10hipError_tPvRmT2_T3_mT4_P12ihipStream_tbEUlT_E_NS1_11comp_targetILNS1_3genE8ELNS1_11target_archE1030ELNS1_3gpuE2ELNS1_3repE0EEENS1_30default_config_static_selectorELNS0_4arch9wavefront6targetE0EEEvT1_
		.amdhsa_group_segment_fixed_size 0
		.amdhsa_private_segment_fixed_size 0
		.amdhsa_kernarg_size 56
		.amdhsa_user_sgpr_count 15
		.amdhsa_user_sgpr_dispatch_ptr 0
		.amdhsa_user_sgpr_queue_ptr 0
		.amdhsa_user_sgpr_kernarg_segment_ptr 1
		.amdhsa_user_sgpr_dispatch_id 0
		.amdhsa_user_sgpr_private_segment_size 0
		.amdhsa_wavefront_size32 1
		.amdhsa_uses_dynamic_stack 0
		.amdhsa_enable_private_segment 0
		.amdhsa_system_sgpr_workgroup_id_x 1
		.amdhsa_system_sgpr_workgroup_id_y 0
		.amdhsa_system_sgpr_workgroup_id_z 0
		.amdhsa_system_sgpr_workgroup_info 0
		.amdhsa_system_vgpr_workitem_id 0
		.amdhsa_next_free_vgpr 1
		.amdhsa_next_free_sgpr 1
		.amdhsa_reserve_vcc 0
		.amdhsa_float_round_mode_32 0
		.amdhsa_float_round_mode_16_64 0
		.amdhsa_float_denorm_mode_32 3
		.amdhsa_float_denorm_mode_16_64 3
		.amdhsa_dx10_clamp 1
		.amdhsa_ieee_mode 1
		.amdhsa_fp16_overflow 0
		.amdhsa_workgroup_processor_mode 1
		.amdhsa_memory_ordered 1
		.amdhsa_forward_progress 0
		.amdhsa_shared_vgpr_count 0
		.amdhsa_exception_fp_ieee_invalid_op 0
		.amdhsa_exception_fp_denorm_src 0
		.amdhsa_exception_fp_ieee_div_zero 0
		.amdhsa_exception_fp_ieee_overflow 0
		.amdhsa_exception_fp_ieee_underflow 0
		.amdhsa_exception_fp_ieee_inexact 0
		.amdhsa_exception_int_div_zero 0
	.end_amdhsa_kernel
	.section	.text._ZN7rocprim17ROCPRIM_400000_NS6detail17trampoline_kernelINS0_14default_configENS1_35adjacent_difference_config_selectorILb0EjEEZNS1_24adjacent_difference_implIS3_Lb0ELb0EPjS7_N6thrust23THRUST_200600_302600_NS4plusIjEEEE10hipError_tPvRmT2_T3_mT4_P12ihipStream_tbEUlT_E_NS1_11comp_targetILNS1_3genE8ELNS1_11target_archE1030ELNS1_3gpuE2ELNS1_3repE0EEENS1_30default_config_static_selectorELNS0_4arch9wavefront6targetE0EEEvT1_,"axG",@progbits,_ZN7rocprim17ROCPRIM_400000_NS6detail17trampoline_kernelINS0_14default_configENS1_35adjacent_difference_config_selectorILb0EjEEZNS1_24adjacent_difference_implIS3_Lb0ELb0EPjS7_N6thrust23THRUST_200600_302600_NS4plusIjEEEE10hipError_tPvRmT2_T3_mT4_P12ihipStream_tbEUlT_E_NS1_11comp_targetILNS1_3genE8ELNS1_11target_archE1030ELNS1_3gpuE2ELNS1_3repE0EEENS1_30default_config_static_selectorELNS0_4arch9wavefront6targetE0EEEvT1_,comdat
.Lfunc_end187:
	.size	_ZN7rocprim17ROCPRIM_400000_NS6detail17trampoline_kernelINS0_14default_configENS1_35adjacent_difference_config_selectorILb0EjEEZNS1_24adjacent_difference_implIS3_Lb0ELb0EPjS7_N6thrust23THRUST_200600_302600_NS4plusIjEEEE10hipError_tPvRmT2_T3_mT4_P12ihipStream_tbEUlT_E_NS1_11comp_targetILNS1_3genE8ELNS1_11target_archE1030ELNS1_3gpuE2ELNS1_3repE0EEENS1_30default_config_static_selectorELNS0_4arch9wavefront6targetE0EEEvT1_, .Lfunc_end187-_ZN7rocprim17ROCPRIM_400000_NS6detail17trampoline_kernelINS0_14default_configENS1_35adjacent_difference_config_selectorILb0EjEEZNS1_24adjacent_difference_implIS3_Lb0ELb0EPjS7_N6thrust23THRUST_200600_302600_NS4plusIjEEEE10hipError_tPvRmT2_T3_mT4_P12ihipStream_tbEUlT_E_NS1_11comp_targetILNS1_3genE8ELNS1_11target_archE1030ELNS1_3gpuE2ELNS1_3repE0EEENS1_30default_config_static_selectorELNS0_4arch9wavefront6targetE0EEEvT1_
                                        ; -- End function
	.section	.AMDGPU.csdata,"",@progbits
; Kernel info:
; codeLenInByte = 0
; NumSgprs: 0
; NumVgprs: 0
; ScratchSize: 0
; MemoryBound: 0
; FloatMode: 240
; IeeeMode: 1
; LDSByteSize: 0 bytes/workgroup (compile time only)
; SGPRBlocks: 0
; VGPRBlocks: 0
; NumSGPRsForWavesPerEU: 1
; NumVGPRsForWavesPerEU: 1
; Occupancy: 16
; WaveLimiterHint : 0
; COMPUTE_PGM_RSRC2:SCRATCH_EN: 0
; COMPUTE_PGM_RSRC2:USER_SGPR: 15
; COMPUTE_PGM_RSRC2:TRAP_HANDLER: 0
; COMPUTE_PGM_RSRC2:TGID_X_EN: 1
; COMPUTE_PGM_RSRC2:TGID_Y_EN: 0
; COMPUTE_PGM_RSRC2:TGID_Z_EN: 0
; COMPUTE_PGM_RSRC2:TIDIG_COMP_CNT: 0
	.section	.text._ZN7rocprim17ROCPRIM_400000_NS6detail17trampoline_kernelINS0_14default_configENS1_25transform_config_selectorIjLb0EEEZNS1_14transform_implILb0ES3_S5_NS0_18transform_iteratorINS0_17counting_iteratorImlEEZNS1_24adjacent_difference_implIS3_Lb1ELb0EPjSB_N6thrust23THRUST_200600_302600_NS4plusIjEEEE10hipError_tPvRmT2_T3_mT4_P12ihipStream_tbEUlmE_jEESB_NS0_8identityIvEEEESG_SJ_SK_mSL_SN_bEUlT_E_NS1_11comp_targetILNS1_3genE0ELNS1_11target_archE4294967295ELNS1_3gpuE0ELNS1_3repE0EEENS1_30default_config_static_selectorELNS0_4arch9wavefront6targetE0EEEvT1_,"axG",@progbits,_ZN7rocprim17ROCPRIM_400000_NS6detail17trampoline_kernelINS0_14default_configENS1_25transform_config_selectorIjLb0EEEZNS1_14transform_implILb0ES3_S5_NS0_18transform_iteratorINS0_17counting_iteratorImlEEZNS1_24adjacent_difference_implIS3_Lb1ELb0EPjSB_N6thrust23THRUST_200600_302600_NS4plusIjEEEE10hipError_tPvRmT2_T3_mT4_P12ihipStream_tbEUlmE_jEESB_NS0_8identityIvEEEESG_SJ_SK_mSL_SN_bEUlT_E_NS1_11comp_targetILNS1_3genE0ELNS1_11target_archE4294967295ELNS1_3gpuE0ELNS1_3repE0EEENS1_30default_config_static_selectorELNS0_4arch9wavefront6targetE0EEEvT1_,comdat
	.protected	_ZN7rocprim17ROCPRIM_400000_NS6detail17trampoline_kernelINS0_14default_configENS1_25transform_config_selectorIjLb0EEEZNS1_14transform_implILb0ES3_S5_NS0_18transform_iteratorINS0_17counting_iteratorImlEEZNS1_24adjacent_difference_implIS3_Lb1ELb0EPjSB_N6thrust23THRUST_200600_302600_NS4plusIjEEEE10hipError_tPvRmT2_T3_mT4_P12ihipStream_tbEUlmE_jEESB_NS0_8identityIvEEEESG_SJ_SK_mSL_SN_bEUlT_E_NS1_11comp_targetILNS1_3genE0ELNS1_11target_archE4294967295ELNS1_3gpuE0ELNS1_3repE0EEENS1_30default_config_static_selectorELNS0_4arch9wavefront6targetE0EEEvT1_ ; -- Begin function _ZN7rocprim17ROCPRIM_400000_NS6detail17trampoline_kernelINS0_14default_configENS1_25transform_config_selectorIjLb0EEEZNS1_14transform_implILb0ES3_S5_NS0_18transform_iteratorINS0_17counting_iteratorImlEEZNS1_24adjacent_difference_implIS3_Lb1ELb0EPjSB_N6thrust23THRUST_200600_302600_NS4plusIjEEEE10hipError_tPvRmT2_T3_mT4_P12ihipStream_tbEUlmE_jEESB_NS0_8identityIvEEEESG_SJ_SK_mSL_SN_bEUlT_E_NS1_11comp_targetILNS1_3genE0ELNS1_11target_archE4294967295ELNS1_3gpuE0ELNS1_3repE0EEENS1_30default_config_static_selectorELNS0_4arch9wavefront6targetE0EEEvT1_
	.globl	_ZN7rocprim17ROCPRIM_400000_NS6detail17trampoline_kernelINS0_14default_configENS1_25transform_config_selectorIjLb0EEEZNS1_14transform_implILb0ES3_S5_NS0_18transform_iteratorINS0_17counting_iteratorImlEEZNS1_24adjacent_difference_implIS3_Lb1ELb0EPjSB_N6thrust23THRUST_200600_302600_NS4plusIjEEEE10hipError_tPvRmT2_T3_mT4_P12ihipStream_tbEUlmE_jEESB_NS0_8identityIvEEEESG_SJ_SK_mSL_SN_bEUlT_E_NS1_11comp_targetILNS1_3genE0ELNS1_11target_archE4294967295ELNS1_3gpuE0ELNS1_3repE0EEENS1_30default_config_static_selectorELNS0_4arch9wavefront6targetE0EEEvT1_
	.p2align	8
	.type	_ZN7rocprim17ROCPRIM_400000_NS6detail17trampoline_kernelINS0_14default_configENS1_25transform_config_selectorIjLb0EEEZNS1_14transform_implILb0ES3_S5_NS0_18transform_iteratorINS0_17counting_iteratorImlEEZNS1_24adjacent_difference_implIS3_Lb1ELb0EPjSB_N6thrust23THRUST_200600_302600_NS4plusIjEEEE10hipError_tPvRmT2_T3_mT4_P12ihipStream_tbEUlmE_jEESB_NS0_8identityIvEEEESG_SJ_SK_mSL_SN_bEUlT_E_NS1_11comp_targetILNS1_3genE0ELNS1_11target_archE4294967295ELNS1_3gpuE0ELNS1_3repE0EEENS1_30default_config_static_selectorELNS0_4arch9wavefront6targetE0EEEvT1_,@function
_ZN7rocprim17ROCPRIM_400000_NS6detail17trampoline_kernelINS0_14default_configENS1_25transform_config_selectorIjLb0EEEZNS1_14transform_implILb0ES3_S5_NS0_18transform_iteratorINS0_17counting_iteratorImlEEZNS1_24adjacent_difference_implIS3_Lb1ELb0EPjSB_N6thrust23THRUST_200600_302600_NS4plusIjEEEE10hipError_tPvRmT2_T3_mT4_P12ihipStream_tbEUlmE_jEESB_NS0_8identityIvEEEESG_SJ_SK_mSL_SN_bEUlT_E_NS1_11comp_targetILNS1_3genE0ELNS1_11target_archE4294967295ELNS1_3gpuE0ELNS1_3repE0EEENS1_30default_config_static_selectorELNS0_4arch9wavefront6targetE0EEEvT1_: ; @_ZN7rocprim17ROCPRIM_400000_NS6detail17trampoline_kernelINS0_14default_configENS1_25transform_config_selectorIjLb0EEEZNS1_14transform_implILb0ES3_S5_NS0_18transform_iteratorINS0_17counting_iteratorImlEEZNS1_24adjacent_difference_implIS3_Lb1ELb0EPjSB_N6thrust23THRUST_200600_302600_NS4plusIjEEEE10hipError_tPvRmT2_T3_mT4_P12ihipStream_tbEUlmE_jEESB_NS0_8identityIvEEEESG_SJ_SK_mSL_SN_bEUlT_E_NS1_11comp_targetILNS1_3genE0ELNS1_11target_archE4294967295ELNS1_3gpuE0ELNS1_3repE0EEENS1_30default_config_static_selectorELNS0_4arch9wavefront6targetE0EEEvT1_
; %bb.0:
	.section	.rodata,"a",@progbits
	.p2align	6, 0x0
	.amdhsa_kernel _ZN7rocprim17ROCPRIM_400000_NS6detail17trampoline_kernelINS0_14default_configENS1_25transform_config_selectorIjLb0EEEZNS1_14transform_implILb0ES3_S5_NS0_18transform_iteratorINS0_17counting_iteratorImlEEZNS1_24adjacent_difference_implIS3_Lb1ELb0EPjSB_N6thrust23THRUST_200600_302600_NS4plusIjEEEE10hipError_tPvRmT2_T3_mT4_P12ihipStream_tbEUlmE_jEESB_NS0_8identityIvEEEESG_SJ_SK_mSL_SN_bEUlT_E_NS1_11comp_targetILNS1_3genE0ELNS1_11target_archE4294967295ELNS1_3gpuE0ELNS1_3repE0EEENS1_30default_config_static_selectorELNS0_4arch9wavefront6targetE0EEEvT1_
		.amdhsa_group_segment_fixed_size 0
		.amdhsa_private_segment_fixed_size 0
		.amdhsa_kernarg_size 56
		.amdhsa_user_sgpr_count 15
		.amdhsa_user_sgpr_dispatch_ptr 0
		.amdhsa_user_sgpr_queue_ptr 0
		.amdhsa_user_sgpr_kernarg_segment_ptr 1
		.amdhsa_user_sgpr_dispatch_id 0
		.amdhsa_user_sgpr_private_segment_size 0
		.amdhsa_wavefront_size32 1
		.amdhsa_uses_dynamic_stack 0
		.amdhsa_enable_private_segment 0
		.amdhsa_system_sgpr_workgroup_id_x 1
		.amdhsa_system_sgpr_workgroup_id_y 0
		.amdhsa_system_sgpr_workgroup_id_z 0
		.amdhsa_system_sgpr_workgroup_info 0
		.amdhsa_system_vgpr_workitem_id 0
		.amdhsa_next_free_vgpr 1
		.amdhsa_next_free_sgpr 1
		.amdhsa_reserve_vcc 0
		.amdhsa_float_round_mode_32 0
		.amdhsa_float_round_mode_16_64 0
		.amdhsa_float_denorm_mode_32 3
		.amdhsa_float_denorm_mode_16_64 3
		.amdhsa_dx10_clamp 1
		.amdhsa_ieee_mode 1
		.amdhsa_fp16_overflow 0
		.amdhsa_workgroup_processor_mode 1
		.amdhsa_memory_ordered 1
		.amdhsa_forward_progress 0
		.amdhsa_shared_vgpr_count 0
		.amdhsa_exception_fp_ieee_invalid_op 0
		.amdhsa_exception_fp_denorm_src 0
		.amdhsa_exception_fp_ieee_div_zero 0
		.amdhsa_exception_fp_ieee_overflow 0
		.amdhsa_exception_fp_ieee_underflow 0
		.amdhsa_exception_fp_ieee_inexact 0
		.amdhsa_exception_int_div_zero 0
	.end_amdhsa_kernel
	.section	.text._ZN7rocprim17ROCPRIM_400000_NS6detail17trampoline_kernelINS0_14default_configENS1_25transform_config_selectorIjLb0EEEZNS1_14transform_implILb0ES3_S5_NS0_18transform_iteratorINS0_17counting_iteratorImlEEZNS1_24adjacent_difference_implIS3_Lb1ELb0EPjSB_N6thrust23THRUST_200600_302600_NS4plusIjEEEE10hipError_tPvRmT2_T3_mT4_P12ihipStream_tbEUlmE_jEESB_NS0_8identityIvEEEESG_SJ_SK_mSL_SN_bEUlT_E_NS1_11comp_targetILNS1_3genE0ELNS1_11target_archE4294967295ELNS1_3gpuE0ELNS1_3repE0EEENS1_30default_config_static_selectorELNS0_4arch9wavefront6targetE0EEEvT1_,"axG",@progbits,_ZN7rocprim17ROCPRIM_400000_NS6detail17trampoline_kernelINS0_14default_configENS1_25transform_config_selectorIjLb0EEEZNS1_14transform_implILb0ES3_S5_NS0_18transform_iteratorINS0_17counting_iteratorImlEEZNS1_24adjacent_difference_implIS3_Lb1ELb0EPjSB_N6thrust23THRUST_200600_302600_NS4plusIjEEEE10hipError_tPvRmT2_T3_mT4_P12ihipStream_tbEUlmE_jEESB_NS0_8identityIvEEEESG_SJ_SK_mSL_SN_bEUlT_E_NS1_11comp_targetILNS1_3genE0ELNS1_11target_archE4294967295ELNS1_3gpuE0ELNS1_3repE0EEENS1_30default_config_static_selectorELNS0_4arch9wavefront6targetE0EEEvT1_,comdat
.Lfunc_end188:
	.size	_ZN7rocprim17ROCPRIM_400000_NS6detail17trampoline_kernelINS0_14default_configENS1_25transform_config_selectorIjLb0EEEZNS1_14transform_implILb0ES3_S5_NS0_18transform_iteratorINS0_17counting_iteratorImlEEZNS1_24adjacent_difference_implIS3_Lb1ELb0EPjSB_N6thrust23THRUST_200600_302600_NS4plusIjEEEE10hipError_tPvRmT2_T3_mT4_P12ihipStream_tbEUlmE_jEESB_NS0_8identityIvEEEESG_SJ_SK_mSL_SN_bEUlT_E_NS1_11comp_targetILNS1_3genE0ELNS1_11target_archE4294967295ELNS1_3gpuE0ELNS1_3repE0EEENS1_30default_config_static_selectorELNS0_4arch9wavefront6targetE0EEEvT1_, .Lfunc_end188-_ZN7rocprim17ROCPRIM_400000_NS6detail17trampoline_kernelINS0_14default_configENS1_25transform_config_selectorIjLb0EEEZNS1_14transform_implILb0ES3_S5_NS0_18transform_iteratorINS0_17counting_iteratorImlEEZNS1_24adjacent_difference_implIS3_Lb1ELb0EPjSB_N6thrust23THRUST_200600_302600_NS4plusIjEEEE10hipError_tPvRmT2_T3_mT4_P12ihipStream_tbEUlmE_jEESB_NS0_8identityIvEEEESG_SJ_SK_mSL_SN_bEUlT_E_NS1_11comp_targetILNS1_3genE0ELNS1_11target_archE4294967295ELNS1_3gpuE0ELNS1_3repE0EEENS1_30default_config_static_selectorELNS0_4arch9wavefront6targetE0EEEvT1_
                                        ; -- End function
	.section	.AMDGPU.csdata,"",@progbits
; Kernel info:
; codeLenInByte = 0
; NumSgprs: 0
; NumVgprs: 0
; ScratchSize: 0
; MemoryBound: 0
; FloatMode: 240
; IeeeMode: 1
; LDSByteSize: 0 bytes/workgroup (compile time only)
; SGPRBlocks: 0
; VGPRBlocks: 0
; NumSGPRsForWavesPerEU: 1
; NumVGPRsForWavesPerEU: 1
; Occupancy: 16
; WaveLimiterHint : 0
; COMPUTE_PGM_RSRC2:SCRATCH_EN: 0
; COMPUTE_PGM_RSRC2:USER_SGPR: 15
; COMPUTE_PGM_RSRC2:TRAP_HANDLER: 0
; COMPUTE_PGM_RSRC2:TGID_X_EN: 1
; COMPUTE_PGM_RSRC2:TGID_Y_EN: 0
; COMPUTE_PGM_RSRC2:TGID_Z_EN: 0
; COMPUTE_PGM_RSRC2:TIDIG_COMP_CNT: 0
	.section	.text._ZN7rocprim17ROCPRIM_400000_NS6detail17trampoline_kernelINS0_14default_configENS1_25transform_config_selectorIjLb0EEEZNS1_14transform_implILb0ES3_S5_NS0_18transform_iteratorINS0_17counting_iteratorImlEEZNS1_24adjacent_difference_implIS3_Lb1ELb0EPjSB_N6thrust23THRUST_200600_302600_NS4plusIjEEEE10hipError_tPvRmT2_T3_mT4_P12ihipStream_tbEUlmE_jEESB_NS0_8identityIvEEEESG_SJ_SK_mSL_SN_bEUlT_E_NS1_11comp_targetILNS1_3genE5ELNS1_11target_archE942ELNS1_3gpuE9ELNS1_3repE0EEENS1_30default_config_static_selectorELNS0_4arch9wavefront6targetE0EEEvT1_,"axG",@progbits,_ZN7rocprim17ROCPRIM_400000_NS6detail17trampoline_kernelINS0_14default_configENS1_25transform_config_selectorIjLb0EEEZNS1_14transform_implILb0ES3_S5_NS0_18transform_iteratorINS0_17counting_iteratorImlEEZNS1_24adjacent_difference_implIS3_Lb1ELb0EPjSB_N6thrust23THRUST_200600_302600_NS4plusIjEEEE10hipError_tPvRmT2_T3_mT4_P12ihipStream_tbEUlmE_jEESB_NS0_8identityIvEEEESG_SJ_SK_mSL_SN_bEUlT_E_NS1_11comp_targetILNS1_3genE5ELNS1_11target_archE942ELNS1_3gpuE9ELNS1_3repE0EEENS1_30default_config_static_selectorELNS0_4arch9wavefront6targetE0EEEvT1_,comdat
	.protected	_ZN7rocprim17ROCPRIM_400000_NS6detail17trampoline_kernelINS0_14default_configENS1_25transform_config_selectorIjLb0EEEZNS1_14transform_implILb0ES3_S5_NS0_18transform_iteratorINS0_17counting_iteratorImlEEZNS1_24adjacent_difference_implIS3_Lb1ELb0EPjSB_N6thrust23THRUST_200600_302600_NS4plusIjEEEE10hipError_tPvRmT2_T3_mT4_P12ihipStream_tbEUlmE_jEESB_NS0_8identityIvEEEESG_SJ_SK_mSL_SN_bEUlT_E_NS1_11comp_targetILNS1_3genE5ELNS1_11target_archE942ELNS1_3gpuE9ELNS1_3repE0EEENS1_30default_config_static_selectorELNS0_4arch9wavefront6targetE0EEEvT1_ ; -- Begin function _ZN7rocprim17ROCPRIM_400000_NS6detail17trampoline_kernelINS0_14default_configENS1_25transform_config_selectorIjLb0EEEZNS1_14transform_implILb0ES3_S5_NS0_18transform_iteratorINS0_17counting_iteratorImlEEZNS1_24adjacent_difference_implIS3_Lb1ELb0EPjSB_N6thrust23THRUST_200600_302600_NS4plusIjEEEE10hipError_tPvRmT2_T3_mT4_P12ihipStream_tbEUlmE_jEESB_NS0_8identityIvEEEESG_SJ_SK_mSL_SN_bEUlT_E_NS1_11comp_targetILNS1_3genE5ELNS1_11target_archE942ELNS1_3gpuE9ELNS1_3repE0EEENS1_30default_config_static_selectorELNS0_4arch9wavefront6targetE0EEEvT1_
	.globl	_ZN7rocprim17ROCPRIM_400000_NS6detail17trampoline_kernelINS0_14default_configENS1_25transform_config_selectorIjLb0EEEZNS1_14transform_implILb0ES3_S5_NS0_18transform_iteratorINS0_17counting_iteratorImlEEZNS1_24adjacent_difference_implIS3_Lb1ELb0EPjSB_N6thrust23THRUST_200600_302600_NS4plusIjEEEE10hipError_tPvRmT2_T3_mT4_P12ihipStream_tbEUlmE_jEESB_NS0_8identityIvEEEESG_SJ_SK_mSL_SN_bEUlT_E_NS1_11comp_targetILNS1_3genE5ELNS1_11target_archE942ELNS1_3gpuE9ELNS1_3repE0EEENS1_30default_config_static_selectorELNS0_4arch9wavefront6targetE0EEEvT1_
	.p2align	8
	.type	_ZN7rocprim17ROCPRIM_400000_NS6detail17trampoline_kernelINS0_14default_configENS1_25transform_config_selectorIjLb0EEEZNS1_14transform_implILb0ES3_S5_NS0_18transform_iteratorINS0_17counting_iteratorImlEEZNS1_24adjacent_difference_implIS3_Lb1ELb0EPjSB_N6thrust23THRUST_200600_302600_NS4plusIjEEEE10hipError_tPvRmT2_T3_mT4_P12ihipStream_tbEUlmE_jEESB_NS0_8identityIvEEEESG_SJ_SK_mSL_SN_bEUlT_E_NS1_11comp_targetILNS1_3genE5ELNS1_11target_archE942ELNS1_3gpuE9ELNS1_3repE0EEENS1_30default_config_static_selectorELNS0_4arch9wavefront6targetE0EEEvT1_,@function
_ZN7rocprim17ROCPRIM_400000_NS6detail17trampoline_kernelINS0_14default_configENS1_25transform_config_selectorIjLb0EEEZNS1_14transform_implILb0ES3_S5_NS0_18transform_iteratorINS0_17counting_iteratorImlEEZNS1_24adjacent_difference_implIS3_Lb1ELb0EPjSB_N6thrust23THRUST_200600_302600_NS4plusIjEEEE10hipError_tPvRmT2_T3_mT4_P12ihipStream_tbEUlmE_jEESB_NS0_8identityIvEEEESG_SJ_SK_mSL_SN_bEUlT_E_NS1_11comp_targetILNS1_3genE5ELNS1_11target_archE942ELNS1_3gpuE9ELNS1_3repE0EEENS1_30default_config_static_selectorELNS0_4arch9wavefront6targetE0EEEvT1_: ; @_ZN7rocprim17ROCPRIM_400000_NS6detail17trampoline_kernelINS0_14default_configENS1_25transform_config_selectorIjLb0EEEZNS1_14transform_implILb0ES3_S5_NS0_18transform_iteratorINS0_17counting_iteratorImlEEZNS1_24adjacent_difference_implIS3_Lb1ELb0EPjSB_N6thrust23THRUST_200600_302600_NS4plusIjEEEE10hipError_tPvRmT2_T3_mT4_P12ihipStream_tbEUlmE_jEESB_NS0_8identityIvEEEESG_SJ_SK_mSL_SN_bEUlT_E_NS1_11comp_targetILNS1_3genE5ELNS1_11target_archE942ELNS1_3gpuE9ELNS1_3repE0EEENS1_30default_config_static_selectorELNS0_4arch9wavefront6targetE0EEEvT1_
; %bb.0:
	.section	.rodata,"a",@progbits
	.p2align	6, 0x0
	.amdhsa_kernel _ZN7rocprim17ROCPRIM_400000_NS6detail17trampoline_kernelINS0_14default_configENS1_25transform_config_selectorIjLb0EEEZNS1_14transform_implILb0ES3_S5_NS0_18transform_iteratorINS0_17counting_iteratorImlEEZNS1_24adjacent_difference_implIS3_Lb1ELb0EPjSB_N6thrust23THRUST_200600_302600_NS4plusIjEEEE10hipError_tPvRmT2_T3_mT4_P12ihipStream_tbEUlmE_jEESB_NS0_8identityIvEEEESG_SJ_SK_mSL_SN_bEUlT_E_NS1_11comp_targetILNS1_3genE5ELNS1_11target_archE942ELNS1_3gpuE9ELNS1_3repE0EEENS1_30default_config_static_selectorELNS0_4arch9wavefront6targetE0EEEvT1_
		.amdhsa_group_segment_fixed_size 0
		.amdhsa_private_segment_fixed_size 0
		.amdhsa_kernarg_size 56
		.amdhsa_user_sgpr_count 15
		.amdhsa_user_sgpr_dispatch_ptr 0
		.amdhsa_user_sgpr_queue_ptr 0
		.amdhsa_user_sgpr_kernarg_segment_ptr 1
		.amdhsa_user_sgpr_dispatch_id 0
		.amdhsa_user_sgpr_private_segment_size 0
		.amdhsa_wavefront_size32 1
		.amdhsa_uses_dynamic_stack 0
		.amdhsa_enable_private_segment 0
		.amdhsa_system_sgpr_workgroup_id_x 1
		.amdhsa_system_sgpr_workgroup_id_y 0
		.amdhsa_system_sgpr_workgroup_id_z 0
		.amdhsa_system_sgpr_workgroup_info 0
		.amdhsa_system_vgpr_workitem_id 0
		.amdhsa_next_free_vgpr 1
		.amdhsa_next_free_sgpr 1
		.amdhsa_reserve_vcc 0
		.amdhsa_float_round_mode_32 0
		.amdhsa_float_round_mode_16_64 0
		.amdhsa_float_denorm_mode_32 3
		.amdhsa_float_denorm_mode_16_64 3
		.amdhsa_dx10_clamp 1
		.amdhsa_ieee_mode 1
		.amdhsa_fp16_overflow 0
		.amdhsa_workgroup_processor_mode 1
		.amdhsa_memory_ordered 1
		.amdhsa_forward_progress 0
		.amdhsa_shared_vgpr_count 0
		.amdhsa_exception_fp_ieee_invalid_op 0
		.amdhsa_exception_fp_denorm_src 0
		.amdhsa_exception_fp_ieee_div_zero 0
		.amdhsa_exception_fp_ieee_overflow 0
		.amdhsa_exception_fp_ieee_underflow 0
		.amdhsa_exception_fp_ieee_inexact 0
		.amdhsa_exception_int_div_zero 0
	.end_amdhsa_kernel
	.section	.text._ZN7rocprim17ROCPRIM_400000_NS6detail17trampoline_kernelINS0_14default_configENS1_25transform_config_selectorIjLb0EEEZNS1_14transform_implILb0ES3_S5_NS0_18transform_iteratorINS0_17counting_iteratorImlEEZNS1_24adjacent_difference_implIS3_Lb1ELb0EPjSB_N6thrust23THRUST_200600_302600_NS4plusIjEEEE10hipError_tPvRmT2_T3_mT4_P12ihipStream_tbEUlmE_jEESB_NS0_8identityIvEEEESG_SJ_SK_mSL_SN_bEUlT_E_NS1_11comp_targetILNS1_3genE5ELNS1_11target_archE942ELNS1_3gpuE9ELNS1_3repE0EEENS1_30default_config_static_selectorELNS0_4arch9wavefront6targetE0EEEvT1_,"axG",@progbits,_ZN7rocprim17ROCPRIM_400000_NS6detail17trampoline_kernelINS0_14default_configENS1_25transform_config_selectorIjLb0EEEZNS1_14transform_implILb0ES3_S5_NS0_18transform_iteratorINS0_17counting_iteratorImlEEZNS1_24adjacent_difference_implIS3_Lb1ELb0EPjSB_N6thrust23THRUST_200600_302600_NS4plusIjEEEE10hipError_tPvRmT2_T3_mT4_P12ihipStream_tbEUlmE_jEESB_NS0_8identityIvEEEESG_SJ_SK_mSL_SN_bEUlT_E_NS1_11comp_targetILNS1_3genE5ELNS1_11target_archE942ELNS1_3gpuE9ELNS1_3repE0EEENS1_30default_config_static_selectorELNS0_4arch9wavefront6targetE0EEEvT1_,comdat
.Lfunc_end189:
	.size	_ZN7rocprim17ROCPRIM_400000_NS6detail17trampoline_kernelINS0_14default_configENS1_25transform_config_selectorIjLb0EEEZNS1_14transform_implILb0ES3_S5_NS0_18transform_iteratorINS0_17counting_iteratorImlEEZNS1_24adjacent_difference_implIS3_Lb1ELb0EPjSB_N6thrust23THRUST_200600_302600_NS4plusIjEEEE10hipError_tPvRmT2_T3_mT4_P12ihipStream_tbEUlmE_jEESB_NS0_8identityIvEEEESG_SJ_SK_mSL_SN_bEUlT_E_NS1_11comp_targetILNS1_3genE5ELNS1_11target_archE942ELNS1_3gpuE9ELNS1_3repE0EEENS1_30default_config_static_selectorELNS0_4arch9wavefront6targetE0EEEvT1_, .Lfunc_end189-_ZN7rocprim17ROCPRIM_400000_NS6detail17trampoline_kernelINS0_14default_configENS1_25transform_config_selectorIjLb0EEEZNS1_14transform_implILb0ES3_S5_NS0_18transform_iteratorINS0_17counting_iteratorImlEEZNS1_24adjacent_difference_implIS3_Lb1ELb0EPjSB_N6thrust23THRUST_200600_302600_NS4plusIjEEEE10hipError_tPvRmT2_T3_mT4_P12ihipStream_tbEUlmE_jEESB_NS0_8identityIvEEEESG_SJ_SK_mSL_SN_bEUlT_E_NS1_11comp_targetILNS1_3genE5ELNS1_11target_archE942ELNS1_3gpuE9ELNS1_3repE0EEENS1_30default_config_static_selectorELNS0_4arch9wavefront6targetE0EEEvT1_
                                        ; -- End function
	.section	.AMDGPU.csdata,"",@progbits
; Kernel info:
; codeLenInByte = 0
; NumSgprs: 0
; NumVgprs: 0
; ScratchSize: 0
; MemoryBound: 0
; FloatMode: 240
; IeeeMode: 1
; LDSByteSize: 0 bytes/workgroup (compile time only)
; SGPRBlocks: 0
; VGPRBlocks: 0
; NumSGPRsForWavesPerEU: 1
; NumVGPRsForWavesPerEU: 1
; Occupancy: 16
; WaveLimiterHint : 0
; COMPUTE_PGM_RSRC2:SCRATCH_EN: 0
; COMPUTE_PGM_RSRC2:USER_SGPR: 15
; COMPUTE_PGM_RSRC2:TRAP_HANDLER: 0
; COMPUTE_PGM_RSRC2:TGID_X_EN: 1
; COMPUTE_PGM_RSRC2:TGID_Y_EN: 0
; COMPUTE_PGM_RSRC2:TGID_Z_EN: 0
; COMPUTE_PGM_RSRC2:TIDIG_COMP_CNT: 0
	.section	.text._ZN7rocprim17ROCPRIM_400000_NS6detail17trampoline_kernelINS0_14default_configENS1_25transform_config_selectorIjLb0EEEZNS1_14transform_implILb0ES3_S5_NS0_18transform_iteratorINS0_17counting_iteratorImlEEZNS1_24adjacent_difference_implIS3_Lb1ELb0EPjSB_N6thrust23THRUST_200600_302600_NS4plusIjEEEE10hipError_tPvRmT2_T3_mT4_P12ihipStream_tbEUlmE_jEESB_NS0_8identityIvEEEESG_SJ_SK_mSL_SN_bEUlT_E_NS1_11comp_targetILNS1_3genE4ELNS1_11target_archE910ELNS1_3gpuE8ELNS1_3repE0EEENS1_30default_config_static_selectorELNS0_4arch9wavefront6targetE0EEEvT1_,"axG",@progbits,_ZN7rocprim17ROCPRIM_400000_NS6detail17trampoline_kernelINS0_14default_configENS1_25transform_config_selectorIjLb0EEEZNS1_14transform_implILb0ES3_S5_NS0_18transform_iteratorINS0_17counting_iteratorImlEEZNS1_24adjacent_difference_implIS3_Lb1ELb0EPjSB_N6thrust23THRUST_200600_302600_NS4plusIjEEEE10hipError_tPvRmT2_T3_mT4_P12ihipStream_tbEUlmE_jEESB_NS0_8identityIvEEEESG_SJ_SK_mSL_SN_bEUlT_E_NS1_11comp_targetILNS1_3genE4ELNS1_11target_archE910ELNS1_3gpuE8ELNS1_3repE0EEENS1_30default_config_static_selectorELNS0_4arch9wavefront6targetE0EEEvT1_,comdat
	.protected	_ZN7rocprim17ROCPRIM_400000_NS6detail17trampoline_kernelINS0_14default_configENS1_25transform_config_selectorIjLb0EEEZNS1_14transform_implILb0ES3_S5_NS0_18transform_iteratorINS0_17counting_iteratorImlEEZNS1_24adjacent_difference_implIS3_Lb1ELb0EPjSB_N6thrust23THRUST_200600_302600_NS4plusIjEEEE10hipError_tPvRmT2_T3_mT4_P12ihipStream_tbEUlmE_jEESB_NS0_8identityIvEEEESG_SJ_SK_mSL_SN_bEUlT_E_NS1_11comp_targetILNS1_3genE4ELNS1_11target_archE910ELNS1_3gpuE8ELNS1_3repE0EEENS1_30default_config_static_selectorELNS0_4arch9wavefront6targetE0EEEvT1_ ; -- Begin function _ZN7rocprim17ROCPRIM_400000_NS6detail17trampoline_kernelINS0_14default_configENS1_25transform_config_selectorIjLb0EEEZNS1_14transform_implILb0ES3_S5_NS0_18transform_iteratorINS0_17counting_iteratorImlEEZNS1_24adjacent_difference_implIS3_Lb1ELb0EPjSB_N6thrust23THRUST_200600_302600_NS4plusIjEEEE10hipError_tPvRmT2_T3_mT4_P12ihipStream_tbEUlmE_jEESB_NS0_8identityIvEEEESG_SJ_SK_mSL_SN_bEUlT_E_NS1_11comp_targetILNS1_3genE4ELNS1_11target_archE910ELNS1_3gpuE8ELNS1_3repE0EEENS1_30default_config_static_selectorELNS0_4arch9wavefront6targetE0EEEvT1_
	.globl	_ZN7rocprim17ROCPRIM_400000_NS6detail17trampoline_kernelINS0_14default_configENS1_25transform_config_selectorIjLb0EEEZNS1_14transform_implILb0ES3_S5_NS0_18transform_iteratorINS0_17counting_iteratorImlEEZNS1_24adjacent_difference_implIS3_Lb1ELb0EPjSB_N6thrust23THRUST_200600_302600_NS4plusIjEEEE10hipError_tPvRmT2_T3_mT4_P12ihipStream_tbEUlmE_jEESB_NS0_8identityIvEEEESG_SJ_SK_mSL_SN_bEUlT_E_NS1_11comp_targetILNS1_3genE4ELNS1_11target_archE910ELNS1_3gpuE8ELNS1_3repE0EEENS1_30default_config_static_selectorELNS0_4arch9wavefront6targetE0EEEvT1_
	.p2align	8
	.type	_ZN7rocprim17ROCPRIM_400000_NS6detail17trampoline_kernelINS0_14default_configENS1_25transform_config_selectorIjLb0EEEZNS1_14transform_implILb0ES3_S5_NS0_18transform_iteratorINS0_17counting_iteratorImlEEZNS1_24adjacent_difference_implIS3_Lb1ELb0EPjSB_N6thrust23THRUST_200600_302600_NS4plusIjEEEE10hipError_tPvRmT2_T3_mT4_P12ihipStream_tbEUlmE_jEESB_NS0_8identityIvEEEESG_SJ_SK_mSL_SN_bEUlT_E_NS1_11comp_targetILNS1_3genE4ELNS1_11target_archE910ELNS1_3gpuE8ELNS1_3repE0EEENS1_30default_config_static_selectorELNS0_4arch9wavefront6targetE0EEEvT1_,@function
_ZN7rocprim17ROCPRIM_400000_NS6detail17trampoline_kernelINS0_14default_configENS1_25transform_config_selectorIjLb0EEEZNS1_14transform_implILb0ES3_S5_NS0_18transform_iteratorINS0_17counting_iteratorImlEEZNS1_24adjacent_difference_implIS3_Lb1ELb0EPjSB_N6thrust23THRUST_200600_302600_NS4plusIjEEEE10hipError_tPvRmT2_T3_mT4_P12ihipStream_tbEUlmE_jEESB_NS0_8identityIvEEEESG_SJ_SK_mSL_SN_bEUlT_E_NS1_11comp_targetILNS1_3genE4ELNS1_11target_archE910ELNS1_3gpuE8ELNS1_3repE0EEENS1_30default_config_static_selectorELNS0_4arch9wavefront6targetE0EEEvT1_: ; @_ZN7rocprim17ROCPRIM_400000_NS6detail17trampoline_kernelINS0_14default_configENS1_25transform_config_selectorIjLb0EEEZNS1_14transform_implILb0ES3_S5_NS0_18transform_iteratorINS0_17counting_iteratorImlEEZNS1_24adjacent_difference_implIS3_Lb1ELb0EPjSB_N6thrust23THRUST_200600_302600_NS4plusIjEEEE10hipError_tPvRmT2_T3_mT4_P12ihipStream_tbEUlmE_jEESB_NS0_8identityIvEEEESG_SJ_SK_mSL_SN_bEUlT_E_NS1_11comp_targetILNS1_3genE4ELNS1_11target_archE910ELNS1_3gpuE8ELNS1_3repE0EEENS1_30default_config_static_selectorELNS0_4arch9wavefront6targetE0EEEvT1_
; %bb.0:
	.section	.rodata,"a",@progbits
	.p2align	6, 0x0
	.amdhsa_kernel _ZN7rocprim17ROCPRIM_400000_NS6detail17trampoline_kernelINS0_14default_configENS1_25transform_config_selectorIjLb0EEEZNS1_14transform_implILb0ES3_S5_NS0_18transform_iteratorINS0_17counting_iteratorImlEEZNS1_24adjacent_difference_implIS3_Lb1ELb0EPjSB_N6thrust23THRUST_200600_302600_NS4plusIjEEEE10hipError_tPvRmT2_T3_mT4_P12ihipStream_tbEUlmE_jEESB_NS0_8identityIvEEEESG_SJ_SK_mSL_SN_bEUlT_E_NS1_11comp_targetILNS1_3genE4ELNS1_11target_archE910ELNS1_3gpuE8ELNS1_3repE0EEENS1_30default_config_static_selectorELNS0_4arch9wavefront6targetE0EEEvT1_
		.amdhsa_group_segment_fixed_size 0
		.amdhsa_private_segment_fixed_size 0
		.amdhsa_kernarg_size 56
		.amdhsa_user_sgpr_count 15
		.amdhsa_user_sgpr_dispatch_ptr 0
		.amdhsa_user_sgpr_queue_ptr 0
		.amdhsa_user_sgpr_kernarg_segment_ptr 1
		.amdhsa_user_sgpr_dispatch_id 0
		.amdhsa_user_sgpr_private_segment_size 0
		.amdhsa_wavefront_size32 1
		.amdhsa_uses_dynamic_stack 0
		.amdhsa_enable_private_segment 0
		.amdhsa_system_sgpr_workgroup_id_x 1
		.amdhsa_system_sgpr_workgroup_id_y 0
		.amdhsa_system_sgpr_workgroup_id_z 0
		.amdhsa_system_sgpr_workgroup_info 0
		.amdhsa_system_vgpr_workitem_id 0
		.amdhsa_next_free_vgpr 1
		.amdhsa_next_free_sgpr 1
		.amdhsa_reserve_vcc 0
		.amdhsa_float_round_mode_32 0
		.amdhsa_float_round_mode_16_64 0
		.amdhsa_float_denorm_mode_32 3
		.amdhsa_float_denorm_mode_16_64 3
		.amdhsa_dx10_clamp 1
		.amdhsa_ieee_mode 1
		.amdhsa_fp16_overflow 0
		.amdhsa_workgroup_processor_mode 1
		.amdhsa_memory_ordered 1
		.amdhsa_forward_progress 0
		.amdhsa_shared_vgpr_count 0
		.amdhsa_exception_fp_ieee_invalid_op 0
		.amdhsa_exception_fp_denorm_src 0
		.amdhsa_exception_fp_ieee_div_zero 0
		.amdhsa_exception_fp_ieee_overflow 0
		.amdhsa_exception_fp_ieee_underflow 0
		.amdhsa_exception_fp_ieee_inexact 0
		.amdhsa_exception_int_div_zero 0
	.end_amdhsa_kernel
	.section	.text._ZN7rocprim17ROCPRIM_400000_NS6detail17trampoline_kernelINS0_14default_configENS1_25transform_config_selectorIjLb0EEEZNS1_14transform_implILb0ES3_S5_NS0_18transform_iteratorINS0_17counting_iteratorImlEEZNS1_24adjacent_difference_implIS3_Lb1ELb0EPjSB_N6thrust23THRUST_200600_302600_NS4plusIjEEEE10hipError_tPvRmT2_T3_mT4_P12ihipStream_tbEUlmE_jEESB_NS0_8identityIvEEEESG_SJ_SK_mSL_SN_bEUlT_E_NS1_11comp_targetILNS1_3genE4ELNS1_11target_archE910ELNS1_3gpuE8ELNS1_3repE0EEENS1_30default_config_static_selectorELNS0_4arch9wavefront6targetE0EEEvT1_,"axG",@progbits,_ZN7rocprim17ROCPRIM_400000_NS6detail17trampoline_kernelINS0_14default_configENS1_25transform_config_selectorIjLb0EEEZNS1_14transform_implILb0ES3_S5_NS0_18transform_iteratorINS0_17counting_iteratorImlEEZNS1_24adjacent_difference_implIS3_Lb1ELb0EPjSB_N6thrust23THRUST_200600_302600_NS4plusIjEEEE10hipError_tPvRmT2_T3_mT4_P12ihipStream_tbEUlmE_jEESB_NS0_8identityIvEEEESG_SJ_SK_mSL_SN_bEUlT_E_NS1_11comp_targetILNS1_3genE4ELNS1_11target_archE910ELNS1_3gpuE8ELNS1_3repE0EEENS1_30default_config_static_selectorELNS0_4arch9wavefront6targetE0EEEvT1_,comdat
.Lfunc_end190:
	.size	_ZN7rocprim17ROCPRIM_400000_NS6detail17trampoline_kernelINS0_14default_configENS1_25transform_config_selectorIjLb0EEEZNS1_14transform_implILb0ES3_S5_NS0_18transform_iteratorINS0_17counting_iteratorImlEEZNS1_24adjacent_difference_implIS3_Lb1ELb0EPjSB_N6thrust23THRUST_200600_302600_NS4plusIjEEEE10hipError_tPvRmT2_T3_mT4_P12ihipStream_tbEUlmE_jEESB_NS0_8identityIvEEEESG_SJ_SK_mSL_SN_bEUlT_E_NS1_11comp_targetILNS1_3genE4ELNS1_11target_archE910ELNS1_3gpuE8ELNS1_3repE0EEENS1_30default_config_static_selectorELNS0_4arch9wavefront6targetE0EEEvT1_, .Lfunc_end190-_ZN7rocprim17ROCPRIM_400000_NS6detail17trampoline_kernelINS0_14default_configENS1_25transform_config_selectorIjLb0EEEZNS1_14transform_implILb0ES3_S5_NS0_18transform_iteratorINS0_17counting_iteratorImlEEZNS1_24adjacent_difference_implIS3_Lb1ELb0EPjSB_N6thrust23THRUST_200600_302600_NS4plusIjEEEE10hipError_tPvRmT2_T3_mT4_P12ihipStream_tbEUlmE_jEESB_NS0_8identityIvEEEESG_SJ_SK_mSL_SN_bEUlT_E_NS1_11comp_targetILNS1_3genE4ELNS1_11target_archE910ELNS1_3gpuE8ELNS1_3repE0EEENS1_30default_config_static_selectorELNS0_4arch9wavefront6targetE0EEEvT1_
                                        ; -- End function
	.section	.AMDGPU.csdata,"",@progbits
; Kernel info:
; codeLenInByte = 0
; NumSgprs: 0
; NumVgprs: 0
; ScratchSize: 0
; MemoryBound: 0
; FloatMode: 240
; IeeeMode: 1
; LDSByteSize: 0 bytes/workgroup (compile time only)
; SGPRBlocks: 0
; VGPRBlocks: 0
; NumSGPRsForWavesPerEU: 1
; NumVGPRsForWavesPerEU: 1
; Occupancy: 16
; WaveLimiterHint : 0
; COMPUTE_PGM_RSRC2:SCRATCH_EN: 0
; COMPUTE_PGM_RSRC2:USER_SGPR: 15
; COMPUTE_PGM_RSRC2:TRAP_HANDLER: 0
; COMPUTE_PGM_RSRC2:TGID_X_EN: 1
; COMPUTE_PGM_RSRC2:TGID_Y_EN: 0
; COMPUTE_PGM_RSRC2:TGID_Z_EN: 0
; COMPUTE_PGM_RSRC2:TIDIG_COMP_CNT: 0
	.section	.text._ZN7rocprim17ROCPRIM_400000_NS6detail17trampoline_kernelINS0_14default_configENS1_25transform_config_selectorIjLb0EEEZNS1_14transform_implILb0ES3_S5_NS0_18transform_iteratorINS0_17counting_iteratorImlEEZNS1_24adjacent_difference_implIS3_Lb1ELb0EPjSB_N6thrust23THRUST_200600_302600_NS4plusIjEEEE10hipError_tPvRmT2_T3_mT4_P12ihipStream_tbEUlmE_jEESB_NS0_8identityIvEEEESG_SJ_SK_mSL_SN_bEUlT_E_NS1_11comp_targetILNS1_3genE3ELNS1_11target_archE908ELNS1_3gpuE7ELNS1_3repE0EEENS1_30default_config_static_selectorELNS0_4arch9wavefront6targetE0EEEvT1_,"axG",@progbits,_ZN7rocprim17ROCPRIM_400000_NS6detail17trampoline_kernelINS0_14default_configENS1_25transform_config_selectorIjLb0EEEZNS1_14transform_implILb0ES3_S5_NS0_18transform_iteratorINS0_17counting_iteratorImlEEZNS1_24adjacent_difference_implIS3_Lb1ELb0EPjSB_N6thrust23THRUST_200600_302600_NS4plusIjEEEE10hipError_tPvRmT2_T3_mT4_P12ihipStream_tbEUlmE_jEESB_NS0_8identityIvEEEESG_SJ_SK_mSL_SN_bEUlT_E_NS1_11comp_targetILNS1_3genE3ELNS1_11target_archE908ELNS1_3gpuE7ELNS1_3repE0EEENS1_30default_config_static_selectorELNS0_4arch9wavefront6targetE0EEEvT1_,comdat
	.protected	_ZN7rocprim17ROCPRIM_400000_NS6detail17trampoline_kernelINS0_14default_configENS1_25transform_config_selectorIjLb0EEEZNS1_14transform_implILb0ES3_S5_NS0_18transform_iteratorINS0_17counting_iteratorImlEEZNS1_24adjacent_difference_implIS3_Lb1ELb0EPjSB_N6thrust23THRUST_200600_302600_NS4plusIjEEEE10hipError_tPvRmT2_T3_mT4_P12ihipStream_tbEUlmE_jEESB_NS0_8identityIvEEEESG_SJ_SK_mSL_SN_bEUlT_E_NS1_11comp_targetILNS1_3genE3ELNS1_11target_archE908ELNS1_3gpuE7ELNS1_3repE0EEENS1_30default_config_static_selectorELNS0_4arch9wavefront6targetE0EEEvT1_ ; -- Begin function _ZN7rocprim17ROCPRIM_400000_NS6detail17trampoline_kernelINS0_14default_configENS1_25transform_config_selectorIjLb0EEEZNS1_14transform_implILb0ES3_S5_NS0_18transform_iteratorINS0_17counting_iteratorImlEEZNS1_24adjacent_difference_implIS3_Lb1ELb0EPjSB_N6thrust23THRUST_200600_302600_NS4plusIjEEEE10hipError_tPvRmT2_T3_mT4_P12ihipStream_tbEUlmE_jEESB_NS0_8identityIvEEEESG_SJ_SK_mSL_SN_bEUlT_E_NS1_11comp_targetILNS1_3genE3ELNS1_11target_archE908ELNS1_3gpuE7ELNS1_3repE0EEENS1_30default_config_static_selectorELNS0_4arch9wavefront6targetE0EEEvT1_
	.globl	_ZN7rocprim17ROCPRIM_400000_NS6detail17trampoline_kernelINS0_14default_configENS1_25transform_config_selectorIjLb0EEEZNS1_14transform_implILb0ES3_S5_NS0_18transform_iteratorINS0_17counting_iteratorImlEEZNS1_24adjacent_difference_implIS3_Lb1ELb0EPjSB_N6thrust23THRUST_200600_302600_NS4plusIjEEEE10hipError_tPvRmT2_T3_mT4_P12ihipStream_tbEUlmE_jEESB_NS0_8identityIvEEEESG_SJ_SK_mSL_SN_bEUlT_E_NS1_11comp_targetILNS1_3genE3ELNS1_11target_archE908ELNS1_3gpuE7ELNS1_3repE0EEENS1_30default_config_static_selectorELNS0_4arch9wavefront6targetE0EEEvT1_
	.p2align	8
	.type	_ZN7rocprim17ROCPRIM_400000_NS6detail17trampoline_kernelINS0_14default_configENS1_25transform_config_selectorIjLb0EEEZNS1_14transform_implILb0ES3_S5_NS0_18transform_iteratorINS0_17counting_iteratorImlEEZNS1_24adjacent_difference_implIS3_Lb1ELb0EPjSB_N6thrust23THRUST_200600_302600_NS4plusIjEEEE10hipError_tPvRmT2_T3_mT4_P12ihipStream_tbEUlmE_jEESB_NS0_8identityIvEEEESG_SJ_SK_mSL_SN_bEUlT_E_NS1_11comp_targetILNS1_3genE3ELNS1_11target_archE908ELNS1_3gpuE7ELNS1_3repE0EEENS1_30default_config_static_selectorELNS0_4arch9wavefront6targetE0EEEvT1_,@function
_ZN7rocprim17ROCPRIM_400000_NS6detail17trampoline_kernelINS0_14default_configENS1_25transform_config_selectorIjLb0EEEZNS1_14transform_implILb0ES3_S5_NS0_18transform_iteratorINS0_17counting_iteratorImlEEZNS1_24adjacent_difference_implIS3_Lb1ELb0EPjSB_N6thrust23THRUST_200600_302600_NS4plusIjEEEE10hipError_tPvRmT2_T3_mT4_P12ihipStream_tbEUlmE_jEESB_NS0_8identityIvEEEESG_SJ_SK_mSL_SN_bEUlT_E_NS1_11comp_targetILNS1_3genE3ELNS1_11target_archE908ELNS1_3gpuE7ELNS1_3repE0EEENS1_30default_config_static_selectorELNS0_4arch9wavefront6targetE0EEEvT1_: ; @_ZN7rocprim17ROCPRIM_400000_NS6detail17trampoline_kernelINS0_14default_configENS1_25transform_config_selectorIjLb0EEEZNS1_14transform_implILb0ES3_S5_NS0_18transform_iteratorINS0_17counting_iteratorImlEEZNS1_24adjacent_difference_implIS3_Lb1ELb0EPjSB_N6thrust23THRUST_200600_302600_NS4plusIjEEEE10hipError_tPvRmT2_T3_mT4_P12ihipStream_tbEUlmE_jEESB_NS0_8identityIvEEEESG_SJ_SK_mSL_SN_bEUlT_E_NS1_11comp_targetILNS1_3genE3ELNS1_11target_archE908ELNS1_3gpuE7ELNS1_3repE0EEENS1_30default_config_static_selectorELNS0_4arch9wavefront6targetE0EEEvT1_
; %bb.0:
	.section	.rodata,"a",@progbits
	.p2align	6, 0x0
	.amdhsa_kernel _ZN7rocprim17ROCPRIM_400000_NS6detail17trampoline_kernelINS0_14default_configENS1_25transform_config_selectorIjLb0EEEZNS1_14transform_implILb0ES3_S5_NS0_18transform_iteratorINS0_17counting_iteratorImlEEZNS1_24adjacent_difference_implIS3_Lb1ELb0EPjSB_N6thrust23THRUST_200600_302600_NS4plusIjEEEE10hipError_tPvRmT2_T3_mT4_P12ihipStream_tbEUlmE_jEESB_NS0_8identityIvEEEESG_SJ_SK_mSL_SN_bEUlT_E_NS1_11comp_targetILNS1_3genE3ELNS1_11target_archE908ELNS1_3gpuE7ELNS1_3repE0EEENS1_30default_config_static_selectorELNS0_4arch9wavefront6targetE0EEEvT1_
		.amdhsa_group_segment_fixed_size 0
		.amdhsa_private_segment_fixed_size 0
		.amdhsa_kernarg_size 56
		.amdhsa_user_sgpr_count 15
		.amdhsa_user_sgpr_dispatch_ptr 0
		.amdhsa_user_sgpr_queue_ptr 0
		.amdhsa_user_sgpr_kernarg_segment_ptr 1
		.amdhsa_user_sgpr_dispatch_id 0
		.amdhsa_user_sgpr_private_segment_size 0
		.amdhsa_wavefront_size32 1
		.amdhsa_uses_dynamic_stack 0
		.amdhsa_enable_private_segment 0
		.amdhsa_system_sgpr_workgroup_id_x 1
		.amdhsa_system_sgpr_workgroup_id_y 0
		.amdhsa_system_sgpr_workgroup_id_z 0
		.amdhsa_system_sgpr_workgroup_info 0
		.amdhsa_system_vgpr_workitem_id 0
		.amdhsa_next_free_vgpr 1
		.amdhsa_next_free_sgpr 1
		.amdhsa_reserve_vcc 0
		.amdhsa_float_round_mode_32 0
		.amdhsa_float_round_mode_16_64 0
		.amdhsa_float_denorm_mode_32 3
		.amdhsa_float_denorm_mode_16_64 3
		.amdhsa_dx10_clamp 1
		.amdhsa_ieee_mode 1
		.amdhsa_fp16_overflow 0
		.amdhsa_workgroup_processor_mode 1
		.amdhsa_memory_ordered 1
		.amdhsa_forward_progress 0
		.amdhsa_shared_vgpr_count 0
		.amdhsa_exception_fp_ieee_invalid_op 0
		.amdhsa_exception_fp_denorm_src 0
		.amdhsa_exception_fp_ieee_div_zero 0
		.amdhsa_exception_fp_ieee_overflow 0
		.amdhsa_exception_fp_ieee_underflow 0
		.amdhsa_exception_fp_ieee_inexact 0
		.amdhsa_exception_int_div_zero 0
	.end_amdhsa_kernel
	.section	.text._ZN7rocprim17ROCPRIM_400000_NS6detail17trampoline_kernelINS0_14default_configENS1_25transform_config_selectorIjLb0EEEZNS1_14transform_implILb0ES3_S5_NS0_18transform_iteratorINS0_17counting_iteratorImlEEZNS1_24adjacent_difference_implIS3_Lb1ELb0EPjSB_N6thrust23THRUST_200600_302600_NS4plusIjEEEE10hipError_tPvRmT2_T3_mT4_P12ihipStream_tbEUlmE_jEESB_NS0_8identityIvEEEESG_SJ_SK_mSL_SN_bEUlT_E_NS1_11comp_targetILNS1_3genE3ELNS1_11target_archE908ELNS1_3gpuE7ELNS1_3repE0EEENS1_30default_config_static_selectorELNS0_4arch9wavefront6targetE0EEEvT1_,"axG",@progbits,_ZN7rocprim17ROCPRIM_400000_NS6detail17trampoline_kernelINS0_14default_configENS1_25transform_config_selectorIjLb0EEEZNS1_14transform_implILb0ES3_S5_NS0_18transform_iteratorINS0_17counting_iteratorImlEEZNS1_24adjacent_difference_implIS3_Lb1ELb0EPjSB_N6thrust23THRUST_200600_302600_NS4plusIjEEEE10hipError_tPvRmT2_T3_mT4_P12ihipStream_tbEUlmE_jEESB_NS0_8identityIvEEEESG_SJ_SK_mSL_SN_bEUlT_E_NS1_11comp_targetILNS1_3genE3ELNS1_11target_archE908ELNS1_3gpuE7ELNS1_3repE0EEENS1_30default_config_static_selectorELNS0_4arch9wavefront6targetE0EEEvT1_,comdat
.Lfunc_end191:
	.size	_ZN7rocprim17ROCPRIM_400000_NS6detail17trampoline_kernelINS0_14default_configENS1_25transform_config_selectorIjLb0EEEZNS1_14transform_implILb0ES3_S5_NS0_18transform_iteratorINS0_17counting_iteratorImlEEZNS1_24adjacent_difference_implIS3_Lb1ELb0EPjSB_N6thrust23THRUST_200600_302600_NS4plusIjEEEE10hipError_tPvRmT2_T3_mT4_P12ihipStream_tbEUlmE_jEESB_NS0_8identityIvEEEESG_SJ_SK_mSL_SN_bEUlT_E_NS1_11comp_targetILNS1_3genE3ELNS1_11target_archE908ELNS1_3gpuE7ELNS1_3repE0EEENS1_30default_config_static_selectorELNS0_4arch9wavefront6targetE0EEEvT1_, .Lfunc_end191-_ZN7rocprim17ROCPRIM_400000_NS6detail17trampoline_kernelINS0_14default_configENS1_25transform_config_selectorIjLb0EEEZNS1_14transform_implILb0ES3_S5_NS0_18transform_iteratorINS0_17counting_iteratorImlEEZNS1_24adjacent_difference_implIS3_Lb1ELb0EPjSB_N6thrust23THRUST_200600_302600_NS4plusIjEEEE10hipError_tPvRmT2_T3_mT4_P12ihipStream_tbEUlmE_jEESB_NS0_8identityIvEEEESG_SJ_SK_mSL_SN_bEUlT_E_NS1_11comp_targetILNS1_3genE3ELNS1_11target_archE908ELNS1_3gpuE7ELNS1_3repE0EEENS1_30default_config_static_selectorELNS0_4arch9wavefront6targetE0EEEvT1_
                                        ; -- End function
	.section	.AMDGPU.csdata,"",@progbits
; Kernel info:
; codeLenInByte = 0
; NumSgprs: 0
; NumVgprs: 0
; ScratchSize: 0
; MemoryBound: 0
; FloatMode: 240
; IeeeMode: 1
; LDSByteSize: 0 bytes/workgroup (compile time only)
; SGPRBlocks: 0
; VGPRBlocks: 0
; NumSGPRsForWavesPerEU: 1
; NumVGPRsForWavesPerEU: 1
; Occupancy: 16
; WaveLimiterHint : 0
; COMPUTE_PGM_RSRC2:SCRATCH_EN: 0
; COMPUTE_PGM_RSRC2:USER_SGPR: 15
; COMPUTE_PGM_RSRC2:TRAP_HANDLER: 0
; COMPUTE_PGM_RSRC2:TGID_X_EN: 1
; COMPUTE_PGM_RSRC2:TGID_Y_EN: 0
; COMPUTE_PGM_RSRC2:TGID_Z_EN: 0
; COMPUTE_PGM_RSRC2:TIDIG_COMP_CNT: 0
	.section	.text._ZN7rocprim17ROCPRIM_400000_NS6detail17trampoline_kernelINS0_14default_configENS1_25transform_config_selectorIjLb0EEEZNS1_14transform_implILb0ES3_S5_NS0_18transform_iteratorINS0_17counting_iteratorImlEEZNS1_24adjacent_difference_implIS3_Lb1ELb0EPjSB_N6thrust23THRUST_200600_302600_NS4plusIjEEEE10hipError_tPvRmT2_T3_mT4_P12ihipStream_tbEUlmE_jEESB_NS0_8identityIvEEEESG_SJ_SK_mSL_SN_bEUlT_E_NS1_11comp_targetILNS1_3genE2ELNS1_11target_archE906ELNS1_3gpuE6ELNS1_3repE0EEENS1_30default_config_static_selectorELNS0_4arch9wavefront6targetE0EEEvT1_,"axG",@progbits,_ZN7rocprim17ROCPRIM_400000_NS6detail17trampoline_kernelINS0_14default_configENS1_25transform_config_selectorIjLb0EEEZNS1_14transform_implILb0ES3_S5_NS0_18transform_iteratorINS0_17counting_iteratorImlEEZNS1_24adjacent_difference_implIS3_Lb1ELb0EPjSB_N6thrust23THRUST_200600_302600_NS4plusIjEEEE10hipError_tPvRmT2_T3_mT4_P12ihipStream_tbEUlmE_jEESB_NS0_8identityIvEEEESG_SJ_SK_mSL_SN_bEUlT_E_NS1_11comp_targetILNS1_3genE2ELNS1_11target_archE906ELNS1_3gpuE6ELNS1_3repE0EEENS1_30default_config_static_selectorELNS0_4arch9wavefront6targetE0EEEvT1_,comdat
	.protected	_ZN7rocprim17ROCPRIM_400000_NS6detail17trampoline_kernelINS0_14default_configENS1_25transform_config_selectorIjLb0EEEZNS1_14transform_implILb0ES3_S5_NS0_18transform_iteratorINS0_17counting_iteratorImlEEZNS1_24adjacent_difference_implIS3_Lb1ELb0EPjSB_N6thrust23THRUST_200600_302600_NS4plusIjEEEE10hipError_tPvRmT2_T3_mT4_P12ihipStream_tbEUlmE_jEESB_NS0_8identityIvEEEESG_SJ_SK_mSL_SN_bEUlT_E_NS1_11comp_targetILNS1_3genE2ELNS1_11target_archE906ELNS1_3gpuE6ELNS1_3repE0EEENS1_30default_config_static_selectorELNS0_4arch9wavefront6targetE0EEEvT1_ ; -- Begin function _ZN7rocprim17ROCPRIM_400000_NS6detail17trampoline_kernelINS0_14default_configENS1_25transform_config_selectorIjLb0EEEZNS1_14transform_implILb0ES3_S5_NS0_18transform_iteratorINS0_17counting_iteratorImlEEZNS1_24adjacent_difference_implIS3_Lb1ELb0EPjSB_N6thrust23THRUST_200600_302600_NS4plusIjEEEE10hipError_tPvRmT2_T3_mT4_P12ihipStream_tbEUlmE_jEESB_NS0_8identityIvEEEESG_SJ_SK_mSL_SN_bEUlT_E_NS1_11comp_targetILNS1_3genE2ELNS1_11target_archE906ELNS1_3gpuE6ELNS1_3repE0EEENS1_30default_config_static_selectorELNS0_4arch9wavefront6targetE0EEEvT1_
	.globl	_ZN7rocprim17ROCPRIM_400000_NS6detail17trampoline_kernelINS0_14default_configENS1_25transform_config_selectorIjLb0EEEZNS1_14transform_implILb0ES3_S5_NS0_18transform_iteratorINS0_17counting_iteratorImlEEZNS1_24adjacent_difference_implIS3_Lb1ELb0EPjSB_N6thrust23THRUST_200600_302600_NS4plusIjEEEE10hipError_tPvRmT2_T3_mT4_P12ihipStream_tbEUlmE_jEESB_NS0_8identityIvEEEESG_SJ_SK_mSL_SN_bEUlT_E_NS1_11comp_targetILNS1_3genE2ELNS1_11target_archE906ELNS1_3gpuE6ELNS1_3repE0EEENS1_30default_config_static_selectorELNS0_4arch9wavefront6targetE0EEEvT1_
	.p2align	8
	.type	_ZN7rocprim17ROCPRIM_400000_NS6detail17trampoline_kernelINS0_14default_configENS1_25transform_config_selectorIjLb0EEEZNS1_14transform_implILb0ES3_S5_NS0_18transform_iteratorINS0_17counting_iteratorImlEEZNS1_24adjacent_difference_implIS3_Lb1ELb0EPjSB_N6thrust23THRUST_200600_302600_NS4plusIjEEEE10hipError_tPvRmT2_T3_mT4_P12ihipStream_tbEUlmE_jEESB_NS0_8identityIvEEEESG_SJ_SK_mSL_SN_bEUlT_E_NS1_11comp_targetILNS1_3genE2ELNS1_11target_archE906ELNS1_3gpuE6ELNS1_3repE0EEENS1_30default_config_static_selectorELNS0_4arch9wavefront6targetE0EEEvT1_,@function
_ZN7rocprim17ROCPRIM_400000_NS6detail17trampoline_kernelINS0_14default_configENS1_25transform_config_selectorIjLb0EEEZNS1_14transform_implILb0ES3_S5_NS0_18transform_iteratorINS0_17counting_iteratorImlEEZNS1_24adjacent_difference_implIS3_Lb1ELb0EPjSB_N6thrust23THRUST_200600_302600_NS4plusIjEEEE10hipError_tPvRmT2_T3_mT4_P12ihipStream_tbEUlmE_jEESB_NS0_8identityIvEEEESG_SJ_SK_mSL_SN_bEUlT_E_NS1_11comp_targetILNS1_3genE2ELNS1_11target_archE906ELNS1_3gpuE6ELNS1_3repE0EEENS1_30default_config_static_selectorELNS0_4arch9wavefront6targetE0EEEvT1_: ; @_ZN7rocprim17ROCPRIM_400000_NS6detail17trampoline_kernelINS0_14default_configENS1_25transform_config_selectorIjLb0EEEZNS1_14transform_implILb0ES3_S5_NS0_18transform_iteratorINS0_17counting_iteratorImlEEZNS1_24adjacent_difference_implIS3_Lb1ELb0EPjSB_N6thrust23THRUST_200600_302600_NS4plusIjEEEE10hipError_tPvRmT2_T3_mT4_P12ihipStream_tbEUlmE_jEESB_NS0_8identityIvEEEESG_SJ_SK_mSL_SN_bEUlT_E_NS1_11comp_targetILNS1_3genE2ELNS1_11target_archE906ELNS1_3gpuE6ELNS1_3repE0EEENS1_30default_config_static_selectorELNS0_4arch9wavefront6targetE0EEEvT1_
; %bb.0:
	.section	.rodata,"a",@progbits
	.p2align	6, 0x0
	.amdhsa_kernel _ZN7rocprim17ROCPRIM_400000_NS6detail17trampoline_kernelINS0_14default_configENS1_25transform_config_selectorIjLb0EEEZNS1_14transform_implILb0ES3_S5_NS0_18transform_iteratorINS0_17counting_iteratorImlEEZNS1_24adjacent_difference_implIS3_Lb1ELb0EPjSB_N6thrust23THRUST_200600_302600_NS4plusIjEEEE10hipError_tPvRmT2_T3_mT4_P12ihipStream_tbEUlmE_jEESB_NS0_8identityIvEEEESG_SJ_SK_mSL_SN_bEUlT_E_NS1_11comp_targetILNS1_3genE2ELNS1_11target_archE906ELNS1_3gpuE6ELNS1_3repE0EEENS1_30default_config_static_selectorELNS0_4arch9wavefront6targetE0EEEvT1_
		.amdhsa_group_segment_fixed_size 0
		.amdhsa_private_segment_fixed_size 0
		.amdhsa_kernarg_size 56
		.amdhsa_user_sgpr_count 15
		.amdhsa_user_sgpr_dispatch_ptr 0
		.amdhsa_user_sgpr_queue_ptr 0
		.amdhsa_user_sgpr_kernarg_segment_ptr 1
		.amdhsa_user_sgpr_dispatch_id 0
		.amdhsa_user_sgpr_private_segment_size 0
		.amdhsa_wavefront_size32 1
		.amdhsa_uses_dynamic_stack 0
		.amdhsa_enable_private_segment 0
		.amdhsa_system_sgpr_workgroup_id_x 1
		.amdhsa_system_sgpr_workgroup_id_y 0
		.amdhsa_system_sgpr_workgroup_id_z 0
		.amdhsa_system_sgpr_workgroup_info 0
		.amdhsa_system_vgpr_workitem_id 0
		.amdhsa_next_free_vgpr 1
		.amdhsa_next_free_sgpr 1
		.amdhsa_reserve_vcc 0
		.amdhsa_float_round_mode_32 0
		.amdhsa_float_round_mode_16_64 0
		.amdhsa_float_denorm_mode_32 3
		.amdhsa_float_denorm_mode_16_64 3
		.amdhsa_dx10_clamp 1
		.amdhsa_ieee_mode 1
		.amdhsa_fp16_overflow 0
		.amdhsa_workgroup_processor_mode 1
		.amdhsa_memory_ordered 1
		.amdhsa_forward_progress 0
		.amdhsa_shared_vgpr_count 0
		.amdhsa_exception_fp_ieee_invalid_op 0
		.amdhsa_exception_fp_denorm_src 0
		.amdhsa_exception_fp_ieee_div_zero 0
		.amdhsa_exception_fp_ieee_overflow 0
		.amdhsa_exception_fp_ieee_underflow 0
		.amdhsa_exception_fp_ieee_inexact 0
		.amdhsa_exception_int_div_zero 0
	.end_amdhsa_kernel
	.section	.text._ZN7rocprim17ROCPRIM_400000_NS6detail17trampoline_kernelINS0_14default_configENS1_25transform_config_selectorIjLb0EEEZNS1_14transform_implILb0ES3_S5_NS0_18transform_iteratorINS0_17counting_iteratorImlEEZNS1_24adjacent_difference_implIS3_Lb1ELb0EPjSB_N6thrust23THRUST_200600_302600_NS4plusIjEEEE10hipError_tPvRmT2_T3_mT4_P12ihipStream_tbEUlmE_jEESB_NS0_8identityIvEEEESG_SJ_SK_mSL_SN_bEUlT_E_NS1_11comp_targetILNS1_3genE2ELNS1_11target_archE906ELNS1_3gpuE6ELNS1_3repE0EEENS1_30default_config_static_selectorELNS0_4arch9wavefront6targetE0EEEvT1_,"axG",@progbits,_ZN7rocprim17ROCPRIM_400000_NS6detail17trampoline_kernelINS0_14default_configENS1_25transform_config_selectorIjLb0EEEZNS1_14transform_implILb0ES3_S5_NS0_18transform_iteratorINS0_17counting_iteratorImlEEZNS1_24adjacent_difference_implIS3_Lb1ELb0EPjSB_N6thrust23THRUST_200600_302600_NS4plusIjEEEE10hipError_tPvRmT2_T3_mT4_P12ihipStream_tbEUlmE_jEESB_NS0_8identityIvEEEESG_SJ_SK_mSL_SN_bEUlT_E_NS1_11comp_targetILNS1_3genE2ELNS1_11target_archE906ELNS1_3gpuE6ELNS1_3repE0EEENS1_30default_config_static_selectorELNS0_4arch9wavefront6targetE0EEEvT1_,comdat
.Lfunc_end192:
	.size	_ZN7rocprim17ROCPRIM_400000_NS6detail17trampoline_kernelINS0_14default_configENS1_25transform_config_selectorIjLb0EEEZNS1_14transform_implILb0ES3_S5_NS0_18transform_iteratorINS0_17counting_iteratorImlEEZNS1_24adjacent_difference_implIS3_Lb1ELb0EPjSB_N6thrust23THRUST_200600_302600_NS4plusIjEEEE10hipError_tPvRmT2_T3_mT4_P12ihipStream_tbEUlmE_jEESB_NS0_8identityIvEEEESG_SJ_SK_mSL_SN_bEUlT_E_NS1_11comp_targetILNS1_3genE2ELNS1_11target_archE906ELNS1_3gpuE6ELNS1_3repE0EEENS1_30default_config_static_selectorELNS0_4arch9wavefront6targetE0EEEvT1_, .Lfunc_end192-_ZN7rocprim17ROCPRIM_400000_NS6detail17trampoline_kernelINS0_14default_configENS1_25transform_config_selectorIjLb0EEEZNS1_14transform_implILb0ES3_S5_NS0_18transform_iteratorINS0_17counting_iteratorImlEEZNS1_24adjacent_difference_implIS3_Lb1ELb0EPjSB_N6thrust23THRUST_200600_302600_NS4plusIjEEEE10hipError_tPvRmT2_T3_mT4_P12ihipStream_tbEUlmE_jEESB_NS0_8identityIvEEEESG_SJ_SK_mSL_SN_bEUlT_E_NS1_11comp_targetILNS1_3genE2ELNS1_11target_archE906ELNS1_3gpuE6ELNS1_3repE0EEENS1_30default_config_static_selectorELNS0_4arch9wavefront6targetE0EEEvT1_
                                        ; -- End function
	.section	.AMDGPU.csdata,"",@progbits
; Kernel info:
; codeLenInByte = 0
; NumSgprs: 0
; NumVgprs: 0
; ScratchSize: 0
; MemoryBound: 0
; FloatMode: 240
; IeeeMode: 1
; LDSByteSize: 0 bytes/workgroup (compile time only)
; SGPRBlocks: 0
; VGPRBlocks: 0
; NumSGPRsForWavesPerEU: 1
; NumVGPRsForWavesPerEU: 1
; Occupancy: 16
; WaveLimiterHint : 0
; COMPUTE_PGM_RSRC2:SCRATCH_EN: 0
; COMPUTE_PGM_RSRC2:USER_SGPR: 15
; COMPUTE_PGM_RSRC2:TRAP_HANDLER: 0
; COMPUTE_PGM_RSRC2:TGID_X_EN: 1
; COMPUTE_PGM_RSRC2:TGID_Y_EN: 0
; COMPUTE_PGM_RSRC2:TGID_Z_EN: 0
; COMPUTE_PGM_RSRC2:TIDIG_COMP_CNT: 0
	.section	.text._ZN7rocprim17ROCPRIM_400000_NS6detail17trampoline_kernelINS0_14default_configENS1_25transform_config_selectorIjLb0EEEZNS1_14transform_implILb0ES3_S5_NS0_18transform_iteratorINS0_17counting_iteratorImlEEZNS1_24adjacent_difference_implIS3_Lb1ELb0EPjSB_N6thrust23THRUST_200600_302600_NS4plusIjEEEE10hipError_tPvRmT2_T3_mT4_P12ihipStream_tbEUlmE_jEESB_NS0_8identityIvEEEESG_SJ_SK_mSL_SN_bEUlT_E_NS1_11comp_targetILNS1_3genE10ELNS1_11target_archE1201ELNS1_3gpuE5ELNS1_3repE0EEENS1_30default_config_static_selectorELNS0_4arch9wavefront6targetE0EEEvT1_,"axG",@progbits,_ZN7rocprim17ROCPRIM_400000_NS6detail17trampoline_kernelINS0_14default_configENS1_25transform_config_selectorIjLb0EEEZNS1_14transform_implILb0ES3_S5_NS0_18transform_iteratorINS0_17counting_iteratorImlEEZNS1_24adjacent_difference_implIS3_Lb1ELb0EPjSB_N6thrust23THRUST_200600_302600_NS4plusIjEEEE10hipError_tPvRmT2_T3_mT4_P12ihipStream_tbEUlmE_jEESB_NS0_8identityIvEEEESG_SJ_SK_mSL_SN_bEUlT_E_NS1_11comp_targetILNS1_3genE10ELNS1_11target_archE1201ELNS1_3gpuE5ELNS1_3repE0EEENS1_30default_config_static_selectorELNS0_4arch9wavefront6targetE0EEEvT1_,comdat
	.protected	_ZN7rocprim17ROCPRIM_400000_NS6detail17trampoline_kernelINS0_14default_configENS1_25transform_config_selectorIjLb0EEEZNS1_14transform_implILb0ES3_S5_NS0_18transform_iteratorINS0_17counting_iteratorImlEEZNS1_24adjacent_difference_implIS3_Lb1ELb0EPjSB_N6thrust23THRUST_200600_302600_NS4plusIjEEEE10hipError_tPvRmT2_T3_mT4_P12ihipStream_tbEUlmE_jEESB_NS0_8identityIvEEEESG_SJ_SK_mSL_SN_bEUlT_E_NS1_11comp_targetILNS1_3genE10ELNS1_11target_archE1201ELNS1_3gpuE5ELNS1_3repE0EEENS1_30default_config_static_selectorELNS0_4arch9wavefront6targetE0EEEvT1_ ; -- Begin function _ZN7rocprim17ROCPRIM_400000_NS6detail17trampoline_kernelINS0_14default_configENS1_25transform_config_selectorIjLb0EEEZNS1_14transform_implILb0ES3_S5_NS0_18transform_iteratorINS0_17counting_iteratorImlEEZNS1_24adjacent_difference_implIS3_Lb1ELb0EPjSB_N6thrust23THRUST_200600_302600_NS4plusIjEEEE10hipError_tPvRmT2_T3_mT4_P12ihipStream_tbEUlmE_jEESB_NS0_8identityIvEEEESG_SJ_SK_mSL_SN_bEUlT_E_NS1_11comp_targetILNS1_3genE10ELNS1_11target_archE1201ELNS1_3gpuE5ELNS1_3repE0EEENS1_30default_config_static_selectorELNS0_4arch9wavefront6targetE0EEEvT1_
	.globl	_ZN7rocprim17ROCPRIM_400000_NS6detail17trampoline_kernelINS0_14default_configENS1_25transform_config_selectorIjLb0EEEZNS1_14transform_implILb0ES3_S5_NS0_18transform_iteratorINS0_17counting_iteratorImlEEZNS1_24adjacent_difference_implIS3_Lb1ELb0EPjSB_N6thrust23THRUST_200600_302600_NS4plusIjEEEE10hipError_tPvRmT2_T3_mT4_P12ihipStream_tbEUlmE_jEESB_NS0_8identityIvEEEESG_SJ_SK_mSL_SN_bEUlT_E_NS1_11comp_targetILNS1_3genE10ELNS1_11target_archE1201ELNS1_3gpuE5ELNS1_3repE0EEENS1_30default_config_static_selectorELNS0_4arch9wavefront6targetE0EEEvT1_
	.p2align	8
	.type	_ZN7rocprim17ROCPRIM_400000_NS6detail17trampoline_kernelINS0_14default_configENS1_25transform_config_selectorIjLb0EEEZNS1_14transform_implILb0ES3_S5_NS0_18transform_iteratorINS0_17counting_iteratorImlEEZNS1_24adjacent_difference_implIS3_Lb1ELb0EPjSB_N6thrust23THRUST_200600_302600_NS4plusIjEEEE10hipError_tPvRmT2_T3_mT4_P12ihipStream_tbEUlmE_jEESB_NS0_8identityIvEEEESG_SJ_SK_mSL_SN_bEUlT_E_NS1_11comp_targetILNS1_3genE10ELNS1_11target_archE1201ELNS1_3gpuE5ELNS1_3repE0EEENS1_30default_config_static_selectorELNS0_4arch9wavefront6targetE0EEEvT1_,@function
_ZN7rocprim17ROCPRIM_400000_NS6detail17trampoline_kernelINS0_14default_configENS1_25transform_config_selectorIjLb0EEEZNS1_14transform_implILb0ES3_S5_NS0_18transform_iteratorINS0_17counting_iteratorImlEEZNS1_24adjacent_difference_implIS3_Lb1ELb0EPjSB_N6thrust23THRUST_200600_302600_NS4plusIjEEEE10hipError_tPvRmT2_T3_mT4_P12ihipStream_tbEUlmE_jEESB_NS0_8identityIvEEEESG_SJ_SK_mSL_SN_bEUlT_E_NS1_11comp_targetILNS1_3genE10ELNS1_11target_archE1201ELNS1_3gpuE5ELNS1_3repE0EEENS1_30default_config_static_selectorELNS0_4arch9wavefront6targetE0EEEvT1_: ; @_ZN7rocprim17ROCPRIM_400000_NS6detail17trampoline_kernelINS0_14default_configENS1_25transform_config_selectorIjLb0EEEZNS1_14transform_implILb0ES3_S5_NS0_18transform_iteratorINS0_17counting_iteratorImlEEZNS1_24adjacent_difference_implIS3_Lb1ELb0EPjSB_N6thrust23THRUST_200600_302600_NS4plusIjEEEE10hipError_tPvRmT2_T3_mT4_P12ihipStream_tbEUlmE_jEESB_NS0_8identityIvEEEESG_SJ_SK_mSL_SN_bEUlT_E_NS1_11comp_targetILNS1_3genE10ELNS1_11target_archE1201ELNS1_3gpuE5ELNS1_3repE0EEENS1_30default_config_static_selectorELNS0_4arch9wavefront6targetE0EEEvT1_
; %bb.0:
	.section	.rodata,"a",@progbits
	.p2align	6, 0x0
	.amdhsa_kernel _ZN7rocprim17ROCPRIM_400000_NS6detail17trampoline_kernelINS0_14default_configENS1_25transform_config_selectorIjLb0EEEZNS1_14transform_implILb0ES3_S5_NS0_18transform_iteratorINS0_17counting_iteratorImlEEZNS1_24adjacent_difference_implIS3_Lb1ELb0EPjSB_N6thrust23THRUST_200600_302600_NS4plusIjEEEE10hipError_tPvRmT2_T3_mT4_P12ihipStream_tbEUlmE_jEESB_NS0_8identityIvEEEESG_SJ_SK_mSL_SN_bEUlT_E_NS1_11comp_targetILNS1_3genE10ELNS1_11target_archE1201ELNS1_3gpuE5ELNS1_3repE0EEENS1_30default_config_static_selectorELNS0_4arch9wavefront6targetE0EEEvT1_
		.amdhsa_group_segment_fixed_size 0
		.amdhsa_private_segment_fixed_size 0
		.amdhsa_kernarg_size 56
		.amdhsa_user_sgpr_count 15
		.amdhsa_user_sgpr_dispatch_ptr 0
		.amdhsa_user_sgpr_queue_ptr 0
		.amdhsa_user_sgpr_kernarg_segment_ptr 1
		.amdhsa_user_sgpr_dispatch_id 0
		.amdhsa_user_sgpr_private_segment_size 0
		.amdhsa_wavefront_size32 1
		.amdhsa_uses_dynamic_stack 0
		.amdhsa_enable_private_segment 0
		.amdhsa_system_sgpr_workgroup_id_x 1
		.amdhsa_system_sgpr_workgroup_id_y 0
		.amdhsa_system_sgpr_workgroup_id_z 0
		.amdhsa_system_sgpr_workgroup_info 0
		.amdhsa_system_vgpr_workitem_id 0
		.amdhsa_next_free_vgpr 1
		.amdhsa_next_free_sgpr 1
		.amdhsa_reserve_vcc 0
		.amdhsa_float_round_mode_32 0
		.amdhsa_float_round_mode_16_64 0
		.amdhsa_float_denorm_mode_32 3
		.amdhsa_float_denorm_mode_16_64 3
		.amdhsa_dx10_clamp 1
		.amdhsa_ieee_mode 1
		.amdhsa_fp16_overflow 0
		.amdhsa_workgroup_processor_mode 1
		.amdhsa_memory_ordered 1
		.amdhsa_forward_progress 0
		.amdhsa_shared_vgpr_count 0
		.amdhsa_exception_fp_ieee_invalid_op 0
		.amdhsa_exception_fp_denorm_src 0
		.amdhsa_exception_fp_ieee_div_zero 0
		.amdhsa_exception_fp_ieee_overflow 0
		.amdhsa_exception_fp_ieee_underflow 0
		.amdhsa_exception_fp_ieee_inexact 0
		.amdhsa_exception_int_div_zero 0
	.end_amdhsa_kernel
	.section	.text._ZN7rocprim17ROCPRIM_400000_NS6detail17trampoline_kernelINS0_14default_configENS1_25transform_config_selectorIjLb0EEEZNS1_14transform_implILb0ES3_S5_NS0_18transform_iteratorINS0_17counting_iteratorImlEEZNS1_24adjacent_difference_implIS3_Lb1ELb0EPjSB_N6thrust23THRUST_200600_302600_NS4plusIjEEEE10hipError_tPvRmT2_T3_mT4_P12ihipStream_tbEUlmE_jEESB_NS0_8identityIvEEEESG_SJ_SK_mSL_SN_bEUlT_E_NS1_11comp_targetILNS1_3genE10ELNS1_11target_archE1201ELNS1_3gpuE5ELNS1_3repE0EEENS1_30default_config_static_selectorELNS0_4arch9wavefront6targetE0EEEvT1_,"axG",@progbits,_ZN7rocprim17ROCPRIM_400000_NS6detail17trampoline_kernelINS0_14default_configENS1_25transform_config_selectorIjLb0EEEZNS1_14transform_implILb0ES3_S5_NS0_18transform_iteratorINS0_17counting_iteratorImlEEZNS1_24adjacent_difference_implIS3_Lb1ELb0EPjSB_N6thrust23THRUST_200600_302600_NS4plusIjEEEE10hipError_tPvRmT2_T3_mT4_P12ihipStream_tbEUlmE_jEESB_NS0_8identityIvEEEESG_SJ_SK_mSL_SN_bEUlT_E_NS1_11comp_targetILNS1_3genE10ELNS1_11target_archE1201ELNS1_3gpuE5ELNS1_3repE0EEENS1_30default_config_static_selectorELNS0_4arch9wavefront6targetE0EEEvT1_,comdat
.Lfunc_end193:
	.size	_ZN7rocprim17ROCPRIM_400000_NS6detail17trampoline_kernelINS0_14default_configENS1_25transform_config_selectorIjLb0EEEZNS1_14transform_implILb0ES3_S5_NS0_18transform_iteratorINS0_17counting_iteratorImlEEZNS1_24adjacent_difference_implIS3_Lb1ELb0EPjSB_N6thrust23THRUST_200600_302600_NS4plusIjEEEE10hipError_tPvRmT2_T3_mT4_P12ihipStream_tbEUlmE_jEESB_NS0_8identityIvEEEESG_SJ_SK_mSL_SN_bEUlT_E_NS1_11comp_targetILNS1_3genE10ELNS1_11target_archE1201ELNS1_3gpuE5ELNS1_3repE0EEENS1_30default_config_static_selectorELNS0_4arch9wavefront6targetE0EEEvT1_, .Lfunc_end193-_ZN7rocprim17ROCPRIM_400000_NS6detail17trampoline_kernelINS0_14default_configENS1_25transform_config_selectorIjLb0EEEZNS1_14transform_implILb0ES3_S5_NS0_18transform_iteratorINS0_17counting_iteratorImlEEZNS1_24adjacent_difference_implIS3_Lb1ELb0EPjSB_N6thrust23THRUST_200600_302600_NS4plusIjEEEE10hipError_tPvRmT2_T3_mT4_P12ihipStream_tbEUlmE_jEESB_NS0_8identityIvEEEESG_SJ_SK_mSL_SN_bEUlT_E_NS1_11comp_targetILNS1_3genE10ELNS1_11target_archE1201ELNS1_3gpuE5ELNS1_3repE0EEENS1_30default_config_static_selectorELNS0_4arch9wavefront6targetE0EEEvT1_
                                        ; -- End function
	.section	.AMDGPU.csdata,"",@progbits
; Kernel info:
; codeLenInByte = 0
; NumSgprs: 0
; NumVgprs: 0
; ScratchSize: 0
; MemoryBound: 0
; FloatMode: 240
; IeeeMode: 1
; LDSByteSize: 0 bytes/workgroup (compile time only)
; SGPRBlocks: 0
; VGPRBlocks: 0
; NumSGPRsForWavesPerEU: 1
; NumVGPRsForWavesPerEU: 1
; Occupancy: 16
; WaveLimiterHint : 0
; COMPUTE_PGM_RSRC2:SCRATCH_EN: 0
; COMPUTE_PGM_RSRC2:USER_SGPR: 15
; COMPUTE_PGM_RSRC2:TRAP_HANDLER: 0
; COMPUTE_PGM_RSRC2:TGID_X_EN: 1
; COMPUTE_PGM_RSRC2:TGID_Y_EN: 0
; COMPUTE_PGM_RSRC2:TGID_Z_EN: 0
; COMPUTE_PGM_RSRC2:TIDIG_COMP_CNT: 0
	.section	.text._ZN7rocprim17ROCPRIM_400000_NS6detail17trampoline_kernelINS0_14default_configENS1_25transform_config_selectorIjLb0EEEZNS1_14transform_implILb0ES3_S5_NS0_18transform_iteratorINS0_17counting_iteratorImlEEZNS1_24adjacent_difference_implIS3_Lb1ELb0EPjSB_N6thrust23THRUST_200600_302600_NS4plusIjEEEE10hipError_tPvRmT2_T3_mT4_P12ihipStream_tbEUlmE_jEESB_NS0_8identityIvEEEESG_SJ_SK_mSL_SN_bEUlT_E_NS1_11comp_targetILNS1_3genE10ELNS1_11target_archE1200ELNS1_3gpuE4ELNS1_3repE0EEENS1_30default_config_static_selectorELNS0_4arch9wavefront6targetE0EEEvT1_,"axG",@progbits,_ZN7rocprim17ROCPRIM_400000_NS6detail17trampoline_kernelINS0_14default_configENS1_25transform_config_selectorIjLb0EEEZNS1_14transform_implILb0ES3_S5_NS0_18transform_iteratorINS0_17counting_iteratorImlEEZNS1_24adjacent_difference_implIS3_Lb1ELb0EPjSB_N6thrust23THRUST_200600_302600_NS4plusIjEEEE10hipError_tPvRmT2_T3_mT4_P12ihipStream_tbEUlmE_jEESB_NS0_8identityIvEEEESG_SJ_SK_mSL_SN_bEUlT_E_NS1_11comp_targetILNS1_3genE10ELNS1_11target_archE1200ELNS1_3gpuE4ELNS1_3repE0EEENS1_30default_config_static_selectorELNS0_4arch9wavefront6targetE0EEEvT1_,comdat
	.protected	_ZN7rocprim17ROCPRIM_400000_NS6detail17trampoline_kernelINS0_14default_configENS1_25transform_config_selectorIjLb0EEEZNS1_14transform_implILb0ES3_S5_NS0_18transform_iteratorINS0_17counting_iteratorImlEEZNS1_24adjacent_difference_implIS3_Lb1ELb0EPjSB_N6thrust23THRUST_200600_302600_NS4plusIjEEEE10hipError_tPvRmT2_T3_mT4_P12ihipStream_tbEUlmE_jEESB_NS0_8identityIvEEEESG_SJ_SK_mSL_SN_bEUlT_E_NS1_11comp_targetILNS1_3genE10ELNS1_11target_archE1200ELNS1_3gpuE4ELNS1_3repE0EEENS1_30default_config_static_selectorELNS0_4arch9wavefront6targetE0EEEvT1_ ; -- Begin function _ZN7rocprim17ROCPRIM_400000_NS6detail17trampoline_kernelINS0_14default_configENS1_25transform_config_selectorIjLb0EEEZNS1_14transform_implILb0ES3_S5_NS0_18transform_iteratorINS0_17counting_iteratorImlEEZNS1_24adjacent_difference_implIS3_Lb1ELb0EPjSB_N6thrust23THRUST_200600_302600_NS4plusIjEEEE10hipError_tPvRmT2_T3_mT4_P12ihipStream_tbEUlmE_jEESB_NS0_8identityIvEEEESG_SJ_SK_mSL_SN_bEUlT_E_NS1_11comp_targetILNS1_3genE10ELNS1_11target_archE1200ELNS1_3gpuE4ELNS1_3repE0EEENS1_30default_config_static_selectorELNS0_4arch9wavefront6targetE0EEEvT1_
	.globl	_ZN7rocprim17ROCPRIM_400000_NS6detail17trampoline_kernelINS0_14default_configENS1_25transform_config_selectorIjLb0EEEZNS1_14transform_implILb0ES3_S5_NS0_18transform_iteratorINS0_17counting_iteratorImlEEZNS1_24adjacent_difference_implIS3_Lb1ELb0EPjSB_N6thrust23THRUST_200600_302600_NS4plusIjEEEE10hipError_tPvRmT2_T3_mT4_P12ihipStream_tbEUlmE_jEESB_NS0_8identityIvEEEESG_SJ_SK_mSL_SN_bEUlT_E_NS1_11comp_targetILNS1_3genE10ELNS1_11target_archE1200ELNS1_3gpuE4ELNS1_3repE0EEENS1_30default_config_static_selectorELNS0_4arch9wavefront6targetE0EEEvT1_
	.p2align	8
	.type	_ZN7rocprim17ROCPRIM_400000_NS6detail17trampoline_kernelINS0_14default_configENS1_25transform_config_selectorIjLb0EEEZNS1_14transform_implILb0ES3_S5_NS0_18transform_iteratorINS0_17counting_iteratorImlEEZNS1_24adjacent_difference_implIS3_Lb1ELb0EPjSB_N6thrust23THRUST_200600_302600_NS4plusIjEEEE10hipError_tPvRmT2_T3_mT4_P12ihipStream_tbEUlmE_jEESB_NS0_8identityIvEEEESG_SJ_SK_mSL_SN_bEUlT_E_NS1_11comp_targetILNS1_3genE10ELNS1_11target_archE1200ELNS1_3gpuE4ELNS1_3repE0EEENS1_30default_config_static_selectorELNS0_4arch9wavefront6targetE0EEEvT1_,@function
_ZN7rocprim17ROCPRIM_400000_NS6detail17trampoline_kernelINS0_14default_configENS1_25transform_config_selectorIjLb0EEEZNS1_14transform_implILb0ES3_S5_NS0_18transform_iteratorINS0_17counting_iteratorImlEEZNS1_24adjacent_difference_implIS3_Lb1ELb0EPjSB_N6thrust23THRUST_200600_302600_NS4plusIjEEEE10hipError_tPvRmT2_T3_mT4_P12ihipStream_tbEUlmE_jEESB_NS0_8identityIvEEEESG_SJ_SK_mSL_SN_bEUlT_E_NS1_11comp_targetILNS1_3genE10ELNS1_11target_archE1200ELNS1_3gpuE4ELNS1_3repE0EEENS1_30default_config_static_selectorELNS0_4arch9wavefront6targetE0EEEvT1_: ; @_ZN7rocprim17ROCPRIM_400000_NS6detail17trampoline_kernelINS0_14default_configENS1_25transform_config_selectorIjLb0EEEZNS1_14transform_implILb0ES3_S5_NS0_18transform_iteratorINS0_17counting_iteratorImlEEZNS1_24adjacent_difference_implIS3_Lb1ELb0EPjSB_N6thrust23THRUST_200600_302600_NS4plusIjEEEE10hipError_tPvRmT2_T3_mT4_P12ihipStream_tbEUlmE_jEESB_NS0_8identityIvEEEESG_SJ_SK_mSL_SN_bEUlT_E_NS1_11comp_targetILNS1_3genE10ELNS1_11target_archE1200ELNS1_3gpuE4ELNS1_3repE0EEENS1_30default_config_static_selectorELNS0_4arch9wavefront6targetE0EEEvT1_
; %bb.0:
	.section	.rodata,"a",@progbits
	.p2align	6, 0x0
	.amdhsa_kernel _ZN7rocprim17ROCPRIM_400000_NS6detail17trampoline_kernelINS0_14default_configENS1_25transform_config_selectorIjLb0EEEZNS1_14transform_implILb0ES3_S5_NS0_18transform_iteratorINS0_17counting_iteratorImlEEZNS1_24adjacent_difference_implIS3_Lb1ELb0EPjSB_N6thrust23THRUST_200600_302600_NS4plusIjEEEE10hipError_tPvRmT2_T3_mT4_P12ihipStream_tbEUlmE_jEESB_NS0_8identityIvEEEESG_SJ_SK_mSL_SN_bEUlT_E_NS1_11comp_targetILNS1_3genE10ELNS1_11target_archE1200ELNS1_3gpuE4ELNS1_3repE0EEENS1_30default_config_static_selectorELNS0_4arch9wavefront6targetE0EEEvT1_
		.amdhsa_group_segment_fixed_size 0
		.amdhsa_private_segment_fixed_size 0
		.amdhsa_kernarg_size 56
		.amdhsa_user_sgpr_count 15
		.amdhsa_user_sgpr_dispatch_ptr 0
		.amdhsa_user_sgpr_queue_ptr 0
		.amdhsa_user_sgpr_kernarg_segment_ptr 1
		.amdhsa_user_sgpr_dispatch_id 0
		.amdhsa_user_sgpr_private_segment_size 0
		.amdhsa_wavefront_size32 1
		.amdhsa_uses_dynamic_stack 0
		.amdhsa_enable_private_segment 0
		.amdhsa_system_sgpr_workgroup_id_x 1
		.amdhsa_system_sgpr_workgroup_id_y 0
		.amdhsa_system_sgpr_workgroup_id_z 0
		.amdhsa_system_sgpr_workgroup_info 0
		.amdhsa_system_vgpr_workitem_id 0
		.amdhsa_next_free_vgpr 1
		.amdhsa_next_free_sgpr 1
		.amdhsa_reserve_vcc 0
		.amdhsa_float_round_mode_32 0
		.amdhsa_float_round_mode_16_64 0
		.amdhsa_float_denorm_mode_32 3
		.amdhsa_float_denorm_mode_16_64 3
		.amdhsa_dx10_clamp 1
		.amdhsa_ieee_mode 1
		.amdhsa_fp16_overflow 0
		.amdhsa_workgroup_processor_mode 1
		.amdhsa_memory_ordered 1
		.amdhsa_forward_progress 0
		.amdhsa_shared_vgpr_count 0
		.amdhsa_exception_fp_ieee_invalid_op 0
		.amdhsa_exception_fp_denorm_src 0
		.amdhsa_exception_fp_ieee_div_zero 0
		.amdhsa_exception_fp_ieee_overflow 0
		.amdhsa_exception_fp_ieee_underflow 0
		.amdhsa_exception_fp_ieee_inexact 0
		.amdhsa_exception_int_div_zero 0
	.end_amdhsa_kernel
	.section	.text._ZN7rocprim17ROCPRIM_400000_NS6detail17trampoline_kernelINS0_14default_configENS1_25transform_config_selectorIjLb0EEEZNS1_14transform_implILb0ES3_S5_NS0_18transform_iteratorINS0_17counting_iteratorImlEEZNS1_24adjacent_difference_implIS3_Lb1ELb0EPjSB_N6thrust23THRUST_200600_302600_NS4plusIjEEEE10hipError_tPvRmT2_T3_mT4_P12ihipStream_tbEUlmE_jEESB_NS0_8identityIvEEEESG_SJ_SK_mSL_SN_bEUlT_E_NS1_11comp_targetILNS1_3genE10ELNS1_11target_archE1200ELNS1_3gpuE4ELNS1_3repE0EEENS1_30default_config_static_selectorELNS0_4arch9wavefront6targetE0EEEvT1_,"axG",@progbits,_ZN7rocprim17ROCPRIM_400000_NS6detail17trampoline_kernelINS0_14default_configENS1_25transform_config_selectorIjLb0EEEZNS1_14transform_implILb0ES3_S5_NS0_18transform_iteratorINS0_17counting_iteratorImlEEZNS1_24adjacent_difference_implIS3_Lb1ELb0EPjSB_N6thrust23THRUST_200600_302600_NS4plusIjEEEE10hipError_tPvRmT2_T3_mT4_P12ihipStream_tbEUlmE_jEESB_NS0_8identityIvEEEESG_SJ_SK_mSL_SN_bEUlT_E_NS1_11comp_targetILNS1_3genE10ELNS1_11target_archE1200ELNS1_3gpuE4ELNS1_3repE0EEENS1_30default_config_static_selectorELNS0_4arch9wavefront6targetE0EEEvT1_,comdat
.Lfunc_end194:
	.size	_ZN7rocprim17ROCPRIM_400000_NS6detail17trampoline_kernelINS0_14default_configENS1_25transform_config_selectorIjLb0EEEZNS1_14transform_implILb0ES3_S5_NS0_18transform_iteratorINS0_17counting_iteratorImlEEZNS1_24adjacent_difference_implIS3_Lb1ELb0EPjSB_N6thrust23THRUST_200600_302600_NS4plusIjEEEE10hipError_tPvRmT2_T3_mT4_P12ihipStream_tbEUlmE_jEESB_NS0_8identityIvEEEESG_SJ_SK_mSL_SN_bEUlT_E_NS1_11comp_targetILNS1_3genE10ELNS1_11target_archE1200ELNS1_3gpuE4ELNS1_3repE0EEENS1_30default_config_static_selectorELNS0_4arch9wavefront6targetE0EEEvT1_, .Lfunc_end194-_ZN7rocprim17ROCPRIM_400000_NS6detail17trampoline_kernelINS0_14default_configENS1_25transform_config_selectorIjLb0EEEZNS1_14transform_implILb0ES3_S5_NS0_18transform_iteratorINS0_17counting_iteratorImlEEZNS1_24adjacent_difference_implIS3_Lb1ELb0EPjSB_N6thrust23THRUST_200600_302600_NS4plusIjEEEE10hipError_tPvRmT2_T3_mT4_P12ihipStream_tbEUlmE_jEESB_NS0_8identityIvEEEESG_SJ_SK_mSL_SN_bEUlT_E_NS1_11comp_targetILNS1_3genE10ELNS1_11target_archE1200ELNS1_3gpuE4ELNS1_3repE0EEENS1_30default_config_static_selectorELNS0_4arch9wavefront6targetE0EEEvT1_
                                        ; -- End function
	.section	.AMDGPU.csdata,"",@progbits
; Kernel info:
; codeLenInByte = 0
; NumSgprs: 0
; NumVgprs: 0
; ScratchSize: 0
; MemoryBound: 0
; FloatMode: 240
; IeeeMode: 1
; LDSByteSize: 0 bytes/workgroup (compile time only)
; SGPRBlocks: 0
; VGPRBlocks: 0
; NumSGPRsForWavesPerEU: 1
; NumVGPRsForWavesPerEU: 1
; Occupancy: 16
; WaveLimiterHint : 0
; COMPUTE_PGM_RSRC2:SCRATCH_EN: 0
; COMPUTE_PGM_RSRC2:USER_SGPR: 15
; COMPUTE_PGM_RSRC2:TRAP_HANDLER: 0
; COMPUTE_PGM_RSRC2:TGID_X_EN: 1
; COMPUTE_PGM_RSRC2:TGID_Y_EN: 0
; COMPUTE_PGM_RSRC2:TGID_Z_EN: 0
; COMPUTE_PGM_RSRC2:TIDIG_COMP_CNT: 0
	.section	.text._ZN7rocprim17ROCPRIM_400000_NS6detail17trampoline_kernelINS0_14default_configENS1_25transform_config_selectorIjLb0EEEZNS1_14transform_implILb0ES3_S5_NS0_18transform_iteratorINS0_17counting_iteratorImlEEZNS1_24adjacent_difference_implIS3_Lb1ELb0EPjSB_N6thrust23THRUST_200600_302600_NS4plusIjEEEE10hipError_tPvRmT2_T3_mT4_P12ihipStream_tbEUlmE_jEESB_NS0_8identityIvEEEESG_SJ_SK_mSL_SN_bEUlT_E_NS1_11comp_targetILNS1_3genE9ELNS1_11target_archE1100ELNS1_3gpuE3ELNS1_3repE0EEENS1_30default_config_static_selectorELNS0_4arch9wavefront6targetE0EEEvT1_,"axG",@progbits,_ZN7rocprim17ROCPRIM_400000_NS6detail17trampoline_kernelINS0_14default_configENS1_25transform_config_selectorIjLb0EEEZNS1_14transform_implILb0ES3_S5_NS0_18transform_iteratorINS0_17counting_iteratorImlEEZNS1_24adjacent_difference_implIS3_Lb1ELb0EPjSB_N6thrust23THRUST_200600_302600_NS4plusIjEEEE10hipError_tPvRmT2_T3_mT4_P12ihipStream_tbEUlmE_jEESB_NS0_8identityIvEEEESG_SJ_SK_mSL_SN_bEUlT_E_NS1_11comp_targetILNS1_3genE9ELNS1_11target_archE1100ELNS1_3gpuE3ELNS1_3repE0EEENS1_30default_config_static_selectorELNS0_4arch9wavefront6targetE0EEEvT1_,comdat
	.protected	_ZN7rocprim17ROCPRIM_400000_NS6detail17trampoline_kernelINS0_14default_configENS1_25transform_config_selectorIjLb0EEEZNS1_14transform_implILb0ES3_S5_NS0_18transform_iteratorINS0_17counting_iteratorImlEEZNS1_24adjacent_difference_implIS3_Lb1ELb0EPjSB_N6thrust23THRUST_200600_302600_NS4plusIjEEEE10hipError_tPvRmT2_T3_mT4_P12ihipStream_tbEUlmE_jEESB_NS0_8identityIvEEEESG_SJ_SK_mSL_SN_bEUlT_E_NS1_11comp_targetILNS1_3genE9ELNS1_11target_archE1100ELNS1_3gpuE3ELNS1_3repE0EEENS1_30default_config_static_selectorELNS0_4arch9wavefront6targetE0EEEvT1_ ; -- Begin function _ZN7rocprim17ROCPRIM_400000_NS6detail17trampoline_kernelINS0_14default_configENS1_25transform_config_selectorIjLb0EEEZNS1_14transform_implILb0ES3_S5_NS0_18transform_iteratorINS0_17counting_iteratorImlEEZNS1_24adjacent_difference_implIS3_Lb1ELb0EPjSB_N6thrust23THRUST_200600_302600_NS4plusIjEEEE10hipError_tPvRmT2_T3_mT4_P12ihipStream_tbEUlmE_jEESB_NS0_8identityIvEEEESG_SJ_SK_mSL_SN_bEUlT_E_NS1_11comp_targetILNS1_3genE9ELNS1_11target_archE1100ELNS1_3gpuE3ELNS1_3repE0EEENS1_30default_config_static_selectorELNS0_4arch9wavefront6targetE0EEEvT1_
	.globl	_ZN7rocprim17ROCPRIM_400000_NS6detail17trampoline_kernelINS0_14default_configENS1_25transform_config_selectorIjLb0EEEZNS1_14transform_implILb0ES3_S5_NS0_18transform_iteratorINS0_17counting_iteratorImlEEZNS1_24adjacent_difference_implIS3_Lb1ELb0EPjSB_N6thrust23THRUST_200600_302600_NS4plusIjEEEE10hipError_tPvRmT2_T3_mT4_P12ihipStream_tbEUlmE_jEESB_NS0_8identityIvEEEESG_SJ_SK_mSL_SN_bEUlT_E_NS1_11comp_targetILNS1_3genE9ELNS1_11target_archE1100ELNS1_3gpuE3ELNS1_3repE0EEENS1_30default_config_static_selectorELNS0_4arch9wavefront6targetE0EEEvT1_
	.p2align	8
	.type	_ZN7rocprim17ROCPRIM_400000_NS6detail17trampoline_kernelINS0_14default_configENS1_25transform_config_selectorIjLb0EEEZNS1_14transform_implILb0ES3_S5_NS0_18transform_iteratorINS0_17counting_iteratorImlEEZNS1_24adjacent_difference_implIS3_Lb1ELb0EPjSB_N6thrust23THRUST_200600_302600_NS4plusIjEEEE10hipError_tPvRmT2_T3_mT4_P12ihipStream_tbEUlmE_jEESB_NS0_8identityIvEEEESG_SJ_SK_mSL_SN_bEUlT_E_NS1_11comp_targetILNS1_3genE9ELNS1_11target_archE1100ELNS1_3gpuE3ELNS1_3repE0EEENS1_30default_config_static_selectorELNS0_4arch9wavefront6targetE0EEEvT1_,@function
_ZN7rocprim17ROCPRIM_400000_NS6detail17trampoline_kernelINS0_14default_configENS1_25transform_config_selectorIjLb0EEEZNS1_14transform_implILb0ES3_S5_NS0_18transform_iteratorINS0_17counting_iteratorImlEEZNS1_24adjacent_difference_implIS3_Lb1ELb0EPjSB_N6thrust23THRUST_200600_302600_NS4plusIjEEEE10hipError_tPvRmT2_T3_mT4_P12ihipStream_tbEUlmE_jEESB_NS0_8identityIvEEEESG_SJ_SK_mSL_SN_bEUlT_E_NS1_11comp_targetILNS1_3genE9ELNS1_11target_archE1100ELNS1_3gpuE3ELNS1_3repE0EEENS1_30default_config_static_selectorELNS0_4arch9wavefront6targetE0EEEvT1_: ; @_ZN7rocprim17ROCPRIM_400000_NS6detail17trampoline_kernelINS0_14default_configENS1_25transform_config_selectorIjLb0EEEZNS1_14transform_implILb0ES3_S5_NS0_18transform_iteratorINS0_17counting_iteratorImlEEZNS1_24adjacent_difference_implIS3_Lb1ELb0EPjSB_N6thrust23THRUST_200600_302600_NS4plusIjEEEE10hipError_tPvRmT2_T3_mT4_P12ihipStream_tbEUlmE_jEESB_NS0_8identityIvEEEESG_SJ_SK_mSL_SN_bEUlT_E_NS1_11comp_targetILNS1_3genE9ELNS1_11target_archE1100ELNS1_3gpuE3ELNS1_3repE0EEENS1_30default_config_static_selectorELNS0_4arch9wavefront6targetE0EEEvT1_
; %bb.0:
	s_clause 0x4
	s_load_b128 s[4:7], s[0:1], 0x0
	s_load_b64 s[2:3], s[0:1], 0x18
	s_load_b64 s[12:13], s[0:1], 0x28
	s_load_b32 s11, s[0:1], 0x38
	s_load_b32 s8, s[0:1], 0x10
	s_waitcnt lgkmcnt(0)
	s_add_u32 s9, s2, s4
	s_addc_u32 s10, s3, s5
	s_lshl_b64 s[2:3], s[2:3], 2
	s_delay_alu instid0(SALU_CYCLE_1)
	s_add_u32 s4, s12, s2
	s_addc_u32 s5, s13, s3
	s_add_i32 s11, s11, -1
	s_lshl_b32 s2, s15, 6
	s_mov_b32 s3, 0
	s_cmp_lg_u32 s15, s11
	s_mov_b32 s11, -1
	s_cbranch_scc0 .LBB195_2
; %bb.1:
	s_add_u32 s11, s9, s2
	s_addc_u32 s12, s10, 0
	v_add_co_u32 v3, s11, s11, v0
	s_delay_alu instid0(VALU_DEP_1) | instskip(SKIP_1) | instid1(VALU_DEP_2)
	v_add_co_ci_u32_e64 v5, null, s12, 0, s11
	s_lshl_b64 s[12:13], s[2:3], 2
	v_mad_u64_u32 v[1:2], null, v3, s8, 0
	s_add_u32 s12, s4, s12
	s_addc_u32 s13, s5, s13
	s_mov_b32 s11, s3
	s_delay_alu instid0(VALU_DEP_1) | instskip(NEXT) | instid1(VALU_DEP_1)
	v_mad_u64_u32 v[3:4], null, v5, s8, v[2:3]
	v_mov_b32_e32 v2, v3
	s_delay_alu instid0(VALU_DEP_1) | instskip(NEXT) | instid1(VALU_DEP_1)
	v_lshlrev_b64 v[1:2], 2, v[1:2]
	v_add_co_u32 v1, vcc_lo, s6, v1
	s_delay_alu instid0(VALU_DEP_2)
	v_add_co_ci_u32_e32 v2, vcc_lo, s7, v2, vcc_lo
	global_load_b32 v1, v[1:2], off
	v_lshlrev_b32_e32 v2, 2, v0
	s_waitcnt vmcnt(0)
	global_store_b32 v2, v1, s[12:13]
.LBB195_2:
	s_and_not1_b32 vcc_lo, exec_lo, s11
	s_cbranch_vccnz .LBB195_7
; %bb.3:
	s_load_b32 s0, s[0:1], 0x20
                                        ; implicit-def: $vgpr1
	s_waitcnt lgkmcnt(0)
	s_sub_i32 s0, s0, s2
	s_delay_alu instid0(SALU_CYCLE_1)
	v_cmp_gt_u32_e32 vcc_lo, s0, v0
	s_and_saveexec_b32 s1, vcc_lo
	s_cbranch_execz .LBB195_5
; %bb.4:
	s_add_u32 s0, s9, s2
	s_addc_u32 s9, s10, 0
	v_add_co_u32 v3, s0, s0, v0
	s_delay_alu instid0(VALU_DEP_1) | instskip(NEXT) | instid1(VALU_DEP_2)
	v_add_co_ci_u32_e64 v5, null, s9, 0, s0
	v_mad_u64_u32 v[1:2], null, v3, s8, 0
	s_delay_alu instid0(VALU_DEP_1) | instskip(NEXT) | instid1(VALU_DEP_1)
	v_mad_u64_u32 v[3:4], null, v5, s8, v[2:3]
	v_mov_b32_e32 v2, v3
	s_delay_alu instid0(VALU_DEP_1) | instskip(NEXT) | instid1(VALU_DEP_1)
	v_lshlrev_b64 v[1:2], 2, v[1:2]
	v_add_co_u32 v1, s0, s6, v1
	s_delay_alu instid0(VALU_DEP_1)
	v_add_co_ci_u32_e64 v2, s0, s7, v2, s0
	global_load_b32 v1, v[1:2], off
.LBB195_5:
	s_or_b32 exec_lo, exec_lo, s1
	s_and_saveexec_b32 s0, vcc_lo
	s_cbranch_execz .LBB195_7
; %bb.6:
	s_lshl_b64 s[0:1], s[2:3], 2
	v_lshlrev_b32_e32 v0, 2, v0
	s_add_u32 s0, s4, s0
	s_addc_u32 s1, s5, s1
	s_waitcnt vmcnt(0)
	global_store_b32 v0, v1, s[0:1]
.LBB195_7:
	s_nop 0
	s_sendmsg sendmsg(MSG_DEALLOC_VGPRS)
	s_endpgm
	.section	.rodata,"a",@progbits
	.p2align	6, 0x0
	.amdhsa_kernel _ZN7rocprim17ROCPRIM_400000_NS6detail17trampoline_kernelINS0_14default_configENS1_25transform_config_selectorIjLb0EEEZNS1_14transform_implILb0ES3_S5_NS0_18transform_iteratorINS0_17counting_iteratorImlEEZNS1_24adjacent_difference_implIS3_Lb1ELb0EPjSB_N6thrust23THRUST_200600_302600_NS4plusIjEEEE10hipError_tPvRmT2_T3_mT4_P12ihipStream_tbEUlmE_jEESB_NS0_8identityIvEEEESG_SJ_SK_mSL_SN_bEUlT_E_NS1_11comp_targetILNS1_3genE9ELNS1_11target_archE1100ELNS1_3gpuE3ELNS1_3repE0EEENS1_30default_config_static_selectorELNS0_4arch9wavefront6targetE0EEEvT1_
		.amdhsa_group_segment_fixed_size 0
		.amdhsa_private_segment_fixed_size 0
		.amdhsa_kernarg_size 312
		.amdhsa_user_sgpr_count 15
		.amdhsa_user_sgpr_dispatch_ptr 0
		.amdhsa_user_sgpr_queue_ptr 0
		.amdhsa_user_sgpr_kernarg_segment_ptr 1
		.amdhsa_user_sgpr_dispatch_id 0
		.amdhsa_user_sgpr_private_segment_size 0
		.amdhsa_wavefront_size32 1
		.amdhsa_uses_dynamic_stack 0
		.amdhsa_enable_private_segment 0
		.amdhsa_system_sgpr_workgroup_id_x 1
		.amdhsa_system_sgpr_workgroup_id_y 0
		.amdhsa_system_sgpr_workgroup_id_z 0
		.amdhsa_system_sgpr_workgroup_info 0
		.amdhsa_system_vgpr_workitem_id 0
		.amdhsa_next_free_vgpr 6
		.amdhsa_next_free_sgpr 16
		.amdhsa_reserve_vcc 1
		.amdhsa_float_round_mode_32 0
		.amdhsa_float_round_mode_16_64 0
		.amdhsa_float_denorm_mode_32 3
		.amdhsa_float_denorm_mode_16_64 3
		.amdhsa_dx10_clamp 1
		.amdhsa_ieee_mode 1
		.amdhsa_fp16_overflow 0
		.amdhsa_workgroup_processor_mode 1
		.amdhsa_memory_ordered 1
		.amdhsa_forward_progress 0
		.amdhsa_shared_vgpr_count 0
		.amdhsa_exception_fp_ieee_invalid_op 0
		.amdhsa_exception_fp_denorm_src 0
		.amdhsa_exception_fp_ieee_div_zero 0
		.amdhsa_exception_fp_ieee_overflow 0
		.amdhsa_exception_fp_ieee_underflow 0
		.amdhsa_exception_fp_ieee_inexact 0
		.amdhsa_exception_int_div_zero 0
	.end_amdhsa_kernel
	.section	.text._ZN7rocprim17ROCPRIM_400000_NS6detail17trampoline_kernelINS0_14default_configENS1_25transform_config_selectorIjLb0EEEZNS1_14transform_implILb0ES3_S5_NS0_18transform_iteratorINS0_17counting_iteratorImlEEZNS1_24adjacent_difference_implIS3_Lb1ELb0EPjSB_N6thrust23THRUST_200600_302600_NS4plusIjEEEE10hipError_tPvRmT2_T3_mT4_P12ihipStream_tbEUlmE_jEESB_NS0_8identityIvEEEESG_SJ_SK_mSL_SN_bEUlT_E_NS1_11comp_targetILNS1_3genE9ELNS1_11target_archE1100ELNS1_3gpuE3ELNS1_3repE0EEENS1_30default_config_static_selectorELNS0_4arch9wavefront6targetE0EEEvT1_,"axG",@progbits,_ZN7rocprim17ROCPRIM_400000_NS6detail17trampoline_kernelINS0_14default_configENS1_25transform_config_selectorIjLb0EEEZNS1_14transform_implILb0ES3_S5_NS0_18transform_iteratorINS0_17counting_iteratorImlEEZNS1_24adjacent_difference_implIS3_Lb1ELb0EPjSB_N6thrust23THRUST_200600_302600_NS4plusIjEEEE10hipError_tPvRmT2_T3_mT4_P12ihipStream_tbEUlmE_jEESB_NS0_8identityIvEEEESG_SJ_SK_mSL_SN_bEUlT_E_NS1_11comp_targetILNS1_3genE9ELNS1_11target_archE1100ELNS1_3gpuE3ELNS1_3repE0EEENS1_30default_config_static_selectorELNS0_4arch9wavefront6targetE0EEEvT1_,comdat
.Lfunc_end195:
	.size	_ZN7rocprim17ROCPRIM_400000_NS6detail17trampoline_kernelINS0_14default_configENS1_25transform_config_selectorIjLb0EEEZNS1_14transform_implILb0ES3_S5_NS0_18transform_iteratorINS0_17counting_iteratorImlEEZNS1_24adjacent_difference_implIS3_Lb1ELb0EPjSB_N6thrust23THRUST_200600_302600_NS4plusIjEEEE10hipError_tPvRmT2_T3_mT4_P12ihipStream_tbEUlmE_jEESB_NS0_8identityIvEEEESG_SJ_SK_mSL_SN_bEUlT_E_NS1_11comp_targetILNS1_3genE9ELNS1_11target_archE1100ELNS1_3gpuE3ELNS1_3repE0EEENS1_30default_config_static_selectorELNS0_4arch9wavefront6targetE0EEEvT1_, .Lfunc_end195-_ZN7rocprim17ROCPRIM_400000_NS6detail17trampoline_kernelINS0_14default_configENS1_25transform_config_selectorIjLb0EEEZNS1_14transform_implILb0ES3_S5_NS0_18transform_iteratorINS0_17counting_iteratorImlEEZNS1_24adjacent_difference_implIS3_Lb1ELb0EPjSB_N6thrust23THRUST_200600_302600_NS4plusIjEEEE10hipError_tPvRmT2_T3_mT4_P12ihipStream_tbEUlmE_jEESB_NS0_8identityIvEEEESG_SJ_SK_mSL_SN_bEUlT_E_NS1_11comp_targetILNS1_3genE9ELNS1_11target_archE1100ELNS1_3gpuE3ELNS1_3repE0EEENS1_30default_config_static_selectorELNS0_4arch9wavefront6targetE0EEEvT1_
                                        ; -- End function
	.section	.AMDGPU.csdata,"",@progbits
; Kernel info:
; codeLenInByte = 400
; NumSgprs: 18
; NumVgprs: 6
; ScratchSize: 0
; MemoryBound: 0
; FloatMode: 240
; IeeeMode: 1
; LDSByteSize: 0 bytes/workgroup (compile time only)
; SGPRBlocks: 2
; VGPRBlocks: 0
; NumSGPRsForWavesPerEU: 18
; NumVGPRsForWavesPerEU: 6
; Occupancy: 16
; WaveLimiterHint : 0
; COMPUTE_PGM_RSRC2:SCRATCH_EN: 0
; COMPUTE_PGM_RSRC2:USER_SGPR: 15
; COMPUTE_PGM_RSRC2:TRAP_HANDLER: 0
; COMPUTE_PGM_RSRC2:TGID_X_EN: 1
; COMPUTE_PGM_RSRC2:TGID_Y_EN: 0
; COMPUTE_PGM_RSRC2:TGID_Z_EN: 0
; COMPUTE_PGM_RSRC2:TIDIG_COMP_CNT: 0
	.section	.text._ZN7rocprim17ROCPRIM_400000_NS6detail17trampoline_kernelINS0_14default_configENS1_25transform_config_selectorIjLb0EEEZNS1_14transform_implILb0ES3_S5_NS0_18transform_iteratorINS0_17counting_iteratorImlEEZNS1_24adjacent_difference_implIS3_Lb1ELb0EPjSB_N6thrust23THRUST_200600_302600_NS4plusIjEEEE10hipError_tPvRmT2_T3_mT4_P12ihipStream_tbEUlmE_jEESB_NS0_8identityIvEEEESG_SJ_SK_mSL_SN_bEUlT_E_NS1_11comp_targetILNS1_3genE8ELNS1_11target_archE1030ELNS1_3gpuE2ELNS1_3repE0EEENS1_30default_config_static_selectorELNS0_4arch9wavefront6targetE0EEEvT1_,"axG",@progbits,_ZN7rocprim17ROCPRIM_400000_NS6detail17trampoline_kernelINS0_14default_configENS1_25transform_config_selectorIjLb0EEEZNS1_14transform_implILb0ES3_S5_NS0_18transform_iteratorINS0_17counting_iteratorImlEEZNS1_24adjacent_difference_implIS3_Lb1ELb0EPjSB_N6thrust23THRUST_200600_302600_NS4plusIjEEEE10hipError_tPvRmT2_T3_mT4_P12ihipStream_tbEUlmE_jEESB_NS0_8identityIvEEEESG_SJ_SK_mSL_SN_bEUlT_E_NS1_11comp_targetILNS1_3genE8ELNS1_11target_archE1030ELNS1_3gpuE2ELNS1_3repE0EEENS1_30default_config_static_selectorELNS0_4arch9wavefront6targetE0EEEvT1_,comdat
	.protected	_ZN7rocprim17ROCPRIM_400000_NS6detail17trampoline_kernelINS0_14default_configENS1_25transform_config_selectorIjLb0EEEZNS1_14transform_implILb0ES3_S5_NS0_18transform_iteratorINS0_17counting_iteratorImlEEZNS1_24adjacent_difference_implIS3_Lb1ELb0EPjSB_N6thrust23THRUST_200600_302600_NS4plusIjEEEE10hipError_tPvRmT2_T3_mT4_P12ihipStream_tbEUlmE_jEESB_NS0_8identityIvEEEESG_SJ_SK_mSL_SN_bEUlT_E_NS1_11comp_targetILNS1_3genE8ELNS1_11target_archE1030ELNS1_3gpuE2ELNS1_3repE0EEENS1_30default_config_static_selectorELNS0_4arch9wavefront6targetE0EEEvT1_ ; -- Begin function _ZN7rocprim17ROCPRIM_400000_NS6detail17trampoline_kernelINS0_14default_configENS1_25transform_config_selectorIjLb0EEEZNS1_14transform_implILb0ES3_S5_NS0_18transform_iteratorINS0_17counting_iteratorImlEEZNS1_24adjacent_difference_implIS3_Lb1ELb0EPjSB_N6thrust23THRUST_200600_302600_NS4plusIjEEEE10hipError_tPvRmT2_T3_mT4_P12ihipStream_tbEUlmE_jEESB_NS0_8identityIvEEEESG_SJ_SK_mSL_SN_bEUlT_E_NS1_11comp_targetILNS1_3genE8ELNS1_11target_archE1030ELNS1_3gpuE2ELNS1_3repE0EEENS1_30default_config_static_selectorELNS0_4arch9wavefront6targetE0EEEvT1_
	.globl	_ZN7rocprim17ROCPRIM_400000_NS6detail17trampoline_kernelINS0_14default_configENS1_25transform_config_selectorIjLb0EEEZNS1_14transform_implILb0ES3_S5_NS0_18transform_iteratorINS0_17counting_iteratorImlEEZNS1_24adjacent_difference_implIS3_Lb1ELb0EPjSB_N6thrust23THRUST_200600_302600_NS4plusIjEEEE10hipError_tPvRmT2_T3_mT4_P12ihipStream_tbEUlmE_jEESB_NS0_8identityIvEEEESG_SJ_SK_mSL_SN_bEUlT_E_NS1_11comp_targetILNS1_3genE8ELNS1_11target_archE1030ELNS1_3gpuE2ELNS1_3repE0EEENS1_30default_config_static_selectorELNS0_4arch9wavefront6targetE0EEEvT1_
	.p2align	8
	.type	_ZN7rocprim17ROCPRIM_400000_NS6detail17trampoline_kernelINS0_14default_configENS1_25transform_config_selectorIjLb0EEEZNS1_14transform_implILb0ES3_S5_NS0_18transform_iteratorINS0_17counting_iteratorImlEEZNS1_24adjacent_difference_implIS3_Lb1ELb0EPjSB_N6thrust23THRUST_200600_302600_NS4plusIjEEEE10hipError_tPvRmT2_T3_mT4_P12ihipStream_tbEUlmE_jEESB_NS0_8identityIvEEEESG_SJ_SK_mSL_SN_bEUlT_E_NS1_11comp_targetILNS1_3genE8ELNS1_11target_archE1030ELNS1_3gpuE2ELNS1_3repE0EEENS1_30default_config_static_selectorELNS0_4arch9wavefront6targetE0EEEvT1_,@function
_ZN7rocprim17ROCPRIM_400000_NS6detail17trampoline_kernelINS0_14default_configENS1_25transform_config_selectorIjLb0EEEZNS1_14transform_implILb0ES3_S5_NS0_18transform_iteratorINS0_17counting_iteratorImlEEZNS1_24adjacent_difference_implIS3_Lb1ELb0EPjSB_N6thrust23THRUST_200600_302600_NS4plusIjEEEE10hipError_tPvRmT2_T3_mT4_P12ihipStream_tbEUlmE_jEESB_NS0_8identityIvEEEESG_SJ_SK_mSL_SN_bEUlT_E_NS1_11comp_targetILNS1_3genE8ELNS1_11target_archE1030ELNS1_3gpuE2ELNS1_3repE0EEENS1_30default_config_static_selectorELNS0_4arch9wavefront6targetE0EEEvT1_: ; @_ZN7rocprim17ROCPRIM_400000_NS6detail17trampoline_kernelINS0_14default_configENS1_25transform_config_selectorIjLb0EEEZNS1_14transform_implILb0ES3_S5_NS0_18transform_iteratorINS0_17counting_iteratorImlEEZNS1_24adjacent_difference_implIS3_Lb1ELb0EPjSB_N6thrust23THRUST_200600_302600_NS4plusIjEEEE10hipError_tPvRmT2_T3_mT4_P12ihipStream_tbEUlmE_jEESB_NS0_8identityIvEEEESG_SJ_SK_mSL_SN_bEUlT_E_NS1_11comp_targetILNS1_3genE8ELNS1_11target_archE1030ELNS1_3gpuE2ELNS1_3repE0EEENS1_30default_config_static_selectorELNS0_4arch9wavefront6targetE0EEEvT1_
; %bb.0:
	.section	.rodata,"a",@progbits
	.p2align	6, 0x0
	.amdhsa_kernel _ZN7rocprim17ROCPRIM_400000_NS6detail17trampoline_kernelINS0_14default_configENS1_25transform_config_selectorIjLb0EEEZNS1_14transform_implILb0ES3_S5_NS0_18transform_iteratorINS0_17counting_iteratorImlEEZNS1_24adjacent_difference_implIS3_Lb1ELb0EPjSB_N6thrust23THRUST_200600_302600_NS4plusIjEEEE10hipError_tPvRmT2_T3_mT4_P12ihipStream_tbEUlmE_jEESB_NS0_8identityIvEEEESG_SJ_SK_mSL_SN_bEUlT_E_NS1_11comp_targetILNS1_3genE8ELNS1_11target_archE1030ELNS1_3gpuE2ELNS1_3repE0EEENS1_30default_config_static_selectorELNS0_4arch9wavefront6targetE0EEEvT1_
		.amdhsa_group_segment_fixed_size 0
		.amdhsa_private_segment_fixed_size 0
		.amdhsa_kernarg_size 56
		.amdhsa_user_sgpr_count 15
		.amdhsa_user_sgpr_dispatch_ptr 0
		.amdhsa_user_sgpr_queue_ptr 0
		.amdhsa_user_sgpr_kernarg_segment_ptr 1
		.amdhsa_user_sgpr_dispatch_id 0
		.amdhsa_user_sgpr_private_segment_size 0
		.amdhsa_wavefront_size32 1
		.amdhsa_uses_dynamic_stack 0
		.amdhsa_enable_private_segment 0
		.amdhsa_system_sgpr_workgroup_id_x 1
		.amdhsa_system_sgpr_workgroup_id_y 0
		.amdhsa_system_sgpr_workgroup_id_z 0
		.amdhsa_system_sgpr_workgroup_info 0
		.amdhsa_system_vgpr_workitem_id 0
		.amdhsa_next_free_vgpr 1
		.amdhsa_next_free_sgpr 1
		.amdhsa_reserve_vcc 0
		.amdhsa_float_round_mode_32 0
		.amdhsa_float_round_mode_16_64 0
		.amdhsa_float_denorm_mode_32 3
		.amdhsa_float_denorm_mode_16_64 3
		.amdhsa_dx10_clamp 1
		.amdhsa_ieee_mode 1
		.amdhsa_fp16_overflow 0
		.amdhsa_workgroup_processor_mode 1
		.amdhsa_memory_ordered 1
		.amdhsa_forward_progress 0
		.amdhsa_shared_vgpr_count 0
		.amdhsa_exception_fp_ieee_invalid_op 0
		.amdhsa_exception_fp_denorm_src 0
		.amdhsa_exception_fp_ieee_div_zero 0
		.amdhsa_exception_fp_ieee_overflow 0
		.amdhsa_exception_fp_ieee_underflow 0
		.amdhsa_exception_fp_ieee_inexact 0
		.amdhsa_exception_int_div_zero 0
	.end_amdhsa_kernel
	.section	.text._ZN7rocprim17ROCPRIM_400000_NS6detail17trampoline_kernelINS0_14default_configENS1_25transform_config_selectorIjLb0EEEZNS1_14transform_implILb0ES3_S5_NS0_18transform_iteratorINS0_17counting_iteratorImlEEZNS1_24adjacent_difference_implIS3_Lb1ELb0EPjSB_N6thrust23THRUST_200600_302600_NS4plusIjEEEE10hipError_tPvRmT2_T3_mT4_P12ihipStream_tbEUlmE_jEESB_NS0_8identityIvEEEESG_SJ_SK_mSL_SN_bEUlT_E_NS1_11comp_targetILNS1_3genE8ELNS1_11target_archE1030ELNS1_3gpuE2ELNS1_3repE0EEENS1_30default_config_static_selectorELNS0_4arch9wavefront6targetE0EEEvT1_,"axG",@progbits,_ZN7rocprim17ROCPRIM_400000_NS6detail17trampoline_kernelINS0_14default_configENS1_25transform_config_selectorIjLb0EEEZNS1_14transform_implILb0ES3_S5_NS0_18transform_iteratorINS0_17counting_iteratorImlEEZNS1_24adjacent_difference_implIS3_Lb1ELb0EPjSB_N6thrust23THRUST_200600_302600_NS4plusIjEEEE10hipError_tPvRmT2_T3_mT4_P12ihipStream_tbEUlmE_jEESB_NS0_8identityIvEEEESG_SJ_SK_mSL_SN_bEUlT_E_NS1_11comp_targetILNS1_3genE8ELNS1_11target_archE1030ELNS1_3gpuE2ELNS1_3repE0EEENS1_30default_config_static_selectorELNS0_4arch9wavefront6targetE0EEEvT1_,comdat
.Lfunc_end196:
	.size	_ZN7rocprim17ROCPRIM_400000_NS6detail17trampoline_kernelINS0_14default_configENS1_25transform_config_selectorIjLb0EEEZNS1_14transform_implILb0ES3_S5_NS0_18transform_iteratorINS0_17counting_iteratorImlEEZNS1_24adjacent_difference_implIS3_Lb1ELb0EPjSB_N6thrust23THRUST_200600_302600_NS4plusIjEEEE10hipError_tPvRmT2_T3_mT4_P12ihipStream_tbEUlmE_jEESB_NS0_8identityIvEEEESG_SJ_SK_mSL_SN_bEUlT_E_NS1_11comp_targetILNS1_3genE8ELNS1_11target_archE1030ELNS1_3gpuE2ELNS1_3repE0EEENS1_30default_config_static_selectorELNS0_4arch9wavefront6targetE0EEEvT1_, .Lfunc_end196-_ZN7rocprim17ROCPRIM_400000_NS6detail17trampoline_kernelINS0_14default_configENS1_25transform_config_selectorIjLb0EEEZNS1_14transform_implILb0ES3_S5_NS0_18transform_iteratorINS0_17counting_iteratorImlEEZNS1_24adjacent_difference_implIS3_Lb1ELb0EPjSB_N6thrust23THRUST_200600_302600_NS4plusIjEEEE10hipError_tPvRmT2_T3_mT4_P12ihipStream_tbEUlmE_jEESB_NS0_8identityIvEEEESG_SJ_SK_mSL_SN_bEUlT_E_NS1_11comp_targetILNS1_3genE8ELNS1_11target_archE1030ELNS1_3gpuE2ELNS1_3repE0EEENS1_30default_config_static_selectorELNS0_4arch9wavefront6targetE0EEEvT1_
                                        ; -- End function
	.section	.AMDGPU.csdata,"",@progbits
; Kernel info:
; codeLenInByte = 0
; NumSgprs: 0
; NumVgprs: 0
; ScratchSize: 0
; MemoryBound: 0
; FloatMode: 240
; IeeeMode: 1
; LDSByteSize: 0 bytes/workgroup (compile time only)
; SGPRBlocks: 0
; VGPRBlocks: 0
; NumSGPRsForWavesPerEU: 1
; NumVGPRsForWavesPerEU: 1
; Occupancy: 16
; WaveLimiterHint : 0
; COMPUTE_PGM_RSRC2:SCRATCH_EN: 0
; COMPUTE_PGM_RSRC2:USER_SGPR: 15
; COMPUTE_PGM_RSRC2:TRAP_HANDLER: 0
; COMPUTE_PGM_RSRC2:TGID_X_EN: 1
; COMPUTE_PGM_RSRC2:TGID_Y_EN: 0
; COMPUTE_PGM_RSRC2:TGID_Z_EN: 0
; COMPUTE_PGM_RSRC2:TIDIG_COMP_CNT: 0
	.section	.text._ZN7rocprim17ROCPRIM_400000_NS6detail17trampoline_kernelINS0_14default_configENS1_35adjacent_difference_config_selectorILb1EjEEZNS1_24adjacent_difference_implIS3_Lb1ELb0EPjS7_N6thrust23THRUST_200600_302600_NS4plusIjEEEE10hipError_tPvRmT2_T3_mT4_P12ihipStream_tbEUlT_E_NS1_11comp_targetILNS1_3genE0ELNS1_11target_archE4294967295ELNS1_3gpuE0ELNS1_3repE0EEENS1_30default_config_static_selectorELNS0_4arch9wavefront6targetE0EEEvT1_,"axG",@progbits,_ZN7rocprim17ROCPRIM_400000_NS6detail17trampoline_kernelINS0_14default_configENS1_35adjacent_difference_config_selectorILb1EjEEZNS1_24adjacent_difference_implIS3_Lb1ELb0EPjS7_N6thrust23THRUST_200600_302600_NS4plusIjEEEE10hipError_tPvRmT2_T3_mT4_P12ihipStream_tbEUlT_E_NS1_11comp_targetILNS1_3genE0ELNS1_11target_archE4294967295ELNS1_3gpuE0ELNS1_3repE0EEENS1_30default_config_static_selectorELNS0_4arch9wavefront6targetE0EEEvT1_,comdat
	.protected	_ZN7rocprim17ROCPRIM_400000_NS6detail17trampoline_kernelINS0_14default_configENS1_35adjacent_difference_config_selectorILb1EjEEZNS1_24adjacent_difference_implIS3_Lb1ELb0EPjS7_N6thrust23THRUST_200600_302600_NS4plusIjEEEE10hipError_tPvRmT2_T3_mT4_P12ihipStream_tbEUlT_E_NS1_11comp_targetILNS1_3genE0ELNS1_11target_archE4294967295ELNS1_3gpuE0ELNS1_3repE0EEENS1_30default_config_static_selectorELNS0_4arch9wavefront6targetE0EEEvT1_ ; -- Begin function _ZN7rocprim17ROCPRIM_400000_NS6detail17trampoline_kernelINS0_14default_configENS1_35adjacent_difference_config_selectorILb1EjEEZNS1_24adjacent_difference_implIS3_Lb1ELb0EPjS7_N6thrust23THRUST_200600_302600_NS4plusIjEEEE10hipError_tPvRmT2_T3_mT4_P12ihipStream_tbEUlT_E_NS1_11comp_targetILNS1_3genE0ELNS1_11target_archE4294967295ELNS1_3gpuE0ELNS1_3repE0EEENS1_30default_config_static_selectorELNS0_4arch9wavefront6targetE0EEEvT1_
	.globl	_ZN7rocprim17ROCPRIM_400000_NS6detail17trampoline_kernelINS0_14default_configENS1_35adjacent_difference_config_selectorILb1EjEEZNS1_24adjacent_difference_implIS3_Lb1ELb0EPjS7_N6thrust23THRUST_200600_302600_NS4plusIjEEEE10hipError_tPvRmT2_T3_mT4_P12ihipStream_tbEUlT_E_NS1_11comp_targetILNS1_3genE0ELNS1_11target_archE4294967295ELNS1_3gpuE0ELNS1_3repE0EEENS1_30default_config_static_selectorELNS0_4arch9wavefront6targetE0EEEvT1_
	.p2align	8
	.type	_ZN7rocprim17ROCPRIM_400000_NS6detail17trampoline_kernelINS0_14default_configENS1_35adjacent_difference_config_selectorILb1EjEEZNS1_24adjacent_difference_implIS3_Lb1ELb0EPjS7_N6thrust23THRUST_200600_302600_NS4plusIjEEEE10hipError_tPvRmT2_T3_mT4_P12ihipStream_tbEUlT_E_NS1_11comp_targetILNS1_3genE0ELNS1_11target_archE4294967295ELNS1_3gpuE0ELNS1_3repE0EEENS1_30default_config_static_selectorELNS0_4arch9wavefront6targetE0EEEvT1_,@function
_ZN7rocprim17ROCPRIM_400000_NS6detail17trampoline_kernelINS0_14default_configENS1_35adjacent_difference_config_selectorILb1EjEEZNS1_24adjacent_difference_implIS3_Lb1ELb0EPjS7_N6thrust23THRUST_200600_302600_NS4plusIjEEEE10hipError_tPvRmT2_T3_mT4_P12ihipStream_tbEUlT_E_NS1_11comp_targetILNS1_3genE0ELNS1_11target_archE4294967295ELNS1_3gpuE0ELNS1_3repE0EEENS1_30default_config_static_selectorELNS0_4arch9wavefront6targetE0EEEvT1_: ; @_ZN7rocprim17ROCPRIM_400000_NS6detail17trampoline_kernelINS0_14default_configENS1_35adjacent_difference_config_selectorILb1EjEEZNS1_24adjacent_difference_implIS3_Lb1ELb0EPjS7_N6thrust23THRUST_200600_302600_NS4plusIjEEEE10hipError_tPvRmT2_T3_mT4_P12ihipStream_tbEUlT_E_NS1_11comp_targetILNS1_3genE0ELNS1_11target_archE4294967295ELNS1_3gpuE0ELNS1_3repE0EEENS1_30default_config_static_selectorELNS0_4arch9wavefront6targetE0EEEvT1_
; %bb.0:
	.section	.rodata,"a",@progbits
	.p2align	6, 0x0
	.amdhsa_kernel _ZN7rocprim17ROCPRIM_400000_NS6detail17trampoline_kernelINS0_14default_configENS1_35adjacent_difference_config_selectorILb1EjEEZNS1_24adjacent_difference_implIS3_Lb1ELb0EPjS7_N6thrust23THRUST_200600_302600_NS4plusIjEEEE10hipError_tPvRmT2_T3_mT4_P12ihipStream_tbEUlT_E_NS1_11comp_targetILNS1_3genE0ELNS1_11target_archE4294967295ELNS1_3gpuE0ELNS1_3repE0EEENS1_30default_config_static_selectorELNS0_4arch9wavefront6targetE0EEEvT1_
		.amdhsa_group_segment_fixed_size 0
		.amdhsa_private_segment_fixed_size 0
		.amdhsa_kernarg_size 56
		.amdhsa_user_sgpr_count 15
		.amdhsa_user_sgpr_dispatch_ptr 0
		.amdhsa_user_sgpr_queue_ptr 0
		.amdhsa_user_sgpr_kernarg_segment_ptr 1
		.amdhsa_user_sgpr_dispatch_id 0
		.amdhsa_user_sgpr_private_segment_size 0
		.amdhsa_wavefront_size32 1
		.amdhsa_uses_dynamic_stack 0
		.amdhsa_enable_private_segment 0
		.amdhsa_system_sgpr_workgroup_id_x 1
		.amdhsa_system_sgpr_workgroup_id_y 0
		.amdhsa_system_sgpr_workgroup_id_z 0
		.amdhsa_system_sgpr_workgroup_info 0
		.amdhsa_system_vgpr_workitem_id 0
		.amdhsa_next_free_vgpr 1
		.amdhsa_next_free_sgpr 1
		.amdhsa_reserve_vcc 0
		.amdhsa_float_round_mode_32 0
		.amdhsa_float_round_mode_16_64 0
		.amdhsa_float_denorm_mode_32 3
		.amdhsa_float_denorm_mode_16_64 3
		.amdhsa_dx10_clamp 1
		.amdhsa_ieee_mode 1
		.amdhsa_fp16_overflow 0
		.amdhsa_workgroup_processor_mode 1
		.amdhsa_memory_ordered 1
		.amdhsa_forward_progress 0
		.amdhsa_shared_vgpr_count 0
		.amdhsa_exception_fp_ieee_invalid_op 0
		.amdhsa_exception_fp_denorm_src 0
		.amdhsa_exception_fp_ieee_div_zero 0
		.amdhsa_exception_fp_ieee_overflow 0
		.amdhsa_exception_fp_ieee_underflow 0
		.amdhsa_exception_fp_ieee_inexact 0
		.amdhsa_exception_int_div_zero 0
	.end_amdhsa_kernel
	.section	.text._ZN7rocprim17ROCPRIM_400000_NS6detail17trampoline_kernelINS0_14default_configENS1_35adjacent_difference_config_selectorILb1EjEEZNS1_24adjacent_difference_implIS3_Lb1ELb0EPjS7_N6thrust23THRUST_200600_302600_NS4plusIjEEEE10hipError_tPvRmT2_T3_mT4_P12ihipStream_tbEUlT_E_NS1_11comp_targetILNS1_3genE0ELNS1_11target_archE4294967295ELNS1_3gpuE0ELNS1_3repE0EEENS1_30default_config_static_selectorELNS0_4arch9wavefront6targetE0EEEvT1_,"axG",@progbits,_ZN7rocprim17ROCPRIM_400000_NS6detail17trampoline_kernelINS0_14default_configENS1_35adjacent_difference_config_selectorILb1EjEEZNS1_24adjacent_difference_implIS3_Lb1ELb0EPjS7_N6thrust23THRUST_200600_302600_NS4plusIjEEEE10hipError_tPvRmT2_T3_mT4_P12ihipStream_tbEUlT_E_NS1_11comp_targetILNS1_3genE0ELNS1_11target_archE4294967295ELNS1_3gpuE0ELNS1_3repE0EEENS1_30default_config_static_selectorELNS0_4arch9wavefront6targetE0EEEvT1_,comdat
.Lfunc_end197:
	.size	_ZN7rocprim17ROCPRIM_400000_NS6detail17trampoline_kernelINS0_14default_configENS1_35adjacent_difference_config_selectorILb1EjEEZNS1_24adjacent_difference_implIS3_Lb1ELb0EPjS7_N6thrust23THRUST_200600_302600_NS4plusIjEEEE10hipError_tPvRmT2_T3_mT4_P12ihipStream_tbEUlT_E_NS1_11comp_targetILNS1_3genE0ELNS1_11target_archE4294967295ELNS1_3gpuE0ELNS1_3repE0EEENS1_30default_config_static_selectorELNS0_4arch9wavefront6targetE0EEEvT1_, .Lfunc_end197-_ZN7rocprim17ROCPRIM_400000_NS6detail17trampoline_kernelINS0_14default_configENS1_35adjacent_difference_config_selectorILb1EjEEZNS1_24adjacent_difference_implIS3_Lb1ELb0EPjS7_N6thrust23THRUST_200600_302600_NS4plusIjEEEE10hipError_tPvRmT2_T3_mT4_P12ihipStream_tbEUlT_E_NS1_11comp_targetILNS1_3genE0ELNS1_11target_archE4294967295ELNS1_3gpuE0ELNS1_3repE0EEENS1_30default_config_static_selectorELNS0_4arch9wavefront6targetE0EEEvT1_
                                        ; -- End function
	.section	.AMDGPU.csdata,"",@progbits
; Kernel info:
; codeLenInByte = 0
; NumSgprs: 0
; NumVgprs: 0
; ScratchSize: 0
; MemoryBound: 0
; FloatMode: 240
; IeeeMode: 1
; LDSByteSize: 0 bytes/workgroup (compile time only)
; SGPRBlocks: 0
; VGPRBlocks: 0
; NumSGPRsForWavesPerEU: 1
; NumVGPRsForWavesPerEU: 1
; Occupancy: 16
; WaveLimiterHint : 0
; COMPUTE_PGM_RSRC2:SCRATCH_EN: 0
; COMPUTE_PGM_RSRC2:USER_SGPR: 15
; COMPUTE_PGM_RSRC2:TRAP_HANDLER: 0
; COMPUTE_PGM_RSRC2:TGID_X_EN: 1
; COMPUTE_PGM_RSRC2:TGID_Y_EN: 0
; COMPUTE_PGM_RSRC2:TGID_Z_EN: 0
; COMPUTE_PGM_RSRC2:TIDIG_COMP_CNT: 0
	.section	.text._ZN7rocprim17ROCPRIM_400000_NS6detail17trampoline_kernelINS0_14default_configENS1_35adjacent_difference_config_selectorILb1EjEEZNS1_24adjacent_difference_implIS3_Lb1ELb0EPjS7_N6thrust23THRUST_200600_302600_NS4plusIjEEEE10hipError_tPvRmT2_T3_mT4_P12ihipStream_tbEUlT_E_NS1_11comp_targetILNS1_3genE10ELNS1_11target_archE1201ELNS1_3gpuE5ELNS1_3repE0EEENS1_30default_config_static_selectorELNS0_4arch9wavefront6targetE0EEEvT1_,"axG",@progbits,_ZN7rocprim17ROCPRIM_400000_NS6detail17trampoline_kernelINS0_14default_configENS1_35adjacent_difference_config_selectorILb1EjEEZNS1_24adjacent_difference_implIS3_Lb1ELb0EPjS7_N6thrust23THRUST_200600_302600_NS4plusIjEEEE10hipError_tPvRmT2_T3_mT4_P12ihipStream_tbEUlT_E_NS1_11comp_targetILNS1_3genE10ELNS1_11target_archE1201ELNS1_3gpuE5ELNS1_3repE0EEENS1_30default_config_static_selectorELNS0_4arch9wavefront6targetE0EEEvT1_,comdat
	.protected	_ZN7rocprim17ROCPRIM_400000_NS6detail17trampoline_kernelINS0_14default_configENS1_35adjacent_difference_config_selectorILb1EjEEZNS1_24adjacent_difference_implIS3_Lb1ELb0EPjS7_N6thrust23THRUST_200600_302600_NS4plusIjEEEE10hipError_tPvRmT2_T3_mT4_P12ihipStream_tbEUlT_E_NS1_11comp_targetILNS1_3genE10ELNS1_11target_archE1201ELNS1_3gpuE5ELNS1_3repE0EEENS1_30default_config_static_selectorELNS0_4arch9wavefront6targetE0EEEvT1_ ; -- Begin function _ZN7rocprim17ROCPRIM_400000_NS6detail17trampoline_kernelINS0_14default_configENS1_35adjacent_difference_config_selectorILb1EjEEZNS1_24adjacent_difference_implIS3_Lb1ELb0EPjS7_N6thrust23THRUST_200600_302600_NS4plusIjEEEE10hipError_tPvRmT2_T3_mT4_P12ihipStream_tbEUlT_E_NS1_11comp_targetILNS1_3genE10ELNS1_11target_archE1201ELNS1_3gpuE5ELNS1_3repE0EEENS1_30default_config_static_selectorELNS0_4arch9wavefront6targetE0EEEvT1_
	.globl	_ZN7rocprim17ROCPRIM_400000_NS6detail17trampoline_kernelINS0_14default_configENS1_35adjacent_difference_config_selectorILb1EjEEZNS1_24adjacent_difference_implIS3_Lb1ELb0EPjS7_N6thrust23THRUST_200600_302600_NS4plusIjEEEE10hipError_tPvRmT2_T3_mT4_P12ihipStream_tbEUlT_E_NS1_11comp_targetILNS1_3genE10ELNS1_11target_archE1201ELNS1_3gpuE5ELNS1_3repE0EEENS1_30default_config_static_selectorELNS0_4arch9wavefront6targetE0EEEvT1_
	.p2align	8
	.type	_ZN7rocprim17ROCPRIM_400000_NS6detail17trampoline_kernelINS0_14default_configENS1_35adjacent_difference_config_selectorILb1EjEEZNS1_24adjacent_difference_implIS3_Lb1ELb0EPjS7_N6thrust23THRUST_200600_302600_NS4plusIjEEEE10hipError_tPvRmT2_T3_mT4_P12ihipStream_tbEUlT_E_NS1_11comp_targetILNS1_3genE10ELNS1_11target_archE1201ELNS1_3gpuE5ELNS1_3repE0EEENS1_30default_config_static_selectorELNS0_4arch9wavefront6targetE0EEEvT1_,@function
_ZN7rocprim17ROCPRIM_400000_NS6detail17trampoline_kernelINS0_14default_configENS1_35adjacent_difference_config_selectorILb1EjEEZNS1_24adjacent_difference_implIS3_Lb1ELb0EPjS7_N6thrust23THRUST_200600_302600_NS4plusIjEEEE10hipError_tPvRmT2_T3_mT4_P12ihipStream_tbEUlT_E_NS1_11comp_targetILNS1_3genE10ELNS1_11target_archE1201ELNS1_3gpuE5ELNS1_3repE0EEENS1_30default_config_static_selectorELNS0_4arch9wavefront6targetE0EEEvT1_: ; @_ZN7rocprim17ROCPRIM_400000_NS6detail17trampoline_kernelINS0_14default_configENS1_35adjacent_difference_config_selectorILb1EjEEZNS1_24adjacent_difference_implIS3_Lb1ELb0EPjS7_N6thrust23THRUST_200600_302600_NS4plusIjEEEE10hipError_tPvRmT2_T3_mT4_P12ihipStream_tbEUlT_E_NS1_11comp_targetILNS1_3genE10ELNS1_11target_archE1201ELNS1_3gpuE5ELNS1_3repE0EEENS1_30default_config_static_selectorELNS0_4arch9wavefront6targetE0EEEvT1_
; %bb.0:
	.section	.rodata,"a",@progbits
	.p2align	6, 0x0
	.amdhsa_kernel _ZN7rocprim17ROCPRIM_400000_NS6detail17trampoline_kernelINS0_14default_configENS1_35adjacent_difference_config_selectorILb1EjEEZNS1_24adjacent_difference_implIS3_Lb1ELb0EPjS7_N6thrust23THRUST_200600_302600_NS4plusIjEEEE10hipError_tPvRmT2_T3_mT4_P12ihipStream_tbEUlT_E_NS1_11comp_targetILNS1_3genE10ELNS1_11target_archE1201ELNS1_3gpuE5ELNS1_3repE0EEENS1_30default_config_static_selectorELNS0_4arch9wavefront6targetE0EEEvT1_
		.amdhsa_group_segment_fixed_size 0
		.amdhsa_private_segment_fixed_size 0
		.amdhsa_kernarg_size 56
		.amdhsa_user_sgpr_count 15
		.amdhsa_user_sgpr_dispatch_ptr 0
		.amdhsa_user_sgpr_queue_ptr 0
		.amdhsa_user_sgpr_kernarg_segment_ptr 1
		.amdhsa_user_sgpr_dispatch_id 0
		.amdhsa_user_sgpr_private_segment_size 0
		.amdhsa_wavefront_size32 1
		.amdhsa_uses_dynamic_stack 0
		.amdhsa_enable_private_segment 0
		.amdhsa_system_sgpr_workgroup_id_x 1
		.amdhsa_system_sgpr_workgroup_id_y 0
		.amdhsa_system_sgpr_workgroup_id_z 0
		.amdhsa_system_sgpr_workgroup_info 0
		.amdhsa_system_vgpr_workitem_id 0
		.amdhsa_next_free_vgpr 1
		.amdhsa_next_free_sgpr 1
		.amdhsa_reserve_vcc 0
		.amdhsa_float_round_mode_32 0
		.amdhsa_float_round_mode_16_64 0
		.amdhsa_float_denorm_mode_32 3
		.amdhsa_float_denorm_mode_16_64 3
		.amdhsa_dx10_clamp 1
		.amdhsa_ieee_mode 1
		.amdhsa_fp16_overflow 0
		.amdhsa_workgroup_processor_mode 1
		.amdhsa_memory_ordered 1
		.amdhsa_forward_progress 0
		.amdhsa_shared_vgpr_count 0
		.amdhsa_exception_fp_ieee_invalid_op 0
		.amdhsa_exception_fp_denorm_src 0
		.amdhsa_exception_fp_ieee_div_zero 0
		.amdhsa_exception_fp_ieee_overflow 0
		.amdhsa_exception_fp_ieee_underflow 0
		.amdhsa_exception_fp_ieee_inexact 0
		.amdhsa_exception_int_div_zero 0
	.end_amdhsa_kernel
	.section	.text._ZN7rocprim17ROCPRIM_400000_NS6detail17trampoline_kernelINS0_14default_configENS1_35adjacent_difference_config_selectorILb1EjEEZNS1_24adjacent_difference_implIS3_Lb1ELb0EPjS7_N6thrust23THRUST_200600_302600_NS4plusIjEEEE10hipError_tPvRmT2_T3_mT4_P12ihipStream_tbEUlT_E_NS1_11comp_targetILNS1_3genE10ELNS1_11target_archE1201ELNS1_3gpuE5ELNS1_3repE0EEENS1_30default_config_static_selectorELNS0_4arch9wavefront6targetE0EEEvT1_,"axG",@progbits,_ZN7rocprim17ROCPRIM_400000_NS6detail17trampoline_kernelINS0_14default_configENS1_35adjacent_difference_config_selectorILb1EjEEZNS1_24adjacent_difference_implIS3_Lb1ELb0EPjS7_N6thrust23THRUST_200600_302600_NS4plusIjEEEE10hipError_tPvRmT2_T3_mT4_P12ihipStream_tbEUlT_E_NS1_11comp_targetILNS1_3genE10ELNS1_11target_archE1201ELNS1_3gpuE5ELNS1_3repE0EEENS1_30default_config_static_selectorELNS0_4arch9wavefront6targetE0EEEvT1_,comdat
.Lfunc_end198:
	.size	_ZN7rocprim17ROCPRIM_400000_NS6detail17trampoline_kernelINS0_14default_configENS1_35adjacent_difference_config_selectorILb1EjEEZNS1_24adjacent_difference_implIS3_Lb1ELb0EPjS7_N6thrust23THRUST_200600_302600_NS4plusIjEEEE10hipError_tPvRmT2_T3_mT4_P12ihipStream_tbEUlT_E_NS1_11comp_targetILNS1_3genE10ELNS1_11target_archE1201ELNS1_3gpuE5ELNS1_3repE0EEENS1_30default_config_static_selectorELNS0_4arch9wavefront6targetE0EEEvT1_, .Lfunc_end198-_ZN7rocprim17ROCPRIM_400000_NS6detail17trampoline_kernelINS0_14default_configENS1_35adjacent_difference_config_selectorILb1EjEEZNS1_24adjacent_difference_implIS3_Lb1ELb0EPjS7_N6thrust23THRUST_200600_302600_NS4plusIjEEEE10hipError_tPvRmT2_T3_mT4_P12ihipStream_tbEUlT_E_NS1_11comp_targetILNS1_3genE10ELNS1_11target_archE1201ELNS1_3gpuE5ELNS1_3repE0EEENS1_30default_config_static_selectorELNS0_4arch9wavefront6targetE0EEEvT1_
                                        ; -- End function
	.section	.AMDGPU.csdata,"",@progbits
; Kernel info:
; codeLenInByte = 0
; NumSgprs: 0
; NumVgprs: 0
; ScratchSize: 0
; MemoryBound: 0
; FloatMode: 240
; IeeeMode: 1
; LDSByteSize: 0 bytes/workgroup (compile time only)
; SGPRBlocks: 0
; VGPRBlocks: 0
; NumSGPRsForWavesPerEU: 1
; NumVGPRsForWavesPerEU: 1
; Occupancy: 16
; WaveLimiterHint : 0
; COMPUTE_PGM_RSRC2:SCRATCH_EN: 0
; COMPUTE_PGM_RSRC2:USER_SGPR: 15
; COMPUTE_PGM_RSRC2:TRAP_HANDLER: 0
; COMPUTE_PGM_RSRC2:TGID_X_EN: 1
; COMPUTE_PGM_RSRC2:TGID_Y_EN: 0
; COMPUTE_PGM_RSRC2:TGID_Z_EN: 0
; COMPUTE_PGM_RSRC2:TIDIG_COMP_CNT: 0
	.section	.text._ZN7rocprim17ROCPRIM_400000_NS6detail17trampoline_kernelINS0_14default_configENS1_35adjacent_difference_config_selectorILb1EjEEZNS1_24adjacent_difference_implIS3_Lb1ELb0EPjS7_N6thrust23THRUST_200600_302600_NS4plusIjEEEE10hipError_tPvRmT2_T3_mT4_P12ihipStream_tbEUlT_E_NS1_11comp_targetILNS1_3genE5ELNS1_11target_archE942ELNS1_3gpuE9ELNS1_3repE0EEENS1_30default_config_static_selectorELNS0_4arch9wavefront6targetE0EEEvT1_,"axG",@progbits,_ZN7rocprim17ROCPRIM_400000_NS6detail17trampoline_kernelINS0_14default_configENS1_35adjacent_difference_config_selectorILb1EjEEZNS1_24adjacent_difference_implIS3_Lb1ELb0EPjS7_N6thrust23THRUST_200600_302600_NS4plusIjEEEE10hipError_tPvRmT2_T3_mT4_P12ihipStream_tbEUlT_E_NS1_11comp_targetILNS1_3genE5ELNS1_11target_archE942ELNS1_3gpuE9ELNS1_3repE0EEENS1_30default_config_static_selectorELNS0_4arch9wavefront6targetE0EEEvT1_,comdat
	.protected	_ZN7rocprim17ROCPRIM_400000_NS6detail17trampoline_kernelINS0_14default_configENS1_35adjacent_difference_config_selectorILb1EjEEZNS1_24adjacent_difference_implIS3_Lb1ELb0EPjS7_N6thrust23THRUST_200600_302600_NS4plusIjEEEE10hipError_tPvRmT2_T3_mT4_P12ihipStream_tbEUlT_E_NS1_11comp_targetILNS1_3genE5ELNS1_11target_archE942ELNS1_3gpuE9ELNS1_3repE0EEENS1_30default_config_static_selectorELNS0_4arch9wavefront6targetE0EEEvT1_ ; -- Begin function _ZN7rocprim17ROCPRIM_400000_NS6detail17trampoline_kernelINS0_14default_configENS1_35adjacent_difference_config_selectorILb1EjEEZNS1_24adjacent_difference_implIS3_Lb1ELb0EPjS7_N6thrust23THRUST_200600_302600_NS4plusIjEEEE10hipError_tPvRmT2_T3_mT4_P12ihipStream_tbEUlT_E_NS1_11comp_targetILNS1_3genE5ELNS1_11target_archE942ELNS1_3gpuE9ELNS1_3repE0EEENS1_30default_config_static_selectorELNS0_4arch9wavefront6targetE0EEEvT1_
	.globl	_ZN7rocprim17ROCPRIM_400000_NS6detail17trampoline_kernelINS0_14default_configENS1_35adjacent_difference_config_selectorILb1EjEEZNS1_24adjacent_difference_implIS3_Lb1ELb0EPjS7_N6thrust23THRUST_200600_302600_NS4plusIjEEEE10hipError_tPvRmT2_T3_mT4_P12ihipStream_tbEUlT_E_NS1_11comp_targetILNS1_3genE5ELNS1_11target_archE942ELNS1_3gpuE9ELNS1_3repE0EEENS1_30default_config_static_selectorELNS0_4arch9wavefront6targetE0EEEvT1_
	.p2align	8
	.type	_ZN7rocprim17ROCPRIM_400000_NS6detail17trampoline_kernelINS0_14default_configENS1_35adjacent_difference_config_selectorILb1EjEEZNS1_24adjacent_difference_implIS3_Lb1ELb0EPjS7_N6thrust23THRUST_200600_302600_NS4plusIjEEEE10hipError_tPvRmT2_T3_mT4_P12ihipStream_tbEUlT_E_NS1_11comp_targetILNS1_3genE5ELNS1_11target_archE942ELNS1_3gpuE9ELNS1_3repE0EEENS1_30default_config_static_selectorELNS0_4arch9wavefront6targetE0EEEvT1_,@function
_ZN7rocprim17ROCPRIM_400000_NS6detail17trampoline_kernelINS0_14default_configENS1_35adjacent_difference_config_selectorILb1EjEEZNS1_24adjacent_difference_implIS3_Lb1ELb0EPjS7_N6thrust23THRUST_200600_302600_NS4plusIjEEEE10hipError_tPvRmT2_T3_mT4_P12ihipStream_tbEUlT_E_NS1_11comp_targetILNS1_3genE5ELNS1_11target_archE942ELNS1_3gpuE9ELNS1_3repE0EEENS1_30default_config_static_selectorELNS0_4arch9wavefront6targetE0EEEvT1_: ; @_ZN7rocprim17ROCPRIM_400000_NS6detail17trampoline_kernelINS0_14default_configENS1_35adjacent_difference_config_selectorILb1EjEEZNS1_24adjacent_difference_implIS3_Lb1ELb0EPjS7_N6thrust23THRUST_200600_302600_NS4plusIjEEEE10hipError_tPvRmT2_T3_mT4_P12ihipStream_tbEUlT_E_NS1_11comp_targetILNS1_3genE5ELNS1_11target_archE942ELNS1_3gpuE9ELNS1_3repE0EEENS1_30default_config_static_selectorELNS0_4arch9wavefront6targetE0EEEvT1_
; %bb.0:
	.section	.rodata,"a",@progbits
	.p2align	6, 0x0
	.amdhsa_kernel _ZN7rocprim17ROCPRIM_400000_NS6detail17trampoline_kernelINS0_14default_configENS1_35adjacent_difference_config_selectorILb1EjEEZNS1_24adjacent_difference_implIS3_Lb1ELb0EPjS7_N6thrust23THRUST_200600_302600_NS4plusIjEEEE10hipError_tPvRmT2_T3_mT4_P12ihipStream_tbEUlT_E_NS1_11comp_targetILNS1_3genE5ELNS1_11target_archE942ELNS1_3gpuE9ELNS1_3repE0EEENS1_30default_config_static_selectorELNS0_4arch9wavefront6targetE0EEEvT1_
		.amdhsa_group_segment_fixed_size 0
		.amdhsa_private_segment_fixed_size 0
		.amdhsa_kernarg_size 56
		.amdhsa_user_sgpr_count 15
		.amdhsa_user_sgpr_dispatch_ptr 0
		.amdhsa_user_sgpr_queue_ptr 0
		.amdhsa_user_sgpr_kernarg_segment_ptr 1
		.amdhsa_user_sgpr_dispatch_id 0
		.amdhsa_user_sgpr_private_segment_size 0
		.amdhsa_wavefront_size32 1
		.amdhsa_uses_dynamic_stack 0
		.amdhsa_enable_private_segment 0
		.amdhsa_system_sgpr_workgroup_id_x 1
		.amdhsa_system_sgpr_workgroup_id_y 0
		.amdhsa_system_sgpr_workgroup_id_z 0
		.amdhsa_system_sgpr_workgroup_info 0
		.amdhsa_system_vgpr_workitem_id 0
		.amdhsa_next_free_vgpr 1
		.amdhsa_next_free_sgpr 1
		.amdhsa_reserve_vcc 0
		.amdhsa_float_round_mode_32 0
		.amdhsa_float_round_mode_16_64 0
		.amdhsa_float_denorm_mode_32 3
		.amdhsa_float_denorm_mode_16_64 3
		.amdhsa_dx10_clamp 1
		.amdhsa_ieee_mode 1
		.amdhsa_fp16_overflow 0
		.amdhsa_workgroup_processor_mode 1
		.amdhsa_memory_ordered 1
		.amdhsa_forward_progress 0
		.amdhsa_shared_vgpr_count 0
		.amdhsa_exception_fp_ieee_invalid_op 0
		.amdhsa_exception_fp_denorm_src 0
		.amdhsa_exception_fp_ieee_div_zero 0
		.amdhsa_exception_fp_ieee_overflow 0
		.amdhsa_exception_fp_ieee_underflow 0
		.amdhsa_exception_fp_ieee_inexact 0
		.amdhsa_exception_int_div_zero 0
	.end_amdhsa_kernel
	.section	.text._ZN7rocprim17ROCPRIM_400000_NS6detail17trampoline_kernelINS0_14default_configENS1_35adjacent_difference_config_selectorILb1EjEEZNS1_24adjacent_difference_implIS3_Lb1ELb0EPjS7_N6thrust23THRUST_200600_302600_NS4plusIjEEEE10hipError_tPvRmT2_T3_mT4_P12ihipStream_tbEUlT_E_NS1_11comp_targetILNS1_3genE5ELNS1_11target_archE942ELNS1_3gpuE9ELNS1_3repE0EEENS1_30default_config_static_selectorELNS0_4arch9wavefront6targetE0EEEvT1_,"axG",@progbits,_ZN7rocprim17ROCPRIM_400000_NS6detail17trampoline_kernelINS0_14default_configENS1_35adjacent_difference_config_selectorILb1EjEEZNS1_24adjacent_difference_implIS3_Lb1ELb0EPjS7_N6thrust23THRUST_200600_302600_NS4plusIjEEEE10hipError_tPvRmT2_T3_mT4_P12ihipStream_tbEUlT_E_NS1_11comp_targetILNS1_3genE5ELNS1_11target_archE942ELNS1_3gpuE9ELNS1_3repE0EEENS1_30default_config_static_selectorELNS0_4arch9wavefront6targetE0EEEvT1_,comdat
.Lfunc_end199:
	.size	_ZN7rocprim17ROCPRIM_400000_NS6detail17trampoline_kernelINS0_14default_configENS1_35adjacent_difference_config_selectorILb1EjEEZNS1_24adjacent_difference_implIS3_Lb1ELb0EPjS7_N6thrust23THRUST_200600_302600_NS4plusIjEEEE10hipError_tPvRmT2_T3_mT4_P12ihipStream_tbEUlT_E_NS1_11comp_targetILNS1_3genE5ELNS1_11target_archE942ELNS1_3gpuE9ELNS1_3repE0EEENS1_30default_config_static_selectorELNS0_4arch9wavefront6targetE0EEEvT1_, .Lfunc_end199-_ZN7rocprim17ROCPRIM_400000_NS6detail17trampoline_kernelINS0_14default_configENS1_35adjacent_difference_config_selectorILb1EjEEZNS1_24adjacent_difference_implIS3_Lb1ELb0EPjS7_N6thrust23THRUST_200600_302600_NS4plusIjEEEE10hipError_tPvRmT2_T3_mT4_P12ihipStream_tbEUlT_E_NS1_11comp_targetILNS1_3genE5ELNS1_11target_archE942ELNS1_3gpuE9ELNS1_3repE0EEENS1_30default_config_static_selectorELNS0_4arch9wavefront6targetE0EEEvT1_
                                        ; -- End function
	.section	.AMDGPU.csdata,"",@progbits
; Kernel info:
; codeLenInByte = 0
; NumSgprs: 0
; NumVgprs: 0
; ScratchSize: 0
; MemoryBound: 0
; FloatMode: 240
; IeeeMode: 1
; LDSByteSize: 0 bytes/workgroup (compile time only)
; SGPRBlocks: 0
; VGPRBlocks: 0
; NumSGPRsForWavesPerEU: 1
; NumVGPRsForWavesPerEU: 1
; Occupancy: 16
; WaveLimiterHint : 0
; COMPUTE_PGM_RSRC2:SCRATCH_EN: 0
; COMPUTE_PGM_RSRC2:USER_SGPR: 15
; COMPUTE_PGM_RSRC2:TRAP_HANDLER: 0
; COMPUTE_PGM_RSRC2:TGID_X_EN: 1
; COMPUTE_PGM_RSRC2:TGID_Y_EN: 0
; COMPUTE_PGM_RSRC2:TGID_Z_EN: 0
; COMPUTE_PGM_RSRC2:TIDIG_COMP_CNT: 0
	.section	.text._ZN7rocprim17ROCPRIM_400000_NS6detail17trampoline_kernelINS0_14default_configENS1_35adjacent_difference_config_selectorILb1EjEEZNS1_24adjacent_difference_implIS3_Lb1ELb0EPjS7_N6thrust23THRUST_200600_302600_NS4plusIjEEEE10hipError_tPvRmT2_T3_mT4_P12ihipStream_tbEUlT_E_NS1_11comp_targetILNS1_3genE4ELNS1_11target_archE910ELNS1_3gpuE8ELNS1_3repE0EEENS1_30default_config_static_selectorELNS0_4arch9wavefront6targetE0EEEvT1_,"axG",@progbits,_ZN7rocprim17ROCPRIM_400000_NS6detail17trampoline_kernelINS0_14default_configENS1_35adjacent_difference_config_selectorILb1EjEEZNS1_24adjacent_difference_implIS3_Lb1ELb0EPjS7_N6thrust23THRUST_200600_302600_NS4plusIjEEEE10hipError_tPvRmT2_T3_mT4_P12ihipStream_tbEUlT_E_NS1_11comp_targetILNS1_3genE4ELNS1_11target_archE910ELNS1_3gpuE8ELNS1_3repE0EEENS1_30default_config_static_selectorELNS0_4arch9wavefront6targetE0EEEvT1_,comdat
	.protected	_ZN7rocprim17ROCPRIM_400000_NS6detail17trampoline_kernelINS0_14default_configENS1_35adjacent_difference_config_selectorILb1EjEEZNS1_24adjacent_difference_implIS3_Lb1ELb0EPjS7_N6thrust23THRUST_200600_302600_NS4plusIjEEEE10hipError_tPvRmT2_T3_mT4_P12ihipStream_tbEUlT_E_NS1_11comp_targetILNS1_3genE4ELNS1_11target_archE910ELNS1_3gpuE8ELNS1_3repE0EEENS1_30default_config_static_selectorELNS0_4arch9wavefront6targetE0EEEvT1_ ; -- Begin function _ZN7rocprim17ROCPRIM_400000_NS6detail17trampoline_kernelINS0_14default_configENS1_35adjacent_difference_config_selectorILb1EjEEZNS1_24adjacent_difference_implIS3_Lb1ELb0EPjS7_N6thrust23THRUST_200600_302600_NS4plusIjEEEE10hipError_tPvRmT2_T3_mT4_P12ihipStream_tbEUlT_E_NS1_11comp_targetILNS1_3genE4ELNS1_11target_archE910ELNS1_3gpuE8ELNS1_3repE0EEENS1_30default_config_static_selectorELNS0_4arch9wavefront6targetE0EEEvT1_
	.globl	_ZN7rocprim17ROCPRIM_400000_NS6detail17trampoline_kernelINS0_14default_configENS1_35adjacent_difference_config_selectorILb1EjEEZNS1_24adjacent_difference_implIS3_Lb1ELb0EPjS7_N6thrust23THRUST_200600_302600_NS4plusIjEEEE10hipError_tPvRmT2_T3_mT4_P12ihipStream_tbEUlT_E_NS1_11comp_targetILNS1_3genE4ELNS1_11target_archE910ELNS1_3gpuE8ELNS1_3repE0EEENS1_30default_config_static_selectorELNS0_4arch9wavefront6targetE0EEEvT1_
	.p2align	8
	.type	_ZN7rocprim17ROCPRIM_400000_NS6detail17trampoline_kernelINS0_14default_configENS1_35adjacent_difference_config_selectorILb1EjEEZNS1_24adjacent_difference_implIS3_Lb1ELb0EPjS7_N6thrust23THRUST_200600_302600_NS4plusIjEEEE10hipError_tPvRmT2_T3_mT4_P12ihipStream_tbEUlT_E_NS1_11comp_targetILNS1_3genE4ELNS1_11target_archE910ELNS1_3gpuE8ELNS1_3repE0EEENS1_30default_config_static_selectorELNS0_4arch9wavefront6targetE0EEEvT1_,@function
_ZN7rocprim17ROCPRIM_400000_NS6detail17trampoline_kernelINS0_14default_configENS1_35adjacent_difference_config_selectorILb1EjEEZNS1_24adjacent_difference_implIS3_Lb1ELb0EPjS7_N6thrust23THRUST_200600_302600_NS4plusIjEEEE10hipError_tPvRmT2_T3_mT4_P12ihipStream_tbEUlT_E_NS1_11comp_targetILNS1_3genE4ELNS1_11target_archE910ELNS1_3gpuE8ELNS1_3repE0EEENS1_30default_config_static_selectorELNS0_4arch9wavefront6targetE0EEEvT1_: ; @_ZN7rocprim17ROCPRIM_400000_NS6detail17trampoline_kernelINS0_14default_configENS1_35adjacent_difference_config_selectorILb1EjEEZNS1_24adjacent_difference_implIS3_Lb1ELb0EPjS7_N6thrust23THRUST_200600_302600_NS4plusIjEEEE10hipError_tPvRmT2_T3_mT4_P12ihipStream_tbEUlT_E_NS1_11comp_targetILNS1_3genE4ELNS1_11target_archE910ELNS1_3gpuE8ELNS1_3repE0EEENS1_30default_config_static_selectorELNS0_4arch9wavefront6targetE0EEEvT1_
; %bb.0:
	.section	.rodata,"a",@progbits
	.p2align	6, 0x0
	.amdhsa_kernel _ZN7rocprim17ROCPRIM_400000_NS6detail17trampoline_kernelINS0_14default_configENS1_35adjacent_difference_config_selectorILb1EjEEZNS1_24adjacent_difference_implIS3_Lb1ELb0EPjS7_N6thrust23THRUST_200600_302600_NS4plusIjEEEE10hipError_tPvRmT2_T3_mT4_P12ihipStream_tbEUlT_E_NS1_11comp_targetILNS1_3genE4ELNS1_11target_archE910ELNS1_3gpuE8ELNS1_3repE0EEENS1_30default_config_static_selectorELNS0_4arch9wavefront6targetE0EEEvT1_
		.amdhsa_group_segment_fixed_size 0
		.amdhsa_private_segment_fixed_size 0
		.amdhsa_kernarg_size 56
		.amdhsa_user_sgpr_count 15
		.amdhsa_user_sgpr_dispatch_ptr 0
		.amdhsa_user_sgpr_queue_ptr 0
		.amdhsa_user_sgpr_kernarg_segment_ptr 1
		.amdhsa_user_sgpr_dispatch_id 0
		.amdhsa_user_sgpr_private_segment_size 0
		.amdhsa_wavefront_size32 1
		.amdhsa_uses_dynamic_stack 0
		.amdhsa_enable_private_segment 0
		.amdhsa_system_sgpr_workgroup_id_x 1
		.amdhsa_system_sgpr_workgroup_id_y 0
		.amdhsa_system_sgpr_workgroup_id_z 0
		.amdhsa_system_sgpr_workgroup_info 0
		.amdhsa_system_vgpr_workitem_id 0
		.amdhsa_next_free_vgpr 1
		.amdhsa_next_free_sgpr 1
		.amdhsa_reserve_vcc 0
		.amdhsa_float_round_mode_32 0
		.amdhsa_float_round_mode_16_64 0
		.amdhsa_float_denorm_mode_32 3
		.amdhsa_float_denorm_mode_16_64 3
		.amdhsa_dx10_clamp 1
		.amdhsa_ieee_mode 1
		.amdhsa_fp16_overflow 0
		.amdhsa_workgroup_processor_mode 1
		.amdhsa_memory_ordered 1
		.amdhsa_forward_progress 0
		.amdhsa_shared_vgpr_count 0
		.amdhsa_exception_fp_ieee_invalid_op 0
		.amdhsa_exception_fp_denorm_src 0
		.amdhsa_exception_fp_ieee_div_zero 0
		.amdhsa_exception_fp_ieee_overflow 0
		.amdhsa_exception_fp_ieee_underflow 0
		.amdhsa_exception_fp_ieee_inexact 0
		.amdhsa_exception_int_div_zero 0
	.end_amdhsa_kernel
	.section	.text._ZN7rocprim17ROCPRIM_400000_NS6detail17trampoline_kernelINS0_14default_configENS1_35adjacent_difference_config_selectorILb1EjEEZNS1_24adjacent_difference_implIS3_Lb1ELb0EPjS7_N6thrust23THRUST_200600_302600_NS4plusIjEEEE10hipError_tPvRmT2_T3_mT4_P12ihipStream_tbEUlT_E_NS1_11comp_targetILNS1_3genE4ELNS1_11target_archE910ELNS1_3gpuE8ELNS1_3repE0EEENS1_30default_config_static_selectorELNS0_4arch9wavefront6targetE0EEEvT1_,"axG",@progbits,_ZN7rocprim17ROCPRIM_400000_NS6detail17trampoline_kernelINS0_14default_configENS1_35adjacent_difference_config_selectorILb1EjEEZNS1_24adjacent_difference_implIS3_Lb1ELb0EPjS7_N6thrust23THRUST_200600_302600_NS4plusIjEEEE10hipError_tPvRmT2_T3_mT4_P12ihipStream_tbEUlT_E_NS1_11comp_targetILNS1_3genE4ELNS1_11target_archE910ELNS1_3gpuE8ELNS1_3repE0EEENS1_30default_config_static_selectorELNS0_4arch9wavefront6targetE0EEEvT1_,comdat
.Lfunc_end200:
	.size	_ZN7rocprim17ROCPRIM_400000_NS6detail17trampoline_kernelINS0_14default_configENS1_35adjacent_difference_config_selectorILb1EjEEZNS1_24adjacent_difference_implIS3_Lb1ELb0EPjS7_N6thrust23THRUST_200600_302600_NS4plusIjEEEE10hipError_tPvRmT2_T3_mT4_P12ihipStream_tbEUlT_E_NS1_11comp_targetILNS1_3genE4ELNS1_11target_archE910ELNS1_3gpuE8ELNS1_3repE0EEENS1_30default_config_static_selectorELNS0_4arch9wavefront6targetE0EEEvT1_, .Lfunc_end200-_ZN7rocprim17ROCPRIM_400000_NS6detail17trampoline_kernelINS0_14default_configENS1_35adjacent_difference_config_selectorILb1EjEEZNS1_24adjacent_difference_implIS3_Lb1ELb0EPjS7_N6thrust23THRUST_200600_302600_NS4plusIjEEEE10hipError_tPvRmT2_T3_mT4_P12ihipStream_tbEUlT_E_NS1_11comp_targetILNS1_3genE4ELNS1_11target_archE910ELNS1_3gpuE8ELNS1_3repE0EEENS1_30default_config_static_selectorELNS0_4arch9wavefront6targetE0EEEvT1_
                                        ; -- End function
	.section	.AMDGPU.csdata,"",@progbits
; Kernel info:
; codeLenInByte = 0
; NumSgprs: 0
; NumVgprs: 0
; ScratchSize: 0
; MemoryBound: 0
; FloatMode: 240
; IeeeMode: 1
; LDSByteSize: 0 bytes/workgroup (compile time only)
; SGPRBlocks: 0
; VGPRBlocks: 0
; NumSGPRsForWavesPerEU: 1
; NumVGPRsForWavesPerEU: 1
; Occupancy: 16
; WaveLimiterHint : 0
; COMPUTE_PGM_RSRC2:SCRATCH_EN: 0
; COMPUTE_PGM_RSRC2:USER_SGPR: 15
; COMPUTE_PGM_RSRC2:TRAP_HANDLER: 0
; COMPUTE_PGM_RSRC2:TGID_X_EN: 1
; COMPUTE_PGM_RSRC2:TGID_Y_EN: 0
; COMPUTE_PGM_RSRC2:TGID_Z_EN: 0
; COMPUTE_PGM_RSRC2:TIDIG_COMP_CNT: 0
	.section	.text._ZN7rocprim17ROCPRIM_400000_NS6detail17trampoline_kernelINS0_14default_configENS1_35adjacent_difference_config_selectorILb1EjEEZNS1_24adjacent_difference_implIS3_Lb1ELb0EPjS7_N6thrust23THRUST_200600_302600_NS4plusIjEEEE10hipError_tPvRmT2_T3_mT4_P12ihipStream_tbEUlT_E_NS1_11comp_targetILNS1_3genE3ELNS1_11target_archE908ELNS1_3gpuE7ELNS1_3repE0EEENS1_30default_config_static_selectorELNS0_4arch9wavefront6targetE0EEEvT1_,"axG",@progbits,_ZN7rocprim17ROCPRIM_400000_NS6detail17trampoline_kernelINS0_14default_configENS1_35adjacent_difference_config_selectorILb1EjEEZNS1_24adjacent_difference_implIS3_Lb1ELb0EPjS7_N6thrust23THRUST_200600_302600_NS4plusIjEEEE10hipError_tPvRmT2_T3_mT4_P12ihipStream_tbEUlT_E_NS1_11comp_targetILNS1_3genE3ELNS1_11target_archE908ELNS1_3gpuE7ELNS1_3repE0EEENS1_30default_config_static_selectorELNS0_4arch9wavefront6targetE0EEEvT1_,comdat
	.protected	_ZN7rocprim17ROCPRIM_400000_NS6detail17trampoline_kernelINS0_14default_configENS1_35adjacent_difference_config_selectorILb1EjEEZNS1_24adjacent_difference_implIS3_Lb1ELb0EPjS7_N6thrust23THRUST_200600_302600_NS4plusIjEEEE10hipError_tPvRmT2_T3_mT4_P12ihipStream_tbEUlT_E_NS1_11comp_targetILNS1_3genE3ELNS1_11target_archE908ELNS1_3gpuE7ELNS1_3repE0EEENS1_30default_config_static_selectorELNS0_4arch9wavefront6targetE0EEEvT1_ ; -- Begin function _ZN7rocprim17ROCPRIM_400000_NS6detail17trampoline_kernelINS0_14default_configENS1_35adjacent_difference_config_selectorILb1EjEEZNS1_24adjacent_difference_implIS3_Lb1ELb0EPjS7_N6thrust23THRUST_200600_302600_NS4plusIjEEEE10hipError_tPvRmT2_T3_mT4_P12ihipStream_tbEUlT_E_NS1_11comp_targetILNS1_3genE3ELNS1_11target_archE908ELNS1_3gpuE7ELNS1_3repE0EEENS1_30default_config_static_selectorELNS0_4arch9wavefront6targetE0EEEvT1_
	.globl	_ZN7rocprim17ROCPRIM_400000_NS6detail17trampoline_kernelINS0_14default_configENS1_35adjacent_difference_config_selectorILb1EjEEZNS1_24adjacent_difference_implIS3_Lb1ELb0EPjS7_N6thrust23THRUST_200600_302600_NS4plusIjEEEE10hipError_tPvRmT2_T3_mT4_P12ihipStream_tbEUlT_E_NS1_11comp_targetILNS1_3genE3ELNS1_11target_archE908ELNS1_3gpuE7ELNS1_3repE0EEENS1_30default_config_static_selectorELNS0_4arch9wavefront6targetE0EEEvT1_
	.p2align	8
	.type	_ZN7rocprim17ROCPRIM_400000_NS6detail17trampoline_kernelINS0_14default_configENS1_35adjacent_difference_config_selectorILb1EjEEZNS1_24adjacent_difference_implIS3_Lb1ELb0EPjS7_N6thrust23THRUST_200600_302600_NS4plusIjEEEE10hipError_tPvRmT2_T3_mT4_P12ihipStream_tbEUlT_E_NS1_11comp_targetILNS1_3genE3ELNS1_11target_archE908ELNS1_3gpuE7ELNS1_3repE0EEENS1_30default_config_static_selectorELNS0_4arch9wavefront6targetE0EEEvT1_,@function
_ZN7rocprim17ROCPRIM_400000_NS6detail17trampoline_kernelINS0_14default_configENS1_35adjacent_difference_config_selectorILb1EjEEZNS1_24adjacent_difference_implIS3_Lb1ELb0EPjS7_N6thrust23THRUST_200600_302600_NS4plusIjEEEE10hipError_tPvRmT2_T3_mT4_P12ihipStream_tbEUlT_E_NS1_11comp_targetILNS1_3genE3ELNS1_11target_archE908ELNS1_3gpuE7ELNS1_3repE0EEENS1_30default_config_static_selectorELNS0_4arch9wavefront6targetE0EEEvT1_: ; @_ZN7rocprim17ROCPRIM_400000_NS6detail17trampoline_kernelINS0_14default_configENS1_35adjacent_difference_config_selectorILb1EjEEZNS1_24adjacent_difference_implIS3_Lb1ELb0EPjS7_N6thrust23THRUST_200600_302600_NS4plusIjEEEE10hipError_tPvRmT2_T3_mT4_P12ihipStream_tbEUlT_E_NS1_11comp_targetILNS1_3genE3ELNS1_11target_archE908ELNS1_3gpuE7ELNS1_3repE0EEENS1_30default_config_static_selectorELNS0_4arch9wavefront6targetE0EEEvT1_
; %bb.0:
	.section	.rodata,"a",@progbits
	.p2align	6, 0x0
	.amdhsa_kernel _ZN7rocprim17ROCPRIM_400000_NS6detail17trampoline_kernelINS0_14default_configENS1_35adjacent_difference_config_selectorILb1EjEEZNS1_24adjacent_difference_implIS3_Lb1ELb0EPjS7_N6thrust23THRUST_200600_302600_NS4plusIjEEEE10hipError_tPvRmT2_T3_mT4_P12ihipStream_tbEUlT_E_NS1_11comp_targetILNS1_3genE3ELNS1_11target_archE908ELNS1_3gpuE7ELNS1_3repE0EEENS1_30default_config_static_selectorELNS0_4arch9wavefront6targetE0EEEvT1_
		.amdhsa_group_segment_fixed_size 0
		.amdhsa_private_segment_fixed_size 0
		.amdhsa_kernarg_size 56
		.amdhsa_user_sgpr_count 15
		.amdhsa_user_sgpr_dispatch_ptr 0
		.amdhsa_user_sgpr_queue_ptr 0
		.amdhsa_user_sgpr_kernarg_segment_ptr 1
		.amdhsa_user_sgpr_dispatch_id 0
		.amdhsa_user_sgpr_private_segment_size 0
		.amdhsa_wavefront_size32 1
		.amdhsa_uses_dynamic_stack 0
		.amdhsa_enable_private_segment 0
		.amdhsa_system_sgpr_workgroup_id_x 1
		.amdhsa_system_sgpr_workgroup_id_y 0
		.amdhsa_system_sgpr_workgroup_id_z 0
		.amdhsa_system_sgpr_workgroup_info 0
		.amdhsa_system_vgpr_workitem_id 0
		.amdhsa_next_free_vgpr 1
		.amdhsa_next_free_sgpr 1
		.amdhsa_reserve_vcc 0
		.amdhsa_float_round_mode_32 0
		.amdhsa_float_round_mode_16_64 0
		.amdhsa_float_denorm_mode_32 3
		.amdhsa_float_denorm_mode_16_64 3
		.amdhsa_dx10_clamp 1
		.amdhsa_ieee_mode 1
		.amdhsa_fp16_overflow 0
		.amdhsa_workgroup_processor_mode 1
		.amdhsa_memory_ordered 1
		.amdhsa_forward_progress 0
		.amdhsa_shared_vgpr_count 0
		.amdhsa_exception_fp_ieee_invalid_op 0
		.amdhsa_exception_fp_denorm_src 0
		.amdhsa_exception_fp_ieee_div_zero 0
		.amdhsa_exception_fp_ieee_overflow 0
		.amdhsa_exception_fp_ieee_underflow 0
		.amdhsa_exception_fp_ieee_inexact 0
		.amdhsa_exception_int_div_zero 0
	.end_amdhsa_kernel
	.section	.text._ZN7rocprim17ROCPRIM_400000_NS6detail17trampoline_kernelINS0_14default_configENS1_35adjacent_difference_config_selectorILb1EjEEZNS1_24adjacent_difference_implIS3_Lb1ELb0EPjS7_N6thrust23THRUST_200600_302600_NS4plusIjEEEE10hipError_tPvRmT2_T3_mT4_P12ihipStream_tbEUlT_E_NS1_11comp_targetILNS1_3genE3ELNS1_11target_archE908ELNS1_3gpuE7ELNS1_3repE0EEENS1_30default_config_static_selectorELNS0_4arch9wavefront6targetE0EEEvT1_,"axG",@progbits,_ZN7rocprim17ROCPRIM_400000_NS6detail17trampoline_kernelINS0_14default_configENS1_35adjacent_difference_config_selectorILb1EjEEZNS1_24adjacent_difference_implIS3_Lb1ELb0EPjS7_N6thrust23THRUST_200600_302600_NS4plusIjEEEE10hipError_tPvRmT2_T3_mT4_P12ihipStream_tbEUlT_E_NS1_11comp_targetILNS1_3genE3ELNS1_11target_archE908ELNS1_3gpuE7ELNS1_3repE0EEENS1_30default_config_static_selectorELNS0_4arch9wavefront6targetE0EEEvT1_,comdat
.Lfunc_end201:
	.size	_ZN7rocprim17ROCPRIM_400000_NS6detail17trampoline_kernelINS0_14default_configENS1_35adjacent_difference_config_selectorILb1EjEEZNS1_24adjacent_difference_implIS3_Lb1ELb0EPjS7_N6thrust23THRUST_200600_302600_NS4plusIjEEEE10hipError_tPvRmT2_T3_mT4_P12ihipStream_tbEUlT_E_NS1_11comp_targetILNS1_3genE3ELNS1_11target_archE908ELNS1_3gpuE7ELNS1_3repE0EEENS1_30default_config_static_selectorELNS0_4arch9wavefront6targetE0EEEvT1_, .Lfunc_end201-_ZN7rocprim17ROCPRIM_400000_NS6detail17trampoline_kernelINS0_14default_configENS1_35adjacent_difference_config_selectorILb1EjEEZNS1_24adjacent_difference_implIS3_Lb1ELb0EPjS7_N6thrust23THRUST_200600_302600_NS4plusIjEEEE10hipError_tPvRmT2_T3_mT4_P12ihipStream_tbEUlT_E_NS1_11comp_targetILNS1_3genE3ELNS1_11target_archE908ELNS1_3gpuE7ELNS1_3repE0EEENS1_30default_config_static_selectorELNS0_4arch9wavefront6targetE0EEEvT1_
                                        ; -- End function
	.section	.AMDGPU.csdata,"",@progbits
; Kernel info:
; codeLenInByte = 0
; NumSgprs: 0
; NumVgprs: 0
; ScratchSize: 0
; MemoryBound: 0
; FloatMode: 240
; IeeeMode: 1
; LDSByteSize: 0 bytes/workgroup (compile time only)
; SGPRBlocks: 0
; VGPRBlocks: 0
; NumSGPRsForWavesPerEU: 1
; NumVGPRsForWavesPerEU: 1
; Occupancy: 16
; WaveLimiterHint : 0
; COMPUTE_PGM_RSRC2:SCRATCH_EN: 0
; COMPUTE_PGM_RSRC2:USER_SGPR: 15
; COMPUTE_PGM_RSRC2:TRAP_HANDLER: 0
; COMPUTE_PGM_RSRC2:TGID_X_EN: 1
; COMPUTE_PGM_RSRC2:TGID_Y_EN: 0
; COMPUTE_PGM_RSRC2:TGID_Z_EN: 0
; COMPUTE_PGM_RSRC2:TIDIG_COMP_CNT: 0
	.section	.text._ZN7rocprim17ROCPRIM_400000_NS6detail17trampoline_kernelINS0_14default_configENS1_35adjacent_difference_config_selectorILb1EjEEZNS1_24adjacent_difference_implIS3_Lb1ELb0EPjS7_N6thrust23THRUST_200600_302600_NS4plusIjEEEE10hipError_tPvRmT2_T3_mT4_P12ihipStream_tbEUlT_E_NS1_11comp_targetILNS1_3genE2ELNS1_11target_archE906ELNS1_3gpuE6ELNS1_3repE0EEENS1_30default_config_static_selectorELNS0_4arch9wavefront6targetE0EEEvT1_,"axG",@progbits,_ZN7rocprim17ROCPRIM_400000_NS6detail17trampoline_kernelINS0_14default_configENS1_35adjacent_difference_config_selectorILb1EjEEZNS1_24adjacent_difference_implIS3_Lb1ELb0EPjS7_N6thrust23THRUST_200600_302600_NS4plusIjEEEE10hipError_tPvRmT2_T3_mT4_P12ihipStream_tbEUlT_E_NS1_11comp_targetILNS1_3genE2ELNS1_11target_archE906ELNS1_3gpuE6ELNS1_3repE0EEENS1_30default_config_static_selectorELNS0_4arch9wavefront6targetE0EEEvT1_,comdat
	.protected	_ZN7rocprim17ROCPRIM_400000_NS6detail17trampoline_kernelINS0_14default_configENS1_35adjacent_difference_config_selectorILb1EjEEZNS1_24adjacent_difference_implIS3_Lb1ELb0EPjS7_N6thrust23THRUST_200600_302600_NS4plusIjEEEE10hipError_tPvRmT2_T3_mT4_P12ihipStream_tbEUlT_E_NS1_11comp_targetILNS1_3genE2ELNS1_11target_archE906ELNS1_3gpuE6ELNS1_3repE0EEENS1_30default_config_static_selectorELNS0_4arch9wavefront6targetE0EEEvT1_ ; -- Begin function _ZN7rocprim17ROCPRIM_400000_NS6detail17trampoline_kernelINS0_14default_configENS1_35adjacent_difference_config_selectorILb1EjEEZNS1_24adjacent_difference_implIS3_Lb1ELb0EPjS7_N6thrust23THRUST_200600_302600_NS4plusIjEEEE10hipError_tPvRmT2_T3_mT4_P12ihipStream_tbEUlT_E_NS1_11comp_targetILNS1_3genE2ELNS1_11target_archE906ELNS1_3gpuE6ELNS1_3repE0EEENS1_30default_config_static_selectorELNS0_4arch9wavefront6targetE0EEEvT1_
	.globl	_ZN7rocprim17ROCPRIM_400000_NS6detail17trampoline_kernelINS0_14default_configENS1_35adjacent_difference_config_selectorILb1EjEEZNS1_24adjacent_difference_implIS3_Lb1ELb0EPjS7_N6thrust23THRUST_200600_302600_NS4plusIjEEEE10hipError_tPvRmT2_T3_mT4_P12ihipStream_tbEUlT_E_NS1_11comp_targetILNS1_3genE2ELNS1_11target_archE906ELNS1_3gpuE6ELNS1_3repE0EEENS1_30default_config_static_selectorELNS0_4arch9wavefront6targetE0EEEvT1_
	.p2align	8
	.type	_ZN7rocprim17ROCPRIM_400000_NS6detail17trampoline_kernelINS0_14default_configENS1_35adjacent_difference_config_selectorILb1EjEEZNS1_24adjacent_difference_implIS3_Lb1ELb0EPjS7_N6thrust23THRUST_200600_302600_NS4plusIjEEEE10hipError_tPvRmT2_T3_mT4_P12ihipStream_tbEUlT_E_NS1_11comp_targetILNS1_3genE2ELNS1_11target_archE906ELNS1_3gpuE6ELNS1_3repE0EEENS1_30default_config_static_selectorELNS0_4arch9wavefront6targetE0EEEvT1_,@function
_ZN7rocprim17ROCPRIM_400000_NS6detail17trampoline_kernelINS0_14default_configENS1_35adjacent_difference_config_selectorILb1EjEEZNS1_24adjacent_difference_implIS3_Lb1ELb0EPjS7_N6thrust23THRUST_200600_302600_NS4plusIjEEEE10hipError_tPvRmT2_T3_mT4_P12ihipStream_tbEUlT_E_NS1_11comp_targetILNS1_3genE2ELNS1_11target_archE906ELNS1_3gpuE6ELNS1_3repE0EEENS1_30default_config_static_selectorELNS0_4arch9wavefront6targetE0EEEvT1_: ; @_ZN7rocprim17ROCPRIM_400000_NS6detail17trampoline_kernelINS0_14default_configENS1_35adjacent_difference_config_selectorILb1EjEEZNS1_24adjacent_difference_implIS3_Lb1ELb0EPjS7_N6thrust23THRUST_200600_302600_NS4plusIjEEEE10hipError_tPvRmT2_T3_mT4_P12ihipStream_tbEUlT_E_NS1_11comp_targetILNS1_3genE2ELNS1_11target_archE906ELNS1_3gpuE6ELNS1_3repE0EEENS1_30default_config_static_selectorELNS0_4arch9wavefront6targetE0EEEvT1_
; %bb.0:
	.section	.rodata,"a",@progbits
	.p2align	6, 0x0
	.amdhsa_kernel _ZN7rocprim17ROCPRIM_400000_NS6detail17trampoline_kernelINS0_14default_configENS1_35adjacent_difference_config_selectorILb1EjEEZNS1_24adjacent_difference_implIS3_Lb1ELb0EPjS7_N6thrust23THRUST_200600_302600_NS4plusIjEEEE10hipError_tPvRmT2_T3_mT4_P12ihipStream_tbEUlT_E_NS1_11comp_targetILNS1_3genE2ELNS1_11target_archE906ELNS1_3gpuE6ELNS1_3repE0EEENS1_30default_config_static_selectorELNS0_4arch9wavefront6targetE0EEEvT1_
		.amdhsa_group_segment_fixed_size 0
		.amdhsa_private_segment_fixed_size 0
		.amdhsa_kernarg_size 56
		.amdhsa_user_sgpr_count 15
		.amdhsa_user_sgpr_dispatch_ptr 0
		.amdhsa_user_sgpr_queue_ptr 0
		.amdhsa_user_sgpr_kernarg_segment_ptr 1
		.amdhsa_user_sgpr_dispatch_id 0
		.amdhsa_user_sgpr_private_segment_size 0
		.amdhsa_wavefront_size32 1
		.amdhsa_uses_dynamic_stack 0
		.amdhsa_enable_private_segment 0
		.amdhsa_system_sgpr_workgroup_id_x 1
		.amdhsa_system_sgpr_workgroup_id_y 0
		.amdhsa_system_sgpr_workgroup_id_z 0
		.amdhsa_system_sgpr_workgroup_info 0
		.amdhsa_system_vgpr_workitem_id 0
		.amdhsa_next_free_vgpr 1
		.amdhsa_next_free_sgpr 1
		.amdhsa_reserve_vcc 0
		.amdhsa_float_round_mode_32 0
		.amdhsa_float_round_mode_16_64 0
		.amdhsa_float_denorm_mode_32 3
		.amdhsa_float_denorm_mode_16_64 3
		.amdhsa_dx10_clamp 1
		.amdhsa_ieee_mode 1
		.amdhsa_fp16_overflow 0
		.amdhsa_workgroup_processor_mode 1
		.amdhsa_memory_ordered 1
		.amdhsa_forward_progress 0
		.amdhsa_shared_vgpr_count 0
		.amdhsa_exception_fp_ieee_invalid_op 0
		.amdhsa_exception_fp_denorm_src 0
		.amdhsa_exception_fp_ieee_div_zero 0
		.amdhsa_exception_fp_ieee_overflow 0
		.amdhsa_exception_fp_ieee_underflow 0
		.amdhsa_exception_fp_ieee_inexact 0
		.amdhsa_exception_int_div_zero 0
	.end_amdhsa_kernel
	.section	.text._ZN7rocprim17ROCPRIM_400000_NS6detail17trampoline_kernelINS0_14default_configENS1_35adjacent_difference_config_selectorILb1EjEEZNS1_24adjacent_difference_implIS3_Lb1ELb0EPjS7_N6thrust23THRUST_200600_302600_NS4plusIjEEEE10hipError_tPvRmT2_T3_mT4_P12ihipStream_tbEUlT_E_NS1_11comp_targetILNS1_3genE2ELNS1_11target_archE906ELNS1_3gpuE6ELNS1_3repE0EEENS1_30default_config_static_selectorELNS0_4arch9wavefront6targetE0EEEvT1_,"axG",@progbits,_ZN7rocprim17ROCPRIM_400000_NS6detail17trampoline_kernelINS0_14default_configENS1_35adjacent_difference_config_selectorILb1EjEEZNS1_24adjacent_difference_implIS3_Lb1ELb0EPjS7_N6thrust23THRUST_200600_302600_NS4plusIjEEEE10hipError_tPvRmT2_T3_mT4_P12ihipStream_tbEUlT_E_NS1_11comp_targetILNS1_3genE2ELNS1_11target_archE906ELNS1_3gpuE6ELNS1_3repE0EEENS1_30default_config_static_selectorELNS0_4arch9wavefront6targetE0EEEvT1_,comdat
.Lfunc_end202:
	.size	_ZN7rocprim17ROCPRIM_400000_NS6detail17trampoline_kernelINS0_14default_configENS1_35adjacent_difference_config_selectorILb1EjEEZNS1_24adjacent_difference_implIS3_Lb1ELb0EPjS7_N6thrust23THRUST_200600_302600_NS4plusIjEEEE10hipError_tPvRmT2_T3_mT4_P12ihipStream_tbEUlT_E_NS1_11comp_targetILNS1_3genE2ELNS1_11target_archE906ELNS1_3gpuE6ELNS1_3repE0EEENS1_30default_config_static_selectorELNS0_4arch9wavefront6targetE0EEEvT1_, .Lfunc_end202-_ZN7rocprim17ROCPRIM_400000_NS6detail17trampoline_kernelINS0_14default_configENS1_35adjacent_difference_config_selectorILb1EjEEZNS1_24adjacent_difference_implIS3_Lb1ELb0EPjS7_N6thrust23THRUST_200600_302600_NS4plusIjEEEE10hipError_tPvRmT2_T3_mT4_P12ihipStream_tbEUlT_E_NS1_11comp_targetILNS1_3genE2ELNS1_11target_archE906ELNS1_3gpuE6ELNS1_3repE0EEENS1_30default_config_static_selectorELNS0_4arch9wavefront6targetE0EEEvT1_
                                        ; -- End function
	.section	.AMDGPU.csdata,"",@progbits
; Kernel info:
; codeLenInByte = 0
; NumSgprs: 0
; NumVgprs: 0
; ScratchSize: 0
; MemoryBound: 0
; FloatMode: 240
; IeeeMode: 1
; LDSByteSize: 0 bytes/workgroup (compile time only)
; SGPRBlocks: 0
; VGPRBlocks: 0
; NumSGPRsForWavesPerEU: 1
; NumVGPRsForWavesPerEU: 1
; Occupancy: 16
; WaveLimiterHint : 0
; COMPUTE_PGM_RSRC2:SCRATCH_EN: 0
; COMPUTE_PGM_RSRC2:USER_SGPR: 15
; COMPUTE_PGM_RSRC2:TRAP_HANDLER: 0
; COMPUTE_PGM_RSRC2:TGID_X_EN: 1
; COMPUTE_PGM_RSRC2:TGID_Y_EN: 0
; COMPUTE_PGM_RSRC2:TGID_Z_EN: 0
; COMPUTE_PGM_RSRC2:TIDIG_COMP_CNT: 0
	.section	.text._ZN7rocprim17ROCPRIM_400000_NS6detail17trampoline_kernelINS0_14default_configENS1_35adjacent_difference_config_selectorILb1EjEEZNS1_24adjacent_difference_implIS3_Lb1ELb0EPjS7_N6thrust23THRUST_200600_302600_NS4plusIjEEEE10hipError_tPvRmT2_T3_mT4_P12ihipStream_tbEUlT_E_NS1_11comp_targetILNS1_3genE9ELNS1_11target_archE1100ELNS1_3gpuE3ELNS1_3repE0EEENS1_30default_config_static_selectorELNS0_4arch9wavefront6targetE0EEEvT1_,"axG",@progbits,_ZN7rocprim17ROCPRIM_400000_NS6detail17trampoline_kernelINS0_14default_configENS1_35adjacent_difference_config_selectorILb1EjEEZNS1_24adjacent_difference_implIS3_Lb1ELb0EPjS7_N6thrust23THRUST_200600_302600_NS4plusIjEEEE10hipError_tPvRmT2_T3_mT4_P12ihipStream_tbEUlT_E_NS1_11comp_targetILNS1_3genE9ELNS1_11target_archE1100ELNS1_3gpuE3ELNS1_3repE0EEENS1_30default_config_static_selectorELNS0_4arch9wavefront6targetE0EEEvT1_,comdat
	.protected	_ZN7rocprim17ROCPRIM_400000_NS6detail17trampoline_kernelINS0_14default_configENS1_35adjacent_difference_config_selectorILb1EjEEZNS1_24adjacent_difference_implIS3_Lb1ELb0EPjS7_N6thrust23THRUST_200600_302600_NS4plusIjEEEE10hipError_tPvRmT2_T3_mT4_P12ihipStream_tbEUlT_E_NS1_11comp_targetILNS1_3genE9ELNS1_11target_archE1100ELNS1_3gpuE3ELNS1_3repE0EEENS1_30default_config_static_selectorELNS0_4arch9wavefront6targetE0EEEvT1_ ; -- Begin function _ZN7rocprim17ROCPRIM_400000_NS6detail17trampoline_kernelINS0_14default_configENS1_35adjacent_difference_config_selectorILb1EjEEZNS1_24adjacent_difference_implIS3_Lb1ELb0EPjS7_N6thrust23THRUST_200600_302600_NS4plusIjEEEE10hipError_tPvRmT2_T3_mT4_P12ihipStream_tbEUlT_E_NS1_11comp_targetILNS1_3genE9ELNS1_11target_archE1100ELNS1_3gpuE3ELNS1_3repE0EEENS1_30default_config_static_selectorELNS0_4arch9wavefront6targetE0EEEvT1_
	.globl	_ZN7rocprim17ROCPRIM_400000_NS6detail17trampoline_kernelINS0_14default_configENS1_35adjacent_difference_config_selectorILb1EjEEZNS1_24adjacent_difference_implIS3_Lb1ELb0EPjS7_N6thrust23THRUST_200600_302600_NS4plusIjEEEE10hipError_tPvRmT2_T3_mT4_P12ihipStream_tbEUlT_E_NS1_11comp_targetILNS1_3genE9ELNS1_11target_archE1100ELNS1_3gpuE3ELNS1_3repE0EEENS1_30default_config_static_selectorELNS0_4arch9wavefront6targetE0EEEvT1_
	.p2align	8
	.type	_ZN7rocprim17ROCPRIM_400000_NS6detail17trampoline_kernelINS0_14default_configENS1_35adjacent_difference_config_selectorILb1EjEEZNS1_24adjacent_difference_implIS3_Lb1ELb0EPjS7_N6thrust23THRUST_200600_302600_NS4plusIjEEEE10hipError_tPvRmT2_T3_mT4_P12ihipStream_tbEUlT_E_NS1_11comp_targetILNS1_3genE9ELNS1_11target_archE1100ELNS1_3gpuE3ELNS1_3repE0EEENS1_30default_config_static_selectorELNS0_4arch9wavefront6targetE0EEEvT1_,@function
_ZN7rocprim17ROCPRIM_400000_NS6detail17trampoline_kernelINS0_14default_configENS1_35adjacent_difference_config_selectorILb1EjEEZNS1_24adjacent_difference_implIS3_Lb1ELb0EPjS7_N6thrust23THRUST_200600_302600_NS4plusIjEEEE10hipError_tPvRmT2_T3_mT4_P12ihipStream_tbEUlT_E_NS1_11comp_targetILNS1_3genE9ELNS1_11target_archE1100ELNS1_3gpuE3ELNS1_3repE0EEENS1_30default_config_static_selectorELNS0_4arch9wavefront6targetE0EEEvT1_: ; @_ZN7rocprim17ROCPRIM_400000_NS6detail17trampoline_kernelINS0_14default_configENS1_35adjacent_difference_config_selectorILb1EjEEZNS1_24adjacent_difference_implIS3_Lb1ELb0EPjS7_N6thrust23THRUST_200600_302600_NS4plusIjEEEE10hipError_tPvRmT2_T3_mT4_P12ihipStream_tbEUlT_E_NS1_11comp_targetILNS1_3genE9ELNS1_11target_archE1100ELNS1_3gpuE3ELNS1_3repE0EEENS1_30default_config_static_selectorELNS0_4arch9wavefront6targetE0EEEvT1_
; %bb.0:
	s_load_b256 s[36:43], s[0:1], 0x0
	s_mov_b32 s2, 0x411a7a30
	s_mov_b32 s8, s15
	s_delay_alu instid0(SALU_CYCLE_1) | instskip(SKIP_2) | instid1(SALU_CYCLE_1)
	s_mul_i32 s30, s8, 0xe80
	s_waitcnt lgkmcnt(0)
	s_lshl_b64 s[34:35], s[38:39], 2
	s_add_u32 s14, s36, s34
	s_addc_u32 s15, s37, s35
	s_add_u32 s2, 0x76, s2
	s_addc_u32 s3, 0, 0
	v_add_co_u32 v1, s2, 0x20000000, s2
	s_delay_alu instid0(VALU_DEP_1) | instskip(SKIP_1) | instid1(VALU_DEP_1)
	s_cmp_lg_u32 s2, 0
	s_addc_u32 s3, s3, 0x11a7b9
	v_readfirstlane_b32 s2, v1
	s_mul_i32 s4, s3, 0xfffff180
	s_delay_alu instid0(VALU_DEP_1)
	s_mul_hi_u32 s5, s2, 0xfffff180
	s_mul_i32 s6, s2, 0xfffff180
	s_sub_i32 s5, s5, s2
	s_mul_hi_u32 s7, s2, s6
	s_add_i32 s5, s5, s4
	s_mul_hi_u32 s9, s3, s6
	s_mul_i32 s4, s3, s6
	s_mul_hi_u32 s6, s2, s5
	s_mul_i32 s2, s2, s5
	s_mul_hi_u32 s10, s3, s5
	s_add_u32 s2, s7, s2
	s_addc_u32 s6, 0, s6
	s_add_u32 s2, s2, s4
	s_mul_i32 s5, s3, s5
	s_addc_u32 s2, s6, s9
	s_addc_u32 s4, s10, 0
	s_add_u32 s2, s2, s5
	s_addc_u32 s4, 0, s4
	v_add_co_u32 v1, s2, v1, s2
	s_delay_alu instid0(VALU_DEP_1) | instskip(SKIP_1) | instid1(VALU_DEP_1)
	s_cmp_lg_u32 s2, 0
	s_addc_u32 s2, s3, s4
	v_readfirstlane_b32 s3, v1
	s_mul_i32 s5, s42, s2
	s_mul_hi_u32 s4, s42, s2
	s_mul_hi_u32 s6, s43, s2
	s_mul_i32 s2, s43, s2
	s_mul_hi_u32 s7, s42, s3
	s_mul_hi_u32 s9, s43, s3
	s_mul_i32 s3, s43, s3
	s_add_u32 s5, s7, s5
	s_addc_u32 s4, 0, s4
	s_add_u32 s3, s5, s3
	s_addc_u32 s3, s4, s9
	s_addc_u32 s4, s6, 0
	s_add_u32 s5, s3, s2
	s_addc_u32 s4, 0, s4
	s_mul_i32 s3, s5, 0xe80
	s_add_u32 s2, s5, 1
	v_sub_co_u32 v1, s3, s42, s3
	s_mul_hi_u32 s6, s5, 0xe80
	s_addc_u32 s7, s4, 0
	s_mul_i32 s9, s4, 0xe80
	s_delay_alu instid0(VALU_DEP_1)
	v_subrev_co_u32 v2, s10, 0xe80, v1
	s_add_u32 s11, s5, 2
	s_addc_u32 s12, s4, 0
	s_add_i32 s6, s6, s9
	s_cmp_lg_u32 s3, 0
	v_readfirstlane_b32 s3, v2
	s_subb_u32 s6, s43, s6
	s_cmp_lg_u32 s10, 0
	s_subb_u32 s9, s6, 0
	s_delay_alu instid0(VALU_DEP_1) | instskip(SKIP_4) | instid1(SALU_CYCLE_1)
	s_cmpk_gt_u32 s3, 0xe7f
	s_cselect_b32 s3, -1, 0
	s_cmp_eq_u32 s9, 0
	v_readfirstlane_b32 s9, v1
	s_cselect_b32 s3, s3, -1
	s_cmp_lg_u32 s3, 0
	s_cselect_b32 s10, s11, s2
	s_cselect_b32 s7, s12, s7
	s_cmpk_gt_u32 s9, 0xe7f
	s_mov_b32 s12, -1
	s_cselect_b32 s2, -1, 0
	s_cmp_eq_u32 s6, 0
	s_cselect_b32 s2, s2, -1
	s_delay_alu instid0(SALU_CYCLE_1)
	s_cmp_lg_u32 s2, 0
	s_load_b128 s[0:3], s[0:1], 0x28
	s_cselect_b32 s6, s7, s4
	s_cselect_b32 s7, s10, s5
	s_mul_i32 s4, s6, 0xe80
	s_mul_hi_u32 s5, s7, 0xe80
	s_mul_i32 s9, s7, 0xe80
	s_add_i32 s5, s5, s4
	s_sub_u32 s4, s42, s9
	s_subb_u32 s5, s43, s5
	s_mov_b32 s9, 0
	s_cmp_lg_u64 s[4:5], 0
	s_cselect_b32 s4, -1, 0
	s_delay_alu instid0(SALU_CYCLE_1) | instskip(NEXT) | instid1(VALU_DEP_1)
	v_cndmask_b32_e64 v1, 0, 1, s4
	v_readfirstlane_b32 s4, v1
	s_delay_alu instid0(VALU_DEP_1)
	s_add_u32 s4, s7, s4
	s_addc_u32 s5, s6, 0
	s_waitcnt lgkmcnt(0)
	s_add_u32 s6, s2, s8
	s_addc_u32 s7, s3, 0
	s_add_u32 s10, s4, -1
	s_addc_u32 s11, s5, -1
	s_mul_i32 s29, s10, 0xfffff180
	v_cmp_ge_u64_e64 s33, s[6:7], s[10:11]
	s_delay_alu instid0(VALU_DEP_1)
	s_and_b32 vcc_lo, exec_lo, s33
	s_cbranch_vccz .LBB203_60
; %bb.1:
	s_mov_b32 s31, s9
	s_add_i32 s16, s29, s42
	s_lshl_b64 s[12:13], s[30:31], 2
	s_mov_b32 s17, exec_lo
	s_add_u32 s12, s14, s12
	s_addc_u32 s13, s15, s13
                                        ; implicit-def: $vgpr1
	v_cmpx_gt_u32_e64 s16, v0
	s_cbranch_execz .LBB203_3
; %bb.2:
	v_lshlrev_b32_e32 v1, 2, v0
	global_load_b32 v1, v1, s[12:13]
.LBB203_3:
	s_or_b32 exec_lo, exec_lo, s17
	v_or_b32_e32 v2, 0x80, v0
	s_delay_alu instid0(VALU_DEP_1)
	v_cmp_gt_u32_e32 vcc_lo, s16, v2
                                        ; implicit-def: $vgpr2
	s_and_saveexec_b32 s17, vcc_lo
	s_cbranch_execz .LBB203_5
; %bb.4:
	v_lshlrev_b32_e32 v2, 2, v0
	global_load_b32 v2, v2, s[12:13] offset:512
.LBB203_5:
	s_or_b32 exec_lo, exec_lo, s17
	v_or_b32_e32 v3, 0x100, v0
	s_delay_alu instid0(VALU_DEP_1)
	v_cmp_gt_u32_e32 vcc_lo, s16, v3
                                        ; implicit-def: $vgpr3
	s_and_saveexec_b32 s17, vcc_lo
	s_cbranch_execz .LBB203_7
; %bb.6:
	v_lshlrev_b32_e32 v3, 2, v0
	global_load_b32 v3, v3, s[12:13] offset:1024
.LBB203_7:
	s_or_b32 exec_lo, exec_lo, s17
	v_or_b32_e32 v4, 0x180, v0
	s_delay_alu instid0(VALU_DEP_1)
	v_cmp_gt_u32_e32 vcc_lo, s16, v4
                                        ; implicit-def: $vgpr4
	s_and_saveexec_b32 s17, vcc_lo
	s_cbranch_execz .LBB203_9
; %bb.8:
	v_lshlrev_b32_e32 v4, 2, v0
	global_load_b32 v4, v4, s[12:13] offset:1536
.LBB203_9:
	s_or_b32 exec_lo, exec_lo, s17
	v_or_b32_e32 v5, 0x200, v0
	s_delay_alu instid0(VALU_DEP_1)
	v_cmp_gt_u32_e32 vcc_lo, s16, v5
                                        ; implicit-def: $vgpr5
	s_and_saveexec_b32 s17, vcc_lo
	s_cbranch_execz .LBB203_11
; %bb.10:
	v_lshlrev_b32_e32 v5, 2, v0
	global_load_b32 v5, v5, s[12:13] offset:2048
.LBB203_11:
	s_or_b32 exec_lo, exec_lo, s17
	v_or_b32_e32 v6, 0x280, v0
	s_delay_alu instid0(VALU_DEP_1)
	v_cmp_gt_u32_e32 vcc_lo, s16, v6
                                        ; implicit-def: $vgpr6
	s_and_saveexec_b32 s17, vcc_lo
	s_cbranch_execz .LBB203_13
; %bb.12:
	v_lshlrev_b32_e32 v6, 2, v0
	global_load_b32 v6, v6, s[12:13] offset:2560
.LBB203_13:
	s_or_b32 exec_lo, exec_lo, s17
	v_or_b32_e32 v7, 0x300, v0
	s_delay_alu instid0(VALU_DEP_1)
	v_cmp_gt_u32_e32 vcc_lo, s16, v7
                                        ; implicit-def: $vgpr7
	s_and_saveexec_b32 s17, vcc_lo
	s_cbranch_execz .LBB203_15
; %bb.14:
	v_lshlrev_b32_e32 v7, 2, v0
	global_load_b32 v7, v7, s[12:13] offset:3072
.LBB203_15:
	s_or_b32 exec_lo, exec_lo, s17
	v_or_b32_e32 v8, 0x380, v0
	s_delay_alu instid0(VALU_DEP_1)
	v_cmp_gt_u32_e32 vcc_lo, s16, v8
                                        ; implicit-def: $vgpr8
	s_and_saveexec_b32 s17, vcc_lo
	s_cbranch_execz .LBB203_17
; %bb.16:
	v_lshlrev_b32_e32 v8, 2, v0
	global_load_b32 v8, v8, s[12:13] offset:3584
.LBB203_17:
	s_or_b32 exec_lo, exec_lo, s17
	v_or_b32_e32 v10, 0x400, v0
	s_mov_b32 s17, exec_lo
                                        ; implicit-def: $vgpr9
	s_delay_alu instid0(VALU_DEP_1)
	v_cmpx_gt_u32_e64 s16, v10
	s_cbranch_execz .LBB203_19
; %bb.18:
	v_lshlrev_b32_e32 v9, 2, v10
	global_load_b32 v9, v9, s[12:13]
.LBB203_19:
	s_or_b32 exec_lo, exec_lo, s17
	v_or_b32_e32 v11, 0x480, v0
	s_mov_b32 s17, exec_lo
                                        ; implicit-def: $vgpr10
	s_delay_alu instid0(VALU_DEP_1)
	v_cmpx_gt_u32_e64 s16, v11
	s_cbranch_execz .LBB203_21
; %bb.20:
	v_lshlrev_b32_e32 v10, 2, v11
	global_load_b32 v10, v10, s[12:13]
.LBB203_21:
	s_or_b32 exec_lo, exec_lo, s17
	v_or_b32_e32 v12, 0x500, v0
	s_mov_b32 s17, exec_lo
                                        ; implicit-def: $vgpr11
	s_delay_alu instid0(VALU_DEP_1)
	v_cmpx_gt_u32_e64 s16, v12
	s_cbranch_execz .LBB203_23
; %bb.22:
	v_lshlrev_b32_e32 v11, 2, v12
	global_load_b32 v11, v11, s[12:13]
.LBB203_23:
	s_or_b32 exec_lo, exec_lo, s17
	v_or_b32_e32 v13, 0x580, v0
	s_mov_b32 s17, exec_lo
                                        ; implicit-def: $vgpr12
	s_delay_alu instid0(VALU_DEP_1)
	v_cmpx_gt_u32_e64 s16, v13
	s_cbranch_execz .LBB203_25
; %bb.24:
	v_lshlrev_b32_e32 v12, 2, v13
	global_load_b32 v12, v12, s[12:13]
.LBB203_25:
	s_or_b32 exec_lo, exec_lo, s17
	v_or_b32_e32 v14, 0x600, v0
	s_mov_b32 s17, exec_lo
                                        ; implicit-def: $vgpr13
	s_delay_alu instid0(VALU_DEP_1)
	v_cmpx_gt_u32_e64 s16, v14
	s_cbranch_execz .LBB203_27
; %bb.26:
	v_lshlrev_b32_e32 v13, 2, v14
	global_load_b32 v13, v13, s[12:13]
.LBB203_27:
	s_or_b32 exec_lo, exec_lo, s17
	v_or_b32_e32 v15, 0x680, v0
	s_mov_b32 s17, exec_lo
                                        ; implicit-def: $vgpr14
	s_delay_alu instid0(VALU_DEP_1)
	v_cmpx_gt_u32_e64 s16, v15
	s_cbranch_execz .LBB203_29
; %bb.28:
	v_lshlrev_b32_e32 v14, 2, v15
	global_load_b32 v14, v14, s[12:13]
.LBB203_29:
	s_or_b32 exec_lo, exec_lo, s17
	v_or_b32_e32 v16, 0x700, v0
	s_mov_b32 s17, exec_lo
                                        ; implicit-def: $vgpr15
	s_delay_alu instid0(VALU_DEP_1)
	v_cmpx_gt_u32_e64 s16, v16
	s_cbranch_execz .LBB203_31
; %bb.30:
	v_lshlrev_b32_e32 v15, 2, v16
	global_load_b32 v15, v15, s[12:13]
.LBB203_31:
	s_or_b32 exec_lo, exec_lo, s17
	v_or_b32_e32 v17, 0x780, v0
	s_mov_b32 s17, exec_lo
                                        ; implicit-def: $vgpr16
	s_delay_alu instid0(VALU_DEP_1)
	v_cmpx_gt_u32_e64 s16, v17
	s_cbranch_execz .LBB203_33
; %bb.32:
	v_lshlrev_b32_e32 v16, 2, v17
	global_load_b32 v16, v16, s[12:13]
.LBB203_33:
	s_or_b32 exec_lo, exec_lo, s17
	v_or_b32_e32 v18, 0x800, v0
	s_mov_b32 s17, exec_lo
                                        ; implicit-def: $vgpr17
	s_delay_alu instid0(VALU_DEP_1)
	v_cmpx_gt_u32_e64 s16, v18
	s_cbranch_execz .LBB203_35
; %bb.34:
	v_lshlrev_b32_e32 v17, 2, v18
	global_load_b32 v17, v17, s[12:13]
.LBB203_35:
	s_or_b32 exec_lo, exec_lo, s17
	v_or_b32_e32 v19, 0x880, v0
	s_mov_b32 s17, exec_lo
                                        ; implicit-def: $vgpr18
	s_delay_alu instid0(VALU_DEP_1)
	v_cmpx_gt_u32_e64 s16, v19
	s_cbranch_execz .LBB203_37
; %bb.36:
	v_lshlrev_b32_e32 v18, 2, v19
	global_load_b32 v18, v18, s[12:13]
.LBB203_37:
	s_or_b32 exec_lo, exec_lo, s17
	v_or_b32_e32 v20, 0x900, v0
	s_mov_b32 s17, exec_lo
                                        ; implicit-def: $vgpr19
	s_delay_alu instid0(VALU_DEP_1)
	v_cmpx_gt_u32_e64 s16, v20
	s_cbranch_execz .LBB203_39
; %bb.38:
	v_lshlrev_b32_e32 v19, 2, v20
	global_load_b32 v19, v19, s[12:13]
.LBB203_39:
	s_or_b32 exec_lo, exec_lo, s17
	v_or_b32_e32 v21, 0x980, v0
	s_mov_b32 s17, exec_lo
                                        ; implicit-def: $vgpr20
	s_delay_alu instid0(VALU_DEP_1)
	v_cmpx_gt_u32_e64 s16, v21
	s_cbranch_execz .LBB203_41
; %bb.40:
	v_lshlrev_b32_e32 v20, 2, v21
	global_load_b32 v20, v20, s[12:13]
.LBB203_41:
	s_or_b32 exec_lo, exec_lo, s17
	v_or_b32_e32 v22, 0xa00, v0
	s_mov_b32 s17, exec_lo
                                        ; implicit-def: $vgpr21
	s_delay_alu instid0(VALU_DEP_1)
	v_cmpx_gt_u32_e64 s16, v22
	s_cbranch_execz .LBB203_43
; %bb.42:
	v_lshlrev_b32_e32 v21, 2, v22
	global_load_b32 v21, v21, s[12:13]
.LBB203_43:
	s_or_b32 exec_lo, exec_lo, s17
	v_or_b32_e32 v23, 0xa80, v0
	s_mov_b32 s17, exec_lo
                                        ; implicit-def: $vgpr22
	s_delay_alu instid0(VALU_DEP_1)
	v_cmpx_gt_u32_e64 s16, v23
	s_cbranch_execz .LBB203_45
; %bb.44:
	v_lshlrev_b32_e32 v22, 2, v23
	global_load_b32 v22, v22, s[12:13]
.LBB203_45:
	s_or_b32 exec_lo, exec_lo, s17
	v_or_b32_e32 v24, 0xb00, v0
	s_mov_b32 s17, exec_lo
                                        ; implicit-def: $vgpr23
	s_delay_alu instid0(VALU_DEP_1)
	v_cmpx_gt_u32_e64 s16, v24
	s_cbranch_execz .LBB203_47
; %bb.46:
	v_lshlrev_b32_e32 v23, 2, v24
	global_load_b32 v23, v23, s[12:13]
.LBB203_47:
	s_or_b32 exec_lo, exec_lo, s17
	v_or_b32_e32 v25, 0xb80, v0
	s_mov_b32 s17, exec_lo
                                        ; implicit-def: $vgpr24
	s_delay_alu instid0(VALU_DEP_1)
	v_cmpx_gt_u32_e64 s16, v25
	s_cbranch_execz .LBB203_49
; %bb.48:
	v_lshlrev_b32_e32 v24, 2, v25
	global_load_b32 v24, v24, s[12:13]
.LBB203_49:
	s_or_b32 exec_lo, exec_lo, s17
	v_or_b32_e32 v26, 0xc00, v0
	s_mov_b32 s17, exec_lo
                                        ; implicit-def: $vgpr25
	s_delay_alu instid0(VALU_DEP_1)
	v_cmpx_gt_u32_e64 s16, v26
	s_cbranch_execz .LBB203_51
; %bb.50:
	v_lshlrev_b32_e32 v25, 2, v26
	global_load_b32 v25, v25, s[12:13]
.LBB203_51:
	s_or_b32 exec_lo, exec_lo, s17
	v_or_b32_e32 v27, 0xc80, v0
	s_mov_b32 s17, exec_lo
                                        ; implicit-def: $vgpr26
	s_delay_alu instid0(VALU_DEP_1)
	v_cmpx_gt_u32_e64 s16, v27
	s_cbranch_execz .LBB203_53
; %bb.52:
	v_lshlrev_b32_e32 v26, 2, v27
	global_load_b32 v26, v26, s[12:13]
.LBB203_53:
	s_or_b32 exec_lo, exec_lo, s17
	v_or_b32_e32 v28, 0xd00, v0
	s_mov_b32 s17, exec_lo
                                        ; implicit-def: $vgpr27
	s_delay_alu instid0(VALU_DEP_1)
	v_cmpx_gt_u32_e64 s16, v28
	s_cbranch_execz .LBB203_55
; %bb.54:
	v_lshlrev_b32_e32 v27, 2, v28
	global_load_b32 v27, v27, s[12:13]
.LBB203_55:
	s_or_b32 exec_lo, exec_lo, s17
	v_or_b32_e32 v29, 0xd80, v0
	s_mov_b32 s17, exec_lo
                                        ; implicit-def: $vgpr28
	s_delay_alu instid0(VALU_DEP_1)
	v_cmpx_gt_u32_e64 s16, v29
	s_cbranch_execz .LBB203_57
; %bb.56:
	v_lshlrev_b32_e32 v28, 2, v29
	global_load_b32 v28, v28, s[12:13]
.LBB203_57:
	s_or_b32 exec_lo, exec_lo, s17
	v_or_b32_e32 v30, 0xe00, v0
                                        ; implicit-def: $vgpr29
	s_delay_alu instid0(VALU_DEP_1)
	v_cmp_gt_u32_e32 vcc_lo, s16, v30
	s_and_saveexec_b32 s16, vcc_lo
	s_cbranch_execz .LBB203_59
; %bb.58:
	v_lshlrev_b32_e32 v29, 2, v30
	global_load_b32 v29, v29, s[12:13]
.LBB203_59:
	s_or_b32 exec_lo, exec_lo, s16
	v_lshlrev_b32_e32 v30, 2, v0
	s_mov_b32 s12, 0
	s_waitcnt vmcnt(0)
	ds_store_2addr_stride64_b32 v30, v1, v2 offset1:2
	ds_store_2addr_stride64_b32 v30, v3, v4 offset0:4 offset1:6
	ds_store_2addr_stride64_b32 v30, v5, v6 offset0:8 offset1:10
	;; [unrolled: 1-line block ×13, first 2 shown]
	ds_store_b32 v30, v29 offset:14336
	s_waitcnt lgkmcnt(0)
	s_barrier
.LBB203_60:
	v_lshlrev_b32_e32 v31, 2, v0
	s_and_b32 vcc_lo, exec_lo, s12
	s_cbranch_vccz .LBB203_62
; %bb.61:
	s_mov_b32 s31, 0
	s_delay_alu instid0(SALU_CYCLE_1) | instskip(NEXT) | instid1(SALU_CYCLE_1)
	s_lshl_b64 s[12:13], s[30:31], 2
	s_add_u32 s12, s14, s12
	s_addc_u32 s13, s15, s13
	v_add_co_u32 v7, s14, s12, v31
	s_delay_alu instid0(VALU_DEP_1)
	v_add_co_ci_u32_e64 v8, null, s13, 0, s14
	s_clause 0x6
	global_load_b32 v9, v31, s[12:13] offset:512
	global_load_b32 v10, v31, s[12:13] offset:1024
	;; [unrolled: 1-line block ×7, first 2 shown]
	v_add_co_u32 v1, vcc_lo, v7, 0x2000
	v_add_co_ci_u32_e32 v2, vcc_lo, 0, v8, vcc_lo
	v_add_co_u32 v3, vcc_lo, 0x1000, v7
	v_add_co_ci_u32_e32 v4, vcc_lo, 0, v8, vcc_lo
	;; [unrolled: 2-line block ×3, first 2 shown]
	s_clause 0xa
	global_load_b32 v16, v[1:2], off offset:-4096
	global_load_b32 v17, v31, s[12:13]
	global_load_b32 v18, v[1:2], off
	global_load_b32 v19, v[3:4], off offset:512
	global_load_b32 v20, v[3:4], off offset:1024
	;; [unrolled: 1-line block ×8, first 2 shown]
	v_add_co_u32 v1, vcc_lo, 0x3000, v7
	v_add_co_ci_u32_e32 v2, vcc_lo, 0, v8, vcc_lo
	s_clause 0xa
	global_load_b32 v7, v[5:6], off offset:1024
	global_load_b32 v8, v[5:6], off offset:1536
	;; [unrolled: 1-line block ×6, first 2 shown]
	global_load_b32 v6, v[1:2], off
	global_load_b32 v28, v[1:2], off offset:512
	global_load_b32 v29, v[1:2], off offset:1024
	;; [unrolled: 1-line block ×4, first 2 shown]
	s_waitcnt vmcnt(20)
	ds_store_2addr_stride64_b32 v31, v17, v9 offset1:2
	ds_store_2addr_stride64_b32 v31, v10, v11 offset0:4 offset1:6
	ds_store_2addr_stride64_b32 v31, v12, v13 offset0:8 offset1:10
	;; [unrolled: 1-line block ×3, first 2 shown]
	s_waitcnt vmcnt(18)
	ds_store_2addr_stride64_b32 v31, v16, v19 offset0:16 offset1:18
	s_waitcnt vmcnt(16)
	ds_store_2addr_stride64_b32 v31, v20, v21 offset0:20 offset1:22
	s_waitcnt vmcnt(14)
	ds_store_2addr_stride64_b32 v31, v22, v23 offset0:24 offset1:26
	s_waitcnt vmcnt(12)
	ds_store_2addr_stride64_b32 v31, v24, v3 offset0:28 offset1:30
	s_waitcnt vmcnt(11)
	ds_store_2addr_stride64_b32 v31, v18, v4 offset0:32 offset1:34
	s_waitcnt vmcnt(9)
	ds_store_2addr_stride64_b32 v31, v7, v8 offset0:36 offset1:38
	s_waitcnt vmcnt(7)
	ds_store_2addr_stride64_b32 v31, v25, v26 offset0:40 offset1:42
	s_waitcnt vmcnt(5)
	ds_store_2addr_stride64_b32 v31, v27, v5 offset0:44 offset1:46
	s_waitcnt vmcnt(3)
	ds_store_2addr_stride64_b32 v31, v6, v28 offset0:48 offset1:50
	s_waitcnt vmcnt(1)
	ds_store_2addr_stride64_b32 v31, v29, v30 offset0:52 offset1:54
	s_waitcnt vmcnt(0)
	ds_store_b32 v31, v1 offset:14336
	s_waitcnt lgkmcnt(0)
	s_barrier
.LBB203_62:
	v_mul_u32_u24_e32 v1, 29, v0
	buffer_gl0_inv
	s_cmp_eq_u64 s[6:7], 0
	v_lshlrev_b32_e32 v27, 2, v1
	ds_load_b32 v29, v27 offset:112
	ds_load_2addr_b32 v[1:2], v27 offset0:26 offset1:27
	ds_load_2addr_b32 v[3:4], v27 offset0:24 offset1:25
	ds_load_2addr_b32 v[5:6], v27 offset1:1
	ds_load_2addr_b32 v[7:8], v27 offset0:2 offset1:3
	ds_load_2addr_b32 v[9:10], v27 offset0:4 offset1:5
	;; [unrolled: 1-line block ×11, first 2 shown]
	s_waitcnt lgkmcnt(0)
	s_barrier
	buffer_gl0_inv
	s_cbranch_scc1 .LBB203_67
; %bb.63:
	s_lshl_b64 s[2:3], s[2:3], 2
	s_delay_alu instid0(SALU_CYCLE_1) | instskip(SKIP_2) | instid1(SALU_CYCLE_1)
	s_add_u32 s2, s0, s2
	s_addc_u32 s3, s1, s3
	s_lshl_b64 s[0:1], s[8:9], 2
	s_add_u32 s0, s2, s0
	s_addc_u32 s1, s3, s1
	s_add_u32 s0, s0, -4
	s_addc_u32 s1, s1, -1
	s_cmp_eq_u64 s[6:7], s[10:11]
	s_load_b32 s0, s[0:1], 0x0
	s_cbranch_scc1 .LBB203_68
; %bb.64:
	s_waitcnt lgkmcnt(0)
	v_mov_b32_e32 v30, s0
	s_mov_b32 s1, 0
	s_mov_b32 s2, exec_lo
	ds_store_b32 v31, v29
	s_waitcnt lgkmcnt(0)
	s_barrier
	buffer_gl0_inv
	v_cmpx_ne_u32_e32 0, v0
	s_cbranch_execz .LBB203_66
; %bb.65:
	v_add_nc_u32_e32 v30, -4, v31
	ds_load_b32 v30, v30
.LBB203_66:
	s_or_b32 exec_lo, exec_lo, s2
	s_waitcnt lgkmcnt(0)
	v_add_nc_u32_e32 v32, v30, v5
	s_branch .LBB203_69
.LBB203_67:
                                        ; implicit-def: $vgpr32
                                        ; implicit-def: $vgpr34
                                        ; implicit-def: $vgpr35
                                        ; implicit-def: $vgpr36
                                        ; implicit-def: $vgpr37
                                        ; implicit-def: $vgpr38
                                        ; implicit-def: $vgpr39
                                        ; implicit-def: $vgpr40
                                        ; implicit-def: $vgpr41
                                        ; implicit-def: $vgpr42
                                        ; implicit-def: $vgpr43
                                        ; implicit-def: $vgpr45
                                        ; implicit-def: $vgpr46
                                        ; implicit-def: $vgpr49
                                        ; implicit-def: $vgpr50
                                        ; implicit-def: $vgpr52
                                        ; implicit-def: $vgpr53
                                        ; implicit-def: $vgpr54
                                        ; implicit-def: $vgpr55
                                        ; implicit-def: $vgpr56
                                        ; implicit-def: $vgpr57
                                        ; implicit-def: $vgpr58
                                        ; implicit-def: $vgpr59
                                        ; implicit-def: $vgpr51
                                        ; implicit-def: $vgpr44
                                        ; implicit-def: $vgpr47
                                        ; implicit-def: $vgpr48
                                        ; implicit-def: $vgpr30
                                        ; implicit-def: $vgpr33
	s_branch .LBB203_74
.LBB203_68:
	s_mov_b32 s1, -1
                                        ; implicit-def: $vgpr32
.LBB203_69:
	v_dual_mov_b32 v34, v5 :: v_dual_mov_b32 v35, v6
	v_dual_mov_b32 v36, v7 :: v_dual_mov_b32 v37, v8
	;; [unrolled: 1-line block ×14, first 2 shown]
	s_and_b32 vcc_lo, exec_lo, s1
	s_cbranch_vccz .LBB203_73
; %bb.70:
	v_mul_u32_u24_e32 v32, 29, v0
	s_waitcnt lgkmcnt(0)
	v_mov_b32_e32 v34, s0
	s_mov_b32 s0, exec_lo
	ds_store_b32 v31, v29
	s_waitcnt lgkmcnt(0)
	s_barrier
	buffer_gl0_inv
	v_cmpx_ne_u32_e32 0, v0
	s_cbranch_execz .LBB203_72
; %bb.71:
	v_add_nc_u32_e32 v30, -4, v31
	ds_load_b32 v34, v30
.LBB203_72:
	s_or_b32 exec_lo, exec_lo, s0
	v_add_nc_u32_e32 v30, 28, v32
	s_mul_i32 s0, s6, 0xfffff180
	v_add_nc_u32_e32 v35, 27, v32
	s_add_i32 s0, s0, s42
	v_add_nc_u32_e32 v36, 26, v32
	v_cmp_gt_u32_e32 vcc_lo, s0, v30
	v_add_nc_u32_e32 v37, 24, v32
	v_add_nc_u32_e32 v60, 2, v32
	;; [unrolled: 1-line block ×3, first 2 shown]
	v_cndmask_b32_e32 v33, 0, v2, vcc_lo
	v_cmp_gt_u32_e32 vcc_lo, s0, v35
	v_dual_cndmask_b32 v30, 0, v1 :: v_dual_add_nc_u32 v35, 25, v32
	v_cmp_gt_u32_e32 vcc_lo, s0, v36
	v_add_nc_u32_e32 v36, 23, v32
	v_cndmask_b32_e32 v48, 0, v4, vcc_lo
	s_delay_alu instid0(VALU_DEP_4)
	v_cmp_gt_u32_e32 vcc_lo, s0, v35
	v_add_nc_u32_e32 v35, 22, v32
	v_cndmask_b32_e32 v47, 0, v3, vcc_lo
	v_cmp_gt_u32_e32 vcc_lo, s0, v37
	v_add_nc_u32_e32 v37, 20, v32
	v_cndmask_b32_e32 v44, 0, v28, vcc_lo
	v_cmp_gt_u32_e32 vcc_lo, s0, v36
	v_dual_cndmask_b32 v51, 0, v27 :: v_dual_add_nc_u32 v36, 21, v32
	v_cmp_gt_u32_e32 vcc_lo, s0, v35
	v_add_nc_u32_e32 v35, 19, v32
	v_cndmask_b32_e32 v59, 0, v26, vcc_lo
	s_delay_alu instid0(VALU_DEP_4)
	v_cmp_gt_u32_e32 vcc_lo, s0, v36
	v_add_nc_u32_e32 v36, 18, v32
	v_cndmask_b32_e32 v58, 0, v25, vcc_lo
	v_cmp_gt_u32_e32 vcc_lo, s0, v37
	v_add_nc_u32_e32 v37, 16, v32
	v_cndmask_b32_e32 v57, 0, v24, vcc_lo
	v_cmp_gt_u32_e32 vcc_lo, s0, v35
	v_dual_cndmask_b32 v56, 0, v23 :: v_dual_add_nc_u32 v35, 17, v32
	v_cmp_gt_u32_e32 vcc_lo, s0, v36
	v_dual_cndmask_b32 v55, 0, v22 :: v_dual_add_nc_u32 v36, 15, v32
	s_delay_alu instid0(VALU_DEP_3)
	v_cmp_gt_u32_e32 vcc_lo, s0, v35
	v_dual_cndmask_b32 v54, 0, v21 :: v_dual_add_nc_u32 v35, 14, v32
	v_cmp_gt_u32_e32 vcc_lo, s0, v37
	v_add_nc_u32_e32 v37, 12, v32
	v_cndmask_b32_e32 v53, 0, v20, vcc_lo
	v_cmp_gt_u32_e32 vcc_lo, s0, v36
	v_add_nc_u32_e32 v36, 13, v32
	v_cndmask_b32_e32 v52, 0, v19, vcc_lo
	v_cmp_gt_u32_e32 vcc_lo, s0, v35
	v_dual_cndmask_b32 v50, 0, v18 :: v_dual_add_nc_u32 v35, 11, v32
	s_delay_alu instid0(VALU_DEP_4)
	v_cmp_gt_u32_e32 vcc_lo, s0, v36
	v_dual_cndmask_b32 v49, 0, v17 :: v_dual_add_nc_u32 v36, 10, v32
	v_cmp_gt_u32_e32 vcc_lo, s0, v37
	v_add_nc_u32_e32 v37, 8, v32
	v_cndmask_b32_e32 v46, 0, v16, vcc_lo
	v_cmp_gt_u32_e32 vcc_lo, s0, v35
	v_add_nc_u32_e32 v35, 9, v32
	v_cndmask_b32_e32 v45, 0, v15, vcc_lo
	v_cmp_gt_u32_e32 vcc_lo, s0, v36
	v_dual_cndmask_b32 v43, 0, v14 :: v_dual_add_nc_u32 v36, 7, v32
	s_delay_alu instid0(VALU_DEP_4)
	v_cmp_gt_u32_e32 vcc_lo, s0, v35
	v_dual_cndmask_b32 v42, 0, v13 :: v_dual_add_nc_u32 v35, 6, v32
	v_cmp_gt_u32_e32 vcc_lo, s0, v37
	v_add_nc_u32_e32 v37, 4, v32
	v_cndmask_b32_e32 v41, 0, v12, vcc_lo
	v_cmp_gt_u32_e32 vcc_lo, s0, v36
	v_add_nc_u32_e32 v36, 5, v32
	v_cndmask_b32_e32 v40, 0, v11, vcc_lo
	;; [unrolled: 3-line block ×3, first 2 shown]
	v_cmp_gt_u32_e32 vcc_lo, s0, v36
	v_cndmask_b32_e32 v38, 0, v9, vcc_lo
	v_cmp_gt_u32_e32 vcc_lo, s0, v37
	v_cndmask_b32_e32 v37, 0, v8, vcc_lo
	;; [unrolled: 2-line block ×3, first 2 shown]
	v_cmp_gt_u32_e32 vcc_lo, s0, v32
	s_waitcnt lgkmcnt(0)
	v_cndmask_b32_e32 v32, 0, v34, vcc_lo
	v_cmp_gt_u32_e32 vcc_lo, s0, v60
	s_delay_alu instid0(VALU_DEP_2)
	v_dual_cndmask_b32 v35, 0, v6 :: v_dual_add_nc_u32 v32, v32, v5
	v_cmp_gt_u32_e32 vcc_lo, s0, v61
	v_cndmask_b32_e32 v34, 0, v5, vcc_lo
.LBB203_73:
	s_waitcnt lgkmcnt(0)
	s_cbranch_execnz .LBB203_84
.LBB203_74:
	v_cmp_ne_u32_e32 vcc_lo, 0, v0
	s_cmp_eq_u64 s[4:5], 1
	s_cbranch_scc1 .LBB203_78
; %bb.75:
	v_mov_b32_e32 v32, v5
	s_mov_b32 s0, 0
	ds_store_b32 v31, v29
	s_waitcnt lgkmcnt(0)
	s_barrier
	buffer_gl0_inv
	s_and_saveexec_b32 s1, vcc_lo
	s_cbranch_execz .LBB203_77
; %bb.76:
	v_add_nc_u32_e32 v30, -4, v31
	ds_load_b32 v30, v30
	s_waitcnt lgkmcnt(0)
	v_add_nc_u32_e32 v32, v30, v5
.LBB203_77:
	s_or_b32 exec_lo, exec_lo, s1
	s_branch .LBB203_79
.LBB203_78:
	s_mov_b32 s0, -1
                                        ; implicit-def: $vgpr32
.LBB203_79:
	v_dual_mov_b32 v35, v6 :: v_dual_mov_b32 v36, v7
	v_dual_mov_b32 v37, v8 :: v_dual_mov_b32 v38, v9
	;; [unrolled: 1-line block ×13, first 2 shown]
	v_mov_b32_e32 v33, v2
	s_and_not1_b32 vcc_lo, exec_lo, s0
	s_cbranch_vccnz .LBB203_83
; %bb.80:
	v_mad_u32_u24 v30, v0, 29, 28
	v_mad_u32_u24 v32, v0, 29, 27
	;; [unrolled: 1-line block ×4, first 2 shown]
	v_mul_u32_u24_e32 v33, 29, v0
	v_cmp_gt_u32_e32 vcc_lo, s42, v30
	v_mad_u32_u24 v30, v0, 29, 25
	v_cmp_gt_u32_e64 s0, s42, v32
	v_mad_u32_u24 v32, v0, 29, 24
	v_cmp_gt_u32_e64 s1, s42, v34
	;; [unrolled: 2-line block ×5, first 2 shown]
	v_cmp_gt_u32_e64 s5, s42, v35
	v_cmp_gt_u32_e64 s6, s42, v30
	v_mad_u32_u24 v30, v0, 29, 18
	v_cmp_gt_u32_e64 s7, s42, v32
	v_mad_u32_u24 v32, v0, 29, 16
	v_mad_u32_u24 v34, v0, 29, 19
	;; [unrolled: 1-line block ×3, first 2 shown]
	v_cmp_gt_u32_e64 s9, s42, v30
	v_mad_u32_u24 v30, v0, 29, 15
	v_cmp_gt_u32_e64 s11, s42, v32
	v_mad_u32_u24 v32, v0, 29, 13
	v_cmp_gt_u32_e64 s8, s42, v34
	v_cmp_gt_u32_e64 s10, s42, v35
	;; [unrolled: 1-line block ×3, first 2 shown]
	v_mad_u32_u24 v30, v0, 29, 11
	v_mad_u32_u24 v34, v0, 29, 14
	;; [unrolled: 1-line block ×3, first 2 shown]
	v_cmp_gt_u32_e64 s14, s42, v32
	v_mad_u32_u24 v32, v0, 29, 10
	v_cmp_gt_u32_e64 s16, s42, v30
	v_mad_u32_u24 v30, v0, 29, 8
	v_cmp_gt_u32_e64 s13, s42, v34
	v_cmp_gt_u32_e64 s15, s42, v35
	v_mad_u32_u24 v34, v0, 29, 9
	v_mad_u32_u24 v35, v0, 29, 7
	v_cmp_gt_u32_e64 s17, s42, v32
	v_mad_u32_u24 v32, v0, 29, 6
	v_cmp_gt_u32_e64 s19, s42, v30
	;; [unrolled: 2-line block ×3, first 2 shown]
	v_cmp_gt_u32_e64 s20, s42, v35
	v_mad_u32_u24 v34, v0, 29, 4
	v_cmp_gt_u32_e64 s21, s42, v32
	v_mad_u32_u24 v32, v0, 29, 3
	v_mad_u32_u24 v35, v0, 29, 2
	v_cmp_gt_u32_e64 s22, s42, v30
	v_mad_u32_u24 v30, v0, 29, 1
	v_cmp_ne_u32_e64 s27, 0, v0
	v_cmp_gt_u32_e64 s28, s42, v33
	v_cmp_gt_u32_e64 s23, s42, v34
	;; [unrolled: 1-line block ×5, first 2 shown]
	v_mov_b32_e32 v32, v5
	s_and_b32 s28, s27, s28
	ds_store_b32 v31, v29
	s_waitcnt lgkmcnt(0)
	s_barrier
	buffer_gl0_inv
	s_and_saveexec_b32 s27, s28
	s_cbranch_execz .LBB203_82
; %bb.81:
	v_add_nc_u32_e32 v30, -4, v31
	ds_load_b32 v30, v30
	s_waitcnt lgkmcnt(0)
	v_add_nc_u32_e32 v32, v30, v5
.LBB203_82:
	s_or_b32 exec_lo, exec_lo, s27
	v_cndmask_b32_e32 v33, 0, v2, vcc_lo
	v_cndmask_b32_e64 v30, 0, v1, s0
	v_cndmask_b32_e64 v48, 0, v4, s1
	;; [unrolled: 1-line block ×27, first 2 shown]
.LBB203_83:
	s_delay_alu instid0(VALU_DEP_1)
	v_mov_b32_e32 v34, v5
.LBB203_84:
	s_delay_alu instid0(VALU_DEP_2) | instskip(NEXT) | instid1(VALU_DEP_2)
	v_add_nc_u32_e32 v33, v33, v29
	v_add_nc_u32_e32 v34, v34, v6
	;; [unrolled: 1-line block ×28, first 2 shown]
	v_mul_u32_u24_e32 v61, 0x74, v0
	v_mul_i32_i24_e32 v62, 0xffffff90, v0
	s_add_u32 s1, s40, s34
	s_addc_u32 s0, s41, s35
	s_and_b32 vcc_lo, exec_lo, s33
	s_barrier
	buffer_gl0_inv
	s_cbranch_vccz .LBB203_142
; %bb.85:
	v_mad_u32_u24 v1, 0x74, v0, v62
	ds_store_2addr_b32 v61, v32, v34 offset1:1
	ds_store_2addr_b32 v61, v35, v36 offset0:2 offset1:3
	ds_store_2addr_b32 v61, v37, v38 offset0:4 offset1:5
	;; [unrolled: 1-line block ×13, first 2 shown]
	ds_store_b32 v61, v33 offset:112
	s_waitcnt lgkmcnt(0)
	s_barrier
	buffer_gl0_inv
	ds_load_2addr_stride64_b32 v[29:30], v1 offset0:2 offset1:4
	ds_load_2addr_stride64_b32 v[27:28], v1 offset0:6 offset1:8
	;; [unrolled: 1-line block ×14, first 2 shown]
	s_mov_b32 s31, 0
	s_add_i32 s29, s29, s42
	s_lshl_b64 s[2:3], s[30:31], 2
	s_delay_alu instid0(SALU_CYCLE_1) | instskip(SKIP_2) | instid1(VALU_DEP_1)
	s_add_u32 s2, s1, s2
	s_addc_u32 s3, s0, s3
	v_add_co_u32 v3, s2, s2, v31
	v_add_co_ci_u32_e64 v4, null, s3, 0, s2
	s_mov_b32 s2, exec_lo
	v_cmpx_gt_u32_e64 s29, v0
	s_cbranch_execz .LBB203_87
; %bb.86:
	v_add_nc_u32_e32 v63, v61, v62
	ds_load_b32 v63, v63
	s_waitcnt lgkmcnt(0)
	global_store_b32 v[3:4], v63, off
.LBB203_87:
	s_or_b32 exec_lo, exec_lo, s2
	v_or_b32_e32 v63, 0x80, v0
	s_mov_b32 s2, exec_lo
	s_delay_alu instid0(VALU_DEP_1)
	v_cmpx_gt_u32_e64 s29, v63
	s_cbranch_execz .LBB203_89
; %bb.88:
	s_waitcnt lgkmcnt(13)
	global_store_b32 v[3:4], v29, off offset:512
.LBB203_89:
	s_or_b32 exec_lo, exec_lo, s2
	s_waitcnt lgkmcnt(13)
	v_or_b32_e32 v29, 0x100, v0
	s_mov_b32 s2, exec_lo
	s_delay_alu instid0(VALU_DEP_1)
	v_cmpx_gt_u32_e64 s29, v29
	s_cbranch_execz .LBB203_91
; %bb.90:
	global_store_b32 v[3:4], v30, off offset:1024
.LBB203_91:
	s_or_b32 exec_lo, exec_lo, s2
	v_or_b32_e32 v29, 0x180, v0
	s_mov_b32 s2, exec_lo
	s_delay_alu instid0(VALU_DEP_1)
	v_cmpx_gt_u32_e64 s29, v29
	s_cbranch_execz .LBB203_93
; %bb.92:
	s_waitcnt lgkmcnt(12)
	global_store_b32 v[3:4], v27, off offset:1536
.LBB203_93:
	s_or_b32 exec_lo, exec_lo, s2
	s_waitcnt lgkmcnt(12)
	v_or_b32_e32 v27, 0x200, v0
	s_mov_b32 s2, exec_lo
	s_delay_alu instid0(VALU_DEP_1)
	v_cmpx_gt_u32_e64 s29, v27
	s_cbranch_execz .LBB203_95
; %bb.94:
	global_store_b32 v[3:4], v28, off offset:2048
.LBB203_95:
	;; [unrolled: 20-line block ×3, first 2 shown]
	s_or_b32 exec_lo, exec_lo, s2
	v_or_b32_e32 v25, 0x380, v0
	s_mov_b32 s2, exec_lo
	s_delay_alu instid0(VALU_DEP_1)
	v_cmpx_gt_u32_e64 s29, v25
	s_cbranch_execz .LBB203_101
; %bb.100:
	s_waitcnt lgkmcnt(10)
	global_store_b32 v[3:4], v23, off offset:3584
.LBB203_101:
	s_or_b32 exec_lo, exec_lo, s2
	s_waitcnt lgkmcnt(10)
	v_or_b32_e32 v23, 0x400, v0
	s_mov_b32 s2, exec_lo
	s_delay_alu instid0(VALU_DEP_1)
	v_cmpx_gt_u32_e64 s29, v23
	s_cbranch_execz .LBB203_103
; %bb.102:
	v_add_co_u32 v25, vcc_lo, 0x1000, v3
	v_add_co_ci_u32_e32 v26, vcc_lo, 0, v4, vcc_lo
	global_store_b32 v[25:26], v24, off
.LBB203_103:
	s_or_b32 exec_lo, exec_lo, s2
	v_or_b32_e32 v23, 0x480, v0
	s_mov_b32 s2, exec_lo
	s_delay_alu instid0(VALU_DEP_1)
	v_cmpx_gt_u32_e64 s29, v23
	s_cbranch_execz .LBB203_105
; %bb.104:
	v_add_co_u32 v23, vcc_lo, 0x1000, v3
	v_add_co_ci_u32_e32 v24, vcc_lo, 0, v4, vcc_lo
	s_waitcnt lgkmcnt(9)
	global_store_b32 v[23:24], v21, off offset:512
.LBB203_105:
	s_or_b32 exec_lo, exec_lo, s2
	s_waitcnt lgkmcnt(9)
	v_or_b32_e32 v21, 0x500, v0
	s_mov_b32 s2, exec_lo
	s_delay_alu instid0(VALU_DEP_1)
	v_cmpx_gt_u32_e64 s29, v21
	s_cbranch_execz .LBB203_107
; %bb.106:
	v_add_co_u32 v23, vcc_lo, 0x1000, v3
	v_add_co_ci_u32_e32 v24, vcc_lo, 0, v4, vcc_lo
	global_store_b32 v[23:24], v22, off offset:1024
.LBB203_107:
	s_or_b32 exec_lo, exec_lo, s2
	v_or_b32_e32 v21, 0x580, v0
	s_mov_b32 s2, exec_lo
	s_delay_alu instid0(VALU_DEP_1)
	v_cmpx_gt_u32_e64 s29, v21
	s_cbranch_execz .LBB203_109
; %bb.108:
	v_add_co_u32 v21, vcc_lo, 0x1000, v3
	v_add_co_ci_u32_e32 v22, vcc_lo, 0, v4, vcc_lo
	s_waitcnt lgkmcnt(8)
	global_store_b32 v[21:22], v19, off offset:1536
.LBB203_109:
	s_or_b32 exec_lo, exec_lo, s2
	s_waitcnt lgkmcnt(8)
	v_or_b32_e32 v19, 0x600, v0
	s_mov_b32 s2, exec_lo
	s_delay_alu instid0(VALU_DEP_1)
	v_cmpx_gt_u32_e64 s29, v19
	s_cbranch_execz .LBB203_111
; %bb.110:
	v_add_co_u32 v21, vcc_lo, 0x1000, v3
	v_add_co_ci_u32_e32 v22, vcc_lo, 0, v4, vcc_lo
	global_store_b32 v[21:22], v20, off offset:2048
.LBB203_111:
	;; [unrolled: 24-line block ×3, first 2 shown]
	s_or_b32 exec_lo, exec_lo, s2
	v_or_b32_e32 v17, 0x780, v0
	s_mov_b32 s2, exec_lo
	s_delay_alu instid0(VALU_DEP_1)
	v_cmpx_gt_u32_e64 s29, v17
	s_cbranch_execz .LBB203_117
; %bb.116:
	v_add_co_u32 v17, vcc_lo, 0x1000, v3
	v_add_co_ci_u32_e32 v18, vcc_lo, 0, v4, vcc_lo
	s_waitcnt lgkmcnt(6)
	global_store_b32 v[17:18], v15, off offset:3584
.LBB203_117:
	s_or_b32 exec_lo, exec_lo, s2
	s_waitcnt lgkmcnt(6)
	v_or_b32_e32 v15, 0x800, v0
	s_mov_b32 s2, exec_lo
	s_delay_alu instid0(VALU_DEP_1)
	v_cmpx_gt_u32_e64 s29, v15
	s_cbranch_execz .LBB203_119
; %bb.118:
	v_add_co_u32 v17, vcc_lo, 0x2000, v3
	v_add_co_ci_u32_e32 v18, vcc_lo, 0, v4, vcc_lo
	global_store_b32 v[17:18], v16, off
.LBB203_119:
	s_or_b32 exec_lo, exec_lo, s2
	v_or_b32_e32 v15, 0x880, v0
	s_mov_b32 s2, exec_lo
	s_delay_alu instid0(VALU_DEP_1)
	v_cmpx_gt_u32_e64 s29, v15
	s_cbranch_execz .LBB203_121
; %bb.120:
	v_add_co_u32 v15, vcc_lo, 0x2000, v3
	v_add_co_ci_u32_e32 v16, vcc_lo, 0, v4, vcc_lo
	s_waitcnt lgkmcnt(5)
	global_store_b32 v[15:16], v13, off offset:512
.LBB203_121:
	s_or_b32 exec_lo, exec_lo, s2
	s_waitcnt lgkmcnt(5)
	v_or_b32_e32 v13, 0x900, v0
	s_mov_b32 s2, exec_lo
	s_delay_alu instid0(VALU_DEP_1)
	v_cmpx_gt_u32_e64 s29, v13
	s_cbranch_execz .LBB203_123
; %bb.122:
	v_add_co_u32 v15, vcc_lo, 0x2000, v3
	v_add_co_ci_u32_e32 v16, vcc_lo, 0, v4, vcc_lo
	global_store_b32 v[15:16], v14, off offset:1024
.LBB203_123:
	s_or_b32 exec_lo, exec_lo, s2
	v_or_b32_e32 v13, 0x980, v0
	s_mov_b32 s2, exec_lo
	s_delay_alu instid0(VALU_DEP_1)
	v_cmpx_gt_u32_e64 s29, v13
	s_cbranch_execz .LBB203_125
; %bb.124:
	v_add_co_u32 v13, vcc_lo, 0x2000, v3
	v_add_co_ci_u32_e32 v14, vcc_lo, 0, v4, vcc_lo
	s_waitcnt lgkmcnt(4)
	global_store_b32 v[13:14], v11, off offset:1536
.LBB203_125:
	s_or_b32 exec_lo, exec_lo, s2
	s_waitcnt lgkmcnt(4)
	v_or_b32_e32 v11, 0xa00, v0
	s_mov_b32 s2, exec_lo
	s_delay_alu instid0(VALU_DEP_1)
	v_cmpx_gt_u32_e64 s29, v11
	s_cbranch_execz .LBB203_127
; %bb.126:
	v_add_co_u32 v13, vcc_lo, 0x2000, v3
	v_add_co_ci_u32_e32 v14, vcc_lo, 0, v4, vcc_lo
	global_store_b32 v[13:14], v12, off offset:2048
.LBB203_127:
	;; [unrolled: 24-line block ×3, first 2 shown]
	s_or_b32 exec_lo, exec_lo, s2
	v_or_b32_e32 v9, 0xb80, v0
	s_mov_b32 s2, exec_lo
	s_delay_alu instid0(VALU_DEP_1)
	v_cmpx_gt_u32_e64 s29, v9
	s_cbranch_execz .LBB203_133
; %bb.132:
	v_add_co_u32 v9, vcc_lo, 0x2000, v3
	v_add_co_ci_u32_e32 v10, vcc_lo, 0, v4, vcc_lo
	s_waitcnt lgkmcnt(2)
	global_store_b32 v[9:10], v7, off offset:3584
.LBB203_133:
	s_or_b32 exec_lo, exec_lo, s2
	s_waitcnt lgkmcnt(2)
	v_or_b32_e32 v7, 0xc00, v0
	s_mov_b32 s2, exec_lo
	s_delay_alu instid0(VALU_DEP_1)
	v_cmpx_gt_u32_e64 s29, v7
	s_cbranch_execz .LBB203_135
; %bb.134:
	v_add_co_u32 v9, vcc_lo, 0x3000, v3
	v_add_co_ci_u32_e32 v10, vcc_lo, 0, v4, vcc_lo
	global_store_b32 v[9:10], v8, off
.LBB203_135:
	s_or_b32 exec_lo, exec_lo, s2
	v_or_b32_e32 v7, 0xc80, v0
	s_mov_b32 s2, exec_lo
	s_delay_alu instid0(VALU_DEP_1)
	v_cmpx_gt_u32_e64 s29, v7
	s_cbranch_execz .LBB203_137
; %bb.136:
	v_add_co_u32 v7, vcc_lo, 0x3000, v3
	v_add_co_ci_u32_e32 v8, vcc_lo, 0, v4, vcc_lo
	s_waitcnt lgkmcnt(1)
	global_store_b32 v[7:8], v5, off offset:512
.LBB203_137:
	s_or_b32 exec_lo, exec_lo, s2
	s_waitcnt lgkmcnt(1)
	v_or_b32_e32 v5, 0xd00, v0
	s_mov_b32 s2, exec_lo
	s_delay_alu instid0(VALU_DEP_1)
	v_cmpx_gt_u32_e64 s29, v5
	s_cbranch_execz .LBB203_139
; %bb.138:
	v_add_co_u32 v7, vcc_lo, 0x3000, v3
	v_add_co_ci_u32_e32 v8, vcc_lo, 0, v4, vcc_lo
	global_store_b32 v[7:8], v6, off offset:1024
.LBB203_139:
	s_or_b32 exec_lo, exec_lo, s2
	v_or_b32_e32 v5, 0xd80, v0
	s_mov_b32 s2, exec_lo
	s_delay_alu instid0(VALU_DEP_1)
	v_cmpx_gt_u32_e64 s29, v5
	s_cbranch_execz .LBB203_141
; %bb.140:
	v_add_co_u32 v5, vcc_lo, 0x3000, v3
	v_add_co_ci_u32_e32 v6, vcc_lo, 0, v4, vcc_lo
	s_waitcnt lgkmcnt(0)
	global_store_b32 v[5:6], v1, off offset:1536
.LBB203_141:
	s_or_b32 exec_lo, exec_lo, s2
	s_waitcnt lgkmcnt(0)
	v_or_b32_e32 v1, 0xe00, v0
	s_delay_alu instid0(VALU_DEP_1)
	v_cmp_gt_u32_e64 s2, s29, v1
	s_branch .LBB203_144
.LBB203_142:
	s_mov_b32 s2, 0
                                        ; implicit-def: $vgpr2
                                        ; implicit-def: $vgpr3_vgpr4
	s_cbranch_execz .LBB203_144
; %bb.143:
	v_mad_u32_u24 v2, 0x74, v0, v62
	ds_store_2addr_b32 v61, v32, v34 offset1:1
	ds_store_2addr_b32 v61, v35, v36 offset0:2 offset1:3
	ds_store_2addr_b32 v61, v37, v38 offset0:4 offset1:5
	;; [unrolled: 1-line block ×13, first 2 shown]
	ds_store_b32 v61, v33 offset:112
	s_waitcnt lgkmcnt(0)
	s_waitcnt_vscnt null, 0x0
	s_barrier
	buffer_gl0_inv
	ds_load_2addr_stride64_b32 v[0:1], v2 offset1:2
	ds_load_2addr_stride64_b32 v[5:6], v2 offset0:4 offset1:6
	s_mov_b32 s31, 0
	ds_load_2addr_stride64_b32 v[7:8], v2 offset0:8 offset1:10
	ds_load_2addr_stride64_b32 v[9:10], v2 offset0:12 offset1:14
	;; [unrolled: 1-line block ×12, first 2 shown]
	ds_load_b32 v2, v2 offset:14336
	s_lshl_b64 s[4:5], s[30:31], 2
	s_delay_alu instid0(SALU_CYCLE_1) | instskip(SKIP_2) | instid1(VALU_DEP_1)
	s_add_u32 s4, s1, s4
	s_addc_u32 s5, s0, s5
	v_add_co_u32 v3, s0, s4, v31
	v_add_co_ci_u32_e64 v4, null, s5, 0, s0
	s_or_b32 s2, s2, exec_lo
	s_waitcnt lgkmcnt(14)
	global_store_b32 v31, v1, s[4:5] offset:512
	s_waitcnt lgkmcnt(13)
	s_clause 0x1
	global_store_b32 v31, v5, s[4:5] offset:1024
	global_store_b32 v31, v6, s[4:5] offset:1536
	s_waitcnt lgkmcnt(12)
	s_clause 0x1
	global_store_b32 v31, v7, s[4:5] offset:2048
	;; [unrolled: 4-line block ×3, first 2 shown]
	global_store_b32 v31, v10, s[4:5] offset:3584
	v_add_co_u32 v5, vcc_lo, v3, 0x2000
	v_add_co_ci_u32_e32 v6, vcc_lo, 0, v4, vcc_lo
	v_add_co_u32 v7, vcc_lo, 0x3000, v3
	v_add_co_ci_u32_e32 v8, vcc_lo, 0, v4, vcc_lo
	;; [unrolled: 2-line block ×3, first 2 shown]
	v_add_co_u32 v32, vcc_lo, 0x2000, v3
	s_waitcnt lgkmcnt(1)
	s_clause 0x1
	global_store_b32 v[7:8], v29, off offset:1024
	global_store_b32 v[5:6], v11, off offset:-4096
	v_add_co_ci_u32_e32 v33, vcc_lo, 0, v4, vcc_lo
	s_clause 0x12
	global_store_b32 v31, v0, s[4:5]
	global_store_b32 v[5:6], v19, off
	global_store_b32 v[9:10], v12, off offset:512
	global_store_b32 v[9:10], v13, off offset:1024
	global_store_b32 v[9:10], v14, off offset:1536
	global_store_b32 v[9:10], v15, off offset:2048
	global_store_b32 v[9:10], v16, off offset:2560
	global_store_b32 v[9:10], v17, off offset:3072
	global_store_b32 v[9:10], v18, off offset:3584
	global_store_b32 v[32:33], v20, off offset:512
	global_store_b32 v[32:33], v21, off offset:1024
	global_store_b32 v[32:33], v22, off offset:1536
	global_store_b32 v[32:33], v23, off offset:2048
	global_store_b32 v[32:33], v24, off offset:2560
	global_store_b32 v[32:33], v25, off offset:3072
	global_store_b32 v[32:33], v26, off offset:3584
	global_store_b32 v[7:8], v27, off
	global_store_b32 v[7:8], v28, off offset:512
	global_store_b32 v[7:8], v30, off offset:1536
.LBB203_144:
	s_delay_alu instid0(VALU_DEP_1)
	s_and_saveexec_b32 s0, s2
	s_cbranch_execnz .LBB203_146
; %bb.145:
	s_nop 0
	s_sendmsg sendmsg(MSG_DEALLOC_VGPRS)
	s_endpgm
.LBB203_146:
	v_add_co_u32 v0, vcc_lo, 0x3000, v3
	v_add_co_ci_u32_e32 v1, vcc_lo, 0, v4, vcc_lo
	s_waitcnt lgkmcnt(0)
	global_store_b32 v[0:1], v2, off offset:2048
	s_nop 0
	s_sendmsg sendmsg(MSG_DEALLOC_VGPRS)
	s_endpgm
	.section	.rodata,"a",@progbits
	.p2align	6, 0x0
	.amdhsa_kernel _ZN7rocprim17ROCPRIM_400000_NS6detail17trampoline_kernelINS0_14default_configENS1_35adjacent_difference_config_selectorILb1EjEEZNS1_24adjacent_difference_implIS3_Lb1ELb0EPjS7_N6thrust23THRUST_200600_302600_NS4plusIjEEEE10hipError_tPvRmT2_T3_mT4_P12ihipStream_tbEUlT_E_NS1_11comp_targetILNS1_3genE9ELNS1_11target_archE1100ELNS1_3gpuE3ELNS1_3repE0EEENS1_30default_config_static_selectorELNS0_4arch9wavefront6targetE0EEEvT1_
		.amdhsa_group_segment_fixed_size 14848
		.amdhsa_private_segment_fixed_size 0
		.amdhsa_kernarg_size 56
		.amdhsa_user_sgpr_count 15
		.amdhsa_user_sgpr_dispatch_ptr 0
		.amdhsa_user_sgpr_queue_ptr 0
		.amdhsa_user_sgpr_kernarg_segment_ptr 1
		.amdhsa_user_sgpr_dispatch_id 0
		.amdhsa_user_sgpr_private_segment_size 0
		.amdhsa_wavefront_size32 1
		.amdhsa_uses_dynamic_stack 0
		.amdhsa_enable_private_segment 0
		.amdhsa_system_sgpr_workgroup_id_x 1
		.amdhsa_system_sgpr_workgroup_id_y 0
		.amdhsa_system_sgpr_workgroup_id_z 0
		.amdhsa_system_sgpr_workgroup_info 0
		.amdhsa_system_vgpr_workitem_id 0
		.amdhsa_next_free_vgpr 64
		.amdhsa_next_free_sgpr 44
		.amdhsa_reserve_vcc 1
		.amdhsa_float_round_mode_32 0
		.amdhsa_float_round_mode_16_64 0
		.amdhsa_float_denorm_mode_32 3
		.amdhsa_float_denorm_mode_16_64 3
		.amdhsa_dx10_clamp 1
		.amdhsa_ieee_mode 1
		.amdhsa_fp16_overflow 0
		.amdhsa_workgroup_processor_mode 1
		.amdhsa_memory_ordered 1
		.amdhsa_forward_progress 0
		.amdhsa_shared_vgpr_count 0
		.amdhsa_exception_fp_ieee_invalid_op 0
		.amdhsa_exception_fp_denorm_src 0
		.amdhsa_exception_fp_ieee_div_zero 0
		.amdhsa_exception_fp_ieee_overflow 0
		.amdhsa_exception_fp_ieee_underflow 0
		.amdhsa_exception_fp_ieee_inexact 0
		.amdhsa_exception_int_div_zero 0
	.end_amdhsa_kernel
	.section	.text._ZN7rocprim17ROCPRIM_400000_NS6detail17trampoline_kernelINS0_14default_configENS1_35adjacent_difference_config_selectorILb1EjEEZNS1_24adjacent_difference_implIS3_Lb1ELb0EPjS7_N6thrust23THRUST_200600_302600_NS4plusIjEEEE10hipError_tPvRmT2_T3_mT4_P12ihipStream_tbEUlT_E_NS1_11comp_targetILNS1_3genE9ELNS1_11target_archE1100ELNS1_3gpuE3ELNS1_3repE0EEENS1_30default_config_static_selectorELNS0_4arch9wavefront6targetE0EEEvT1_,"axG",@progbits,_ZN7rocprim17ROCPRIM_400000_NS6detail17trampoline_kernelINS0_14default_configENS1_35adjacent_difference_config_selectorILb1EjEEZNS1_24adjacent_difference_implIS3_Lb1ELb0EPjS7_N6thrust23THRUST_200600_302600_NS4plusIjEEEE10hipError_tPvRmT2_T3_mT4_P12ihipStream_tbEUlT_E_NS1_11comp_targetILNS1_3genE9ELNS1_11target_archE1100ELNS1_3gpuE3ELNS1_3repE0EEENS1_30default_config_static_selectorELNS0_4arch9wavefront6targetE0EEEvT1_,comdat
.Lfunc_end203:
	.size	_ZN7rocprim17ROCPRIM_400000_NS6detail17trampoline_kernelINS0_14default_configENS1_35adjacent_difference_config_selectorILb1EjEEZNS1_24adjacent_difference_implIS3_Lb1ELb0EPjS7_N6thrust23THRUST_200600_302600_NS4plusIjEEEE10hipError_tPvRmT2_T3_mT4_P12ihipStream_tbEUlT_E_NS1_11comp_targetILNS1_3genE9ELNS1_11target_archE1100ELNS1_3gpuE3ELNS1_3repE0EEENS1_30default_config_static_selectorELNS0_4arch9wavefront6targetE0EEEvT1_, .Lfunc_end203-_ZN7rocprim17ROCPRIM_400000_NS6detail17trampoline_kernelINS0_14default_configENS1_35adjacent_difference_config_selectorILb1EjEEZNS1_24adjacent_difference_implIS3_Lb1ELb0EPjS7_N6thrust23THRUST_200600_302600_NS4plusIjEEEE10hipError_tPvRmT2_T3_mT4_P12ihipStream_tbEUlT_E_NS1_11comp_targetILNS1_3genE9ELNS1_11target_archE1100ELNS1_3gpuE3ELNS1_3repE0EEENS1_30default_config_static_selectorELNS0_4arch9wavefront6targetE0EEEvT1_
                                        ; -- End function
	.section	.AMDGPU.csdata,"",@progbits
; Kernel info:
; codeLenInByte = 7068
; NumSgprs: 46
; NumVgprs: 64
; ScratchSize: 0
; MemoryBound: 0
; FloatMode: 240
; IeeeMode: 1
; LDSByteSize: 14848 bytes/workgroup (compile time only)
; SGPRBlocks: 5
; VGPRBlocks: 7
; NumSGPRsForWavesPerEU: 46
; NumVGPRsForWavesPerEU: 64
; Occupancy: 8
; WaveLimiterHint : 1
; COMPUTE_PGM_RSRC2:SCRATCH_EN: 0
; COMPUTE_PGM_RSRC2:USER_SGPR: 15
; COMPUTE_PGM_RSRC2:TRAP_HANDLER: 0
; COMPUTE_PGM_RSRC2:TGID_X_EN: 1
; COMPUTE_PGM_RSRC2:TGID_Y_EN: 0
; COMPUTE_PGM_RSRC2:TGID_Z_EN: 0
; COMPUTE_PGM_RSRC2:TIDIG_COMP_CNT: 0
	.section	.text._ZN7rocprim17ROCPRIM_400000_NS6detail17trampoline_kernelINS0_14default_configENS1_35adjacent_difference_config_selectorILb1EjEEZNS1_24adjacent_difference_implIS3_Lb1ELb0EPjS7_N6thrust23THRUST_200600_302600_NS4plusIjEEEE10hipError_tPvRmT2_T3_mT4_P12ihipStream_tbEUlT_E_NS1_11comp_targetILNS1_3genE8ELNS1_11target_archE1030ELNS1_3gpuE2ELNS1_3repE0EEENS1_30default_config_static_selectorELNS0_4arch9wavefront6targetE0EEEvT1_,"axG",@progbits,_ZN7rocprim17ROCPRIM_400000_NS6detail17trampoline_kernelINS0_14default_configENS1_35adjacent_difference_config_selectorILb1EjEEZNS1_24adjacent_difference_implIS3_Lb1ELb0EPjS7_N6thrust23THRUST_200600_302600_NS4plusIjEEEE10hipError_tPvRmT2_T3_mT4_P12ihipStream_tbEUlT_E_NS1_11comp_targetILNS1_3genE8ELNS1_11target_archE1030ELNS1_3gpuE2ELNS1_3repE0EEENS1_30default_config_static_selectorELNS0_4arch9wavefront6targetE0EEEvT1_,comdat
	.protected	_ZN7rocprim17ROCPRIM_400000_NS6detail17trampoline_kernelINS0_14default_configENS1_35adjacent_difference_config_selectorILb1EjEEZNS1_24adjacent_difference_implIS3_Lb1ELb0EPjS7_N6thrust23THRUST_200600_302600_NS4plusIjEEEE10hipError_tPvRmT2_T3_mT4_P12ihipStream_tbEUlT_E_NS1_11comp_targetILNS1_3genE8ELNS1_11target_archE1030ELNS1_3gpuE2ELNS1_3repE0EEENS1_30default_config_static_selectorELNS0_4arch9wavefront6targetE0EEEvT1_ ; -- Begin function _ZN7rocprim17ROCPRIM_400000_NS6detail17trampoline_kernelINS0_14default_configENS1_35adjacent_difference_config_selectorILb1EjEEZNS1_24adjacent_difference_implIS3_Lb1ELb0EPjS7_N6thrust23THRUST_200600_302600_NS4plusIjEEEE10hipError_tPvRmT2_T3_mT4_P12ihipStream_tbEUlT_E_NS1_11comp_targetILNS1_3genE8ELNS1_11target_archE1030ELNS1_3gpuE2ELNS1_3repE0EEENS1_30default_config_static_selectorELNS0_4arch9wavefront6targetE0EEEvT1_
	.globl	_ZN7rocprim17ROCPRIM_400000_NS6detail17trampoline_kernelINS0_14default_configENS1_35adjacent_difference_config_selectorILb1EjEEZNS1_24adjacent_difference_implIS3_Lb1ELb0EPjS7_N6thrust23THRUST_200600_302600_NS4plusIjEEEE10hipError_tPvRmT2_T3_mT4_P12ihipStream_tbEUlT_E_NS1_11comp_targetILNS1_3genE8ELNS1_11target_archE1030ELNS1_3gpuE2ELNS1_3repE0EEENS1_30default_config_static_selectorELNS0_4arch9wavefront6targetE0EEEvT1_
	.p2align	8
	.type	_ZN7rocprim17ROCPRIM_400000_NS6detail17trampoline_kernelINS0_14default_configENS1_35adjacent_difference_config_selectorILb1EjEEZNS1_24adjacent_difference_implIS3_Lb1ELb0EPjS7_N6thrust23THRUST_200600_302600_NS4plusIjEEEE10hipError_tPvRmT2_T3_mT4_P12ihipStream_tbEUlT_E_NS1_11comp_targetILNS1_3genE8ELNS1_11target_archE1030ELNS1_3gpuE2ELNS1_3repE0EEENS1_30default_config_static_selectorELNS0_4arch9wavefront6targetE0EEEvT1_,@function
_ZN7rocprim17ROCPRIM_400000_NS6detail17trampoline_kernelINS0_14default_configENS1_35adjacent_difference_config_selectorILb1EjEEZNS1_24adjacent_difference_implIS3_Lb1ELb0EPjS7_N6thrust23THRUST_200600_302600_NS4plusIjEEEE10hipError_tPvRmT2_T3_mT4_P12ihipStream_tbEUlT_E_NS1_11comp_targetILNS1_3genE8ELNS1_11target_archE1030ELNS1_3gpuE2ELNS1_3repE0EEENS1_30default_config_static_selectorELNS0_4arch9wavefront6targetE0EEEvT1_: ; @_ZN7rocprim17ROCPRIM_400000_NS6detail17trampoline_kernelINS0_14default_configENS1_35adjacent_difference_config_selectorILb1EjEEZNS1_24adjacent_difference_implIS3_Lb1ELb0EPjS7_N6thrust23THRUST_200600_302600_NS4plusIjEEEE10hipError_tPvRmT2_T3_mT4_P12ihipStream_tbEUlT_E_NS1_11comp_targetILNS1_3genE8ELNS1_11target_archE1030ELNS1_3gpuE2ELNS1_3repE0EEENS1_30default_config_static_selectorELNS0_4arch9wavefront6targetE0EEEvT1_
; %bb.0:
	.section	.rodata,"a",@progbits
	.p2align	6, 0x0
	.amdhsa_kernel _ZN7rocprim17ROCPRIM_400000_NS6detail17trampoline_kernelINS0_14default_configENS1_35adjacent_difference_config_selectorILb1EjEEZNS1_24adjacent_difference_implIS3_Lb1ELb0EPjS7_N6thrust23THRUST_200600_302600_NS4plusIjEEEE10hipError_tPvRmT2_T3_mT4_P12ihipStream_tbEUlT_E_NS1_11comp_targetILNS1_3genE8ELNS1_11target_archE1030ELNS1_3gpuE2ELNS1_3repE0EEENS1_30default_config_static_selectorELNS0_4arch9wavefront6targetE0EEEvT1_
		.amdhsa_group_segment_fixed_size 0
		.amdhsa_private_segment_fixed_size 0
		.amdhsa_kernarg_size 56
		.amdhsa_user_sgpr_count 15
		.amdhsa_user_sgpr_dispatch_ptr 0
		.amdhsa_user_sgpr_queue_ptr 0
		.amdhsa_user_sgpr_kernarg_segment_ptr 1
		.amdhsa_user_sgpr_dispatch_id 0
		.amdhsa_user_sgpr_private_segment_size 0
		.amdhsa_wavefront_size32 1
		.amdhsa_uses_dynamic_stack 0
		.amdhsa_enable_private_segment 0
		.amdhsa_system_sgpr_workgroup_id_x 1
		.amdhsa_system_sgpr_workgroup_id_y 0
		.amdhsa_system_sgpr_workgroup_id_z 0
		.amdhsa_system_sgpr_workgroup_info 0
		.amdhsa_system_vgpr_workitem_id 0
		.amdhsa_next_free_vgpr 1
		.amdhsa_next_free_sgpr 1
		.amdhsa_reserve_vcc 0
		.amdhsa_float_round_mode_32 0
		.amdhsa_float_round_mode_16_64 0
		.amdhsa_float_denorm_mode_32 3
		.amdhsa_float_denorm_mode_16_64 3
		.amdhsa_dx10_clamp 1
		.amdhsa_ieee_mode 1
		.amdhsa_fp16_overflow 0
		.amdhsa_workgroup_processor_mode 1
		.amdhsa_memory_ordered 1
		.amdhsa_forward_progress 0
		.amdhsa_shared_vgpr_count 0
		.amdhsa_exception_fp_ieee_invalid_op 0
		.amdhsa_exception_fp_denorm_src 0
		.amdhsa_exception_fp_ieee_div_zero 0
		.amdhsa_exception_fp_ieee_overflow 0
		.amdhsa_exception_fp_ieee_underflow 0
		.amdhsa_exception_fp_ieee_inexact 0
		.amdhsa_exception_int_div_zero 0
	.end_amdhsa_kernel
	.section	.text._ZN7rocprim17ROCPRIM_400000_NS6detail17trampoline_kernelINS0_14default_configENS1_35adjacent_difference_config_selectorILb1EjEEZNS1_24adjacent_difference_implIS3_Lb1ELb0EPjS7_N6thrust23THRUST_200600_302600_NS4plusIjEEEE10hipError_tPvRmT2_T3_mT4_P12ihipStream_tbEUlT_E_NS1_11comp_targetILNS1_3genE8ELNS1_11target_archE1030ELNS1_3gpuE2ELNS1_3repE0EEENS1_30default_config_static_selectorELNS0_4arch9wavefront6targetE0EEEvT1_,"axG",@progbits,_ZN7rocprim17ROCPRIM_400000_NS6detail17trampoline_kernelINS0_14default_configENS1_35adjacent_difference_config_selectorILb1EjEEZNS1_24adjacent_difference_implIS3_Lb1ELb0EPjS7_N6thrust23THRUST_200600_302600_NS4plusIjEEEE10hipError_tPvRmT2_T3_mT4_P12ihipStream_tbEUlT_E_NS1_11comp_targetILNS1_3genE8ELNS1_11target_archE1030ELNS1_3gpuE2ELNS1_3repE0EEENS1_30default_config_static_selectorELNS0_4arch9wavefront6targetE0EEEvT1_,comdat
.Lfunc_end204:
	.size	_ZN7rocprim17ROCPRIM_400000_NS6detail17trampoline_kernelINS0_14default_configENS1_35adjacent_difference_config_selectorILb1EjEEZNS1_24adjacent_difference_implIS3_Lb1ELb0EPjS7_N6thrust23THRUST_200600_302600_NS4plusIjEEEE10hipError_tPvRmT2_T3_mT4_P12ihipStream_tbEUlT_E_NS1_11comp_targetILNS1_3genE8ELNS1_11target_archE1030ELNS1_3gpuE2ELNS1_3repE0EEENS1_30default_config_static_selectorELNS0_4arch9wavefront6targetE0EEEvT1_, .Lfunc_end204-_ZN7rocprim17ROCPRIM_400000_NS6detail17trampoline_kernelINS0_14default_configENS1_35adjacent_difference_config_selectorILb1EjEEZNS1_24adjacent_difference_implIS3_Lb1ELb0EPjS7_N6thrust23THRUST_200600_302600_NS4plusIjEEEE10hipError_tPvRmT2_T3_mT4_P12ihipStream_tbEUlT_E_NS1_11comp_targetILNS1_3genE8ELNS1_11target_archE1030ELNS1_3gpuE2ELNS1_3repE0EEENS1_30default_config_static_selectorELNS0_4arch9wavefront6targetE0EEEvT1_
                                        ; -- End function
	.section	.AMDGPU.csdata,"",@progbits
; Kernel info:
; codeLenInByte = 0
; NumSgprs: 0
; NumVgprs: 0
; ScratchSize: 0
; MemoryBound: 0
; FloatMode: 240
; IeeeMode: 1
; LDSByteSize: 0 bytes/workgroup (compile time only)
; SGPRBlocks: 0
; VGPRBlocks: 0
; NumSGPRsForWavesPerEU: 1
; NumVGPRsForWavesPerEU: 1
; Occupancy: 16
; WaveLimiterHint : 0
; COMPUTE_PGM_RSRC2:SCRATCH_EN: 0
; COMPUTE_PGM_RSRC2:USER_SGPR: 15
; COMPUTE_PGM_RSRC2:TRAP_HANDLER: 0
; COMPUTE_PGM_RSRC2:TGID_X_EN: 1
; COMPUTE_PGM_RSRC2:TGID_Y_EN: 0
; COMPUTE_PGM_RSRC2:TGID_Z_EN: 0
; COMPUTE_PGM_RSRC2:TIDIG_COMP_CNT: 0
	.section	.text._ZN6thrust23THRUST_200600_302600_NS11hip_rocprim14__parallel_for6kernelILj256ENS1_20__uninitialized_fill7functorINS0_10device_ptrItEEtEEmLj1EEEvT0_T1_SA_,"axG",@progbits,_ZN6thrust23THRUST_200600_302600_NS11hip_rocprim14__parallel_for6kernelILj256ENS1_20__uninitialized_fill7functorINS0_10device_ptrItEEtEEmLj1EEEvT0_T1_SA_,comdat
	.protected	_ZN6thrust23THRUST_200600_302600_NS11hip_rocprim14__parallel_for6kernelILj256ENS1_20__uninitialized_fill7functorINS0_10device_ptrItEEtEEmLj1EEEvT0_T1_SA_ ; -- Begin function _ZN6thrust23THRUST_200600_302600_NS11hip_rocprim14__parallel_for6kernelILj256ENS1_20__uninitialized_fill7functorINS0_10device_ptrItEEtEEmLj1EEEvT0_T1_SA_
	.globl	_ZN6thrust23THRUST_200600_302600_NS11hip_rocprim14__parallel_for6kernelILj256ENS1_20__uninitialized_fill7functorINS0_10device_ptrItEEtEEmLj1EEEvT0_T1_SA_
	.p2align	8
	.type	_ZN6thrust23THRUST_200600_302600_NS11hip_rocprim14__parallel_for6kernelILj256ENS1_20__uninitialized_fill7functorINS0_10device_ptrItEEtEEmLj1EEEvT0_T1_SA_,@function
_ZN6thrust23THRUST_200600_302600_NS11hip_rocprim14__parallel_for6kernelILj256ENS1_20__uninitialized_fill7functorINS0_10device_ptrItEEtEEmLj1EEEvT0_T1_SA_: ; @_ZN6thrust23THRUST_200600_302600_NS11hip_rocprim14__parallel_for6kernelILj256ENS1_20__uninitialized_fill7functorINS0_10device_ptrItEEtEEmLj1EEEvT0_T1_SA_
; %bb.0:
	s_load_b128 s[4:7], s[0:1], 0x10
	s_lshl_b32 s2, s15, 8
	s_waitcnt lgkmcnt(0)
	s_add_u32 s2, s2, s6
	s_addc_u32 s3, 0, s7
	s_sub_u32 s4, s4, s2
	s_subb_u32 s5, s5, s3
	s_delay_alu instid0(SALU_CYCLE_1) | instskip(NEXT) | instid1(VALU_DEP_1)
	v_cmp_gt_u64_e64 s5, 0x100, s[4:5]
	s_and_b32 vcc_lo, exec_lo, s5
	s_mov_b32 s5, 0
	s_cbranch_vccz .LBB205_2
; %bb.1:
	v_cmp_gt_u32_e32 vcc_lo, s4, v0
	s_and_b32 s5, vcc_lo, exec_lo
	s_cbranch_execz .LBB205_3
	s_branch .LBB205_4
.LBB205_2:
.LBB205_3:
	s_or_b32 s5, s5, exec_lo
.LBB205_4:
	s_delay_alu instid0(SALU_CYCLE_1)
	s_and_saveexec_b32 s4, s5
	s_cbranch_execnz .LBB205_6
; %bb.5:
	s_endpgm
.LBB205_6:
	s_clause 0x1
	s_load_b64 s[4:5], s[0:1], 0x0
	s_load_b32 s6, s[0:1], 0x8
	v_mov_b32_e32 v1, 0
	s_lshl_b64 s[0:1], s[2:3], 1
	s_waitcnt lgkmcnt(0)
	s_add_u32 s0, s4, s0
	v_mov_b32_e32 v2, s6
	v_lshlrev_b64 v[0:1], 1, v[0:1]
	s_addc_u32 s1, s5, s1
	s_delay_alu instid0(VALU_DEP_1) | instskip(NEXT) | instid1(VALU_DEP_2)
	v_add_co_u32 v0, vcc_lo, s0, v0
	v_add_co_ci_u32_e32 v1, vcc_lo, s1, v1, vcc_lo
	flat_store_b16 v[0:1], v2
	s_endpgm
	.section	.rodata,"a",@progbits
	.p2align	6, 0x0
	.amdhsa_kernel _ZN6thrust23THRUST_200600_302600_NS11hip_rocprim14__parallel_for6kernelILj256ENS1_20__uninitialized_fill7functorINS0_10device_ptrItEEtEEmLj1EEEvT0_T1_SA_
		.amdhsa_group_segment_fixed_size 0
		.amdhsa_private_segment_fixed_size 0
		.amdhsa_kernarg_size 32
		.amdhsa_user_sgpr_count 15
		.amdhsa_user_sgpr_dispatch_ptr 0
		.amdhsa_user_sgpr_queue_ptr 0
		.amdhsa_user_sgpr_kernarg_segment_ptr 1
		.amdhsa_user_sgpr_dispatch_id 0
		.amdhsa_user_sgpr_private_segment_size 0
		.amdhsa_wavefront_size32 1
		.amdhsa_uses_dynamic_stack 0
		.amdhsa_enable_private_segment 0
		.amdhsa_system_sgpr_workgroup_id_x 1
		.amdhsa_system_sgpr_workgroup_id_y 0
		.amdhsa_system_sgpr_workgroup_id_z 0
		.amdhsa_system_sgpr_workgroup_info 0
		.amdhsa_system_vgpr_workitem_id 0
		.amdhsa_next_free_vgpr 3
		.amdhsa_next_free_sgpr 16
		.amdhsa_reserve_vcc 1
		.amdhsa_float_round_mode_32 0
		.amdhsa_float_round_mode_16_64 0
		.amdhsa_float_denorm_mode_32 3
		.amdhsa_float_denorm_mode_16_64 3
		.amdhsa_dx10_clamp 1
		.amdhsa_ieee_mode 1
		.amdhsa_fp16_overflow 0
		.amdhsa_workgroup_processor_mode 1
		.amdhsa_memory_ordered 1
		.amdhsa_forward_progress 0
		.amdhsa_shared_vgpr_count 0
		.amdhsa_exception_fp_ieee_invalid_op 0
		.amdhsa_exception_fp_denorm_src 0
		.amdhsa_exception_fp_ieee_div_zero 0
		.amdhsa_exception_fp_ieee_overflow 0
		.amdhsa_exception_fp_ieee_underflow 0
		.amdhsa_exception_fp_ieee_inexact 0
		.amdhsa_exception_int_div_zero 0
	.end_amdhsa_kernel
	.section	.text._ZN6thrust23THRUST_200600_302600_NS11hip_rocprim14__parallel_for6kernelILj256ENS1_20__uninitialized_fill7functorINS0_10device_ptrItEEtEEmLj1EEEvT0_T1_SA_,"axG",@progbits,_ZN6thrust23THRUST_200600_302600_NS11hip_rocprim14__parallel_for6kernelILj256ENS1_20__uninitialized_fill7functorINS0_10device_ptrItEEtEEmLj1EEEvT0_T1_SA_,comdat
.Lfunc_end205:
	.size	_ZN6thrust23THRUST_200600_302600_NS11hip_rocprim14__parallel_for6kernelILj256ENS1_20__uninitialized_fill7functorINS0_10device_ptrItEEtEEmLj1EEEvT0_T1_SA_, .Lfunc_end205-_ZN6thrust23THRUST_200600_302600_NS11hip_rocprim14__parallel_for6kernelILj256ENS1_20__uninitialized_fill7functorINS0_10device_ptrItEEtEEmLj1EEEvT0_T1_SA_
                                        ; -- End function
	.section	.AMDGPU.csdata,"",@progbits
; Kernel info:
; codeLenInByte = 176
; NumSgprs: 18
; NumVgprs: 3
; ScratchSize: 0
; MemoryBound: 0
; FloatMode: 240
; IeeeMode: 1
; LDSByteSize: 0 bytes/workgroup (compile time only)
; SGPRBlocks: 2
; VGPRBlocks: 0
; NumSGPRsForWavesPerEU: 18
; NumVGPRsForWavesPerEU: 3
; Occupancy: 16
; WaveLimiterHint : 0
; COMPUTE_PGM_RSRC2:SCRATCH_EN: 0
; COMPUTE_PGM_RSRC2:USER_SGPR: 15
; COMPUTE_PGM_RSRC2:TRAP_HANDLER: 0
; COMPUTE_PGM_RSRC2:TGID_X_EN: 1
; COMPUTE_PGM_RSRC2:TGID_Y_EN: 0
; COMPUTE_PGM_RSRC2:TGID_Z_EN: 0
; COMPUTE_PGM_RSRC2:TIDIG_COMP_CNT: 0
	.section	.text._ZN7rocprim17ROCPRIM_400000_NS6detail17trampoline_kernelINS0_14default_configENS1_35adjacent_difference_config_selectorILb0EtEEZNS1_24adjacent_difference_implIS3_Lb0ELb0EPtS7_N6thrust23THRUST_200600_302600_NS5minusItEEEE10hipError_tPvRmT2_T3_mT4_P12ihipStream_tbEUlT_E_NS1_11comp_targetILNS1_3genE0ELNS1_11target_archE4294967295ELNS1_3gpuE0ELNS1_3repE0EEENS1_30default_config_static_selectorELNS0_4arch9wavefront6targetE0EEEvT1_,"axG",@progbits,_ZN7rocprim17ROCPRIM_400000_NS6detail17trampoline_kernelINS0_14default_configENS1_35adjacent_difference_config_selectorILb0EtEEZNS1_24adjacent_difference_implIS3_Lb0ELb0EPtS7_N6thrust23THRUST_200600_302600_NS5minusItEEEE10hipError_tPvRmT2_T3_mT4_P12ihipStream_tbEUlT_E_NS1_11comp_targetILNS1_3genE0ELNS1_11target_archE4294967295ELNS1_3gpuE0ELNS1_3repE0EEENS1_30default_config_static_selectorELNS0_4arch9wavefront6targetE0EEEvT1_,comdat
	.protected	_ZN7rocprim17ROCPRIM_400000_NS6detail17trampoline_kernelINS0_14default_configENS1_35adjacent_difference_config_selectorILb0EtEEZNS1_24adjacent_difference_implIS3_Lb0ELb0EPtS7_N6thrust23THRUST_200600_302600_NS5minusItEEEE10hipError_tPvRmT2_T3_mT4_P12ihipStream_tbEUlT_E_NS1_11comp_targetILNS1_3genE0ELNS1_11target_archE4294967295ELNS1_3gpuE0ELNS1_3repE0EEENS1_30default_config_static_selectorELNS0_4arch9wavefront6targetE0EEEvT1_ ; -- Begin function _ZN7rocprim17ROCPRIM_400000_NS6detail17trampoline_kernelINS0_14default_configENS1_35adjacent_difference_config_selectorILb0EtEEZNS1_24adjacent_difference_implIS3_Lb0ELb0EPtS7_N6thrust23THRUST_200600_302600_NS5minusItEEEE10hipError_tPvRmT2_T3_mT4_P12ihipStream_tbEUlT_E_NS1_11comp_targetILNS1_3genE0ELNS1_11target_archE4294967295ELNS1_3gpuE0ELNS1_3repE0EEENS1_30default_config_static_selectorELNS0_4arch9wavefront6targetE0EEEvT1_
	.globl	_ZN7rocprim17ROCPRIM_400000_NS6detail17trampoline_kernelINS0_14default_configENS1_35adjacent_difference_config_selectorILb0EtEEZNS1_24adjacent_difference_implIS3_Lb0ELb0EPtS7_N6thrust23THRUST_200600_302600_NS5minusItEEEE10hipError_tPvRmT2_T3_mT4_P12ihipStream_tbEUlT_E_NS1_11comp_targetILNS1_3genE0ELNS1_11target_archE4294967295ELNS1_3gpuE0ELNS1_3repE0EEENS1_30default_config_static_selectorELNS0_4arch9wavefront6targetE0EEEvT1_
	.p2align	8
	.type	_ZN7rocprim17ROCPRIM_400000_NS6detail17trampoline_kernelINS0_14default_configENS1_35adjacent_difference_config_selectorILb0EtEEZNS1_24adjacent_difference_implIS3_Lb0ELb0EPtS7_N6thrust23THRUST_200600_302600_NS5minusItEEEE10hipError_tPvRmT2_T3_mT4_P12ihipStream_tbEUlT_E_NS1_11comp_targetILNS1_3genE0ELNS1_11target_archE4294967295ELNS1_3gpuE0ELNS1_3repE0EEENS1_30default_config_static_selectorELNS0_4arch9wavefront6targetE0EEEvT1_,@function
_ZN7rocprim17ROCPRIM_400000_NS6detail17trampoline_kernelINS0_14default_configENS1_35adjacent_difference_config_selectorILb0EtEEZNS1_24adjacent_difference_implIS3_Lb0ELb0EPtS7_N6thrust23THRUST_200600_302600_NS5minusItEEEE10hipError_tPvRmT2_T3_mT4_P12ihipStream_tbEUlT_E_NS1_11comp_targetILNS1_3genE0ELNS1_11target_archE4294967295ELNS1_3gpuE0ELNS1_3repE0EEENS1_30default_config_static_selectorELNS0_4arch9wavefront6targetE0EEEvT1_: ; @_ZN7rocprim17ROCPRIM_400000_NS6detail17trampoline_kernelINS0_14default_configENS1_35adjacent_difference_config_selectorILb0EtEEZNS1_24adjacent_difference_implIS3_Lb0ELb0EPtS7_N6thrust23THRUST_200600_302600_NS5minusItEEEE10hipError_tPvRmT2_T3_mT4_P12ihipStream_tbEUlT_E_NS1_11comp_targetILNS1_3genE0ELNS1_11target_archE4294967295ELNS1_3gpuE0ELNS1_3repE0EEENS1_30default_config_static_selectorELNS0_4arch9wavefront6targetE0EEEvT1_
; %bb.0:
	.section	.rodata,"a",@progbits
	.p2align	6, 0x0
	.amdhsa_kernel _ZN7rocprim17ROCPRIM_400000_NS6detail17trampoline_kernelINS0_14default_configENS1_35adjacent_difference_config_selectorILb0EtEEZNS1_24adjacent_difference_implIS3_Lb0ELb0EPtS7_N6thrust23THRUST_200600_302600_NS5minusItEEEE10hipError_tPvRmT2_T3_mT4_P12ihipStream_tbEUlT_E_NS1_11comp_targetILNS1_3genE0ELNS1_11target_archE4294967295ELNS1_3gpuE0ELNS1_3repE0EEENS1_30default_config_static_selectorELNS0_4arch9wavefront6targetE0EEEvT1_
		.amdhsa_group_segment_fixed_size 0
		.amdhsa_private_segment_fixed_size 0
		.amdhsa_kernarg_size 56
		.amdhsa_user_sgpr_count 15
		.amdhsa_user_sgpr_dispatch_ptr 0
		.amdhsa_user_sgpr_queue_ptr 0
		.amdhsa_user_sgpr_kernarg_segment_ptr 1
		.amdhsa_user_sgpr_dispatch_id 0
		.amdhsa_user_sgpr_private_segment_size 0
		.amdhsa_wavefront_size32 1
		.amdhsa_uses_dynamic_stack 0
		.amdhsa_enable_private_segment 0
		.amdhsa_system_sgpr_workgroup_id_x 1
		.amdhsa_system_sgpr_workgroup_id_y 0
		.amdhsa_system_sgpr_workgroup_id_z 0
		.amdhsa_system_sgpr_workgroup_info 0
		.amdhsa_system_vgpr_workitem_id 0
		.amdhsa_next_free_vgpr 1
		.amdhsa_next_free_sgpr 1
		.amdhsa_reserve_vcc 0
		.amdhsa_float_round_mode_32 0
		.amdhsa_float_round_mode_16_64 0
		.amdhsa_float_denorm_mode_32 3
		.amdhsa_float_denorm_mode_16_64 3
		.amdhsa_dx10_clamp 1
		.amdhsa_ieee_mode 1
		.amdhsa_fp16_overflow 0
		.amdhsa_workgroup_processor_mode 1
		.amdhsa_memory_ordered 1
		.amdhsa_forward_progress 0
		.amdhsa_shared_vgpr_count 0
		.amdhsa_exception_fp_ieee_invalid_op 0
		.amdhsa_exception_fp_denorm_src 0
		.amdhsa_exception_fp_ieee_div_zero 0
		.amdhsa_exception_fp_ieee_overflow 0
		.amdhsa_exception_fp_ieee_underflow 0
		.amdhsa_exception_fp_ieee_inexact 0
		.amdhsa_exception_int_div_zero 0
	.end_amdhsa_kernel
	.section	.text._ZN7rocprim17ROCPRIM_400000_NS6detail17trampoline_kernelINS0_14default_configENS1_35adjacent_difference_config_selectorILb0EtEEZNS1_24adjacent_difference_implIS3_Lb0ELb0EPtS7_N6thrust23THRUST_200600_302600_NS5minusItEEEE10hipError_tPvRmT2_T3_mT4_P12ihipStream_tbEUlT_E_NS1_11comp_targetILNS1_3genE0ELNS1_11target_archE4294967295ELNS1_3gpuE0ELNS1_3repE0EEENS1_30default_config_static_selectorELNS0_4arch9wavefront6targetE0EEEvT1_,"axG",@progbits,_ZN7rocprim17ROCPRIM_400000_NS6detail17trampoline_kernelINS0_14default_configENS1_35adjacent_difference_config_selectorILb0EtEEZNS1_24adjacent_difference_implIS3_Lb0ELb0EPtS7_N6thrust23THRUST_200600_302600_NS5minusItEEEE10hipError_tPvRmT2_T3_mT4_P12ihipStream_tbEUlT_E_NS1_11comp_targetILNS1_3genE0ELNS1_11target_archE4294967295ELNS1_3gpuE0ELNS1_3repE0EEENS1_30default_config_static_selectorELNS0_4arch9wavefront6targetE0EEEvT1_,comdat
.Lfunc_end206:
	.size	_ZN7rocprim17ROCPRIM_400000_NS6detail17trampoline_kernelINS0_14default_configENS1_35adjacent_difference_config_selectorILb0EtEEZNS1_24adjacent_difference_implIS3_Lb0ELb0EPtS7_N6thrust23THRUST_200600_302600_NS5minusItEEEE10hipError_tPvRmT2_T3_mT4_P12ihipStream_tbEUlT_E_NS1_11comp_targetILNS1_3genE0ELNS1_11target_archE4294967295ELNS1_3gpuE0ELNS1_3repE0EEENS1_30default_config_static_selectorELNS0_4arch9wavefront6targetE0EEEvT1_, .Lfunc_end206-_ZN7rocprim17ROCPRIM_400000_NS6detail17trampoline_kernelINS0_14default_configENS1_35adjacent_difference_config_selectorILb0EtEEZNS1_24adjacent_difference_implIS3_Lb0ELb0EPtS7_N6thrust23THRUST_200600_302600_NS5minusItEEEE10hipError_tPvRmT2_T3_mT4_P12ihipStream_tbEUlT_E_NS1_11comp_targetILNS1_3genE0ELNS1_11target_archE4294967295ELNS1_3gpuE0ELNS1_3repE0EEENS1_30default_config_static_selectorELNS0_4arch9wavefront6targetE0EEEvT1_
                                        ; -- End function
	.section	.AMDGPU.csdata,"",@progbits
; Kernel info:
; codeLenInByte = 0
; NumSgprs: 0
; NumVgprs: 0
; ScratchSize: 0
; MemoryBound: 0
; FloatMode: 240
; IeeeMode: 1
; LDSByteSize: 0 bytes/workgroup (compile time only)
; SGPRBlocks: 0
; VGPRBlocks: 0
; NumSGPRsForWavesPerEU: 1
; NumVGPRsForWavesPerEU: 1
; Occupancy: 16
; WaveLimiterHint : 0
; COMPUTE_PGM_RSRC2:SCRATCH_EN: 0
; COMPUTE_PGM_RSRC2:USER_SGPR: 15
; COMPUTE_PGM_RSRC2:TRAP_HANDLER: 0
; COMPUTE_PGM_RSRC2:TGID_X_EN: 1
; COMPUTE_PGM_RSRC2:TGID_Y_EN: 0
; COMPUTE_PGM_RSRC2:TGID_Z_EN: 0
; COMPUTE_PGM_RSRC2:TIDIG_COMP_CNT: 0
	.section	.text._ZN7rocprim17ROCPRIM_400000_NS6detail17trampoline_kernelINS0_14default_configENS1_35adjacent_difference_config_selectorILb0EtEEZNS1_24adjacent_difference_implIS3_Lb0ELb0EPtS7_N6thrust23THRUST_200600_302600_NS5minusItEEEE10hipError_tPvRmT2_T3_mT4_P12ihipStream_tbEUlT_E_NS1_11comp_targetILNS1_3genE10ELNS1_11target_archE1201ELNS1_3gpuE5ELNS1_3repE0EEENS1_30default_config_static_selectorELNS0_4arch9wavefront6targetE0EEEvT1_,"axG",@progbits,_ZN7rocprim17ROCPRIM_400000_NS6detail17trampoline_kernelINS0_14default_configENS1_35adjacent_difference_config_selectorILb0EtEEZNS1_24adjacent_difference_implIS3_Lb0ELb0EPtS7_N6thrust23THRUST_200600_302600_NS5minusItEEEE10hipError_tPvRmT2_T3_mT4_P12ihipStream_tbEUlT_E_NS1_11comp_targetILNS1_3genE10ELNS1_11target_archE1201ELNS1_3gpuE5ELNS1_3repE0EEENS1_30default_config_static_selectorELNS0_4arch9wavefront6targetE0EEEvT1_,comdat
	.protected	_ZN7rocprim17ROCPRIM_400000_NS6detail17trampoline_kernelINS0_14default_configENS1_35adjacent_difference_config_selectorILb0EtEEZNS1_24adjacent_difference_implIS3_Lb0ELb0EPtS7_N6thrust23THRUST_200600_302600_NS5minusItEEEE10hipError_tPvRmT2_T3_mT4_P12ihipStream_tbEUlT_E_NS1_11comp_targetILNS1_3genE10ELNS1_11target_archE1201ELNS1_3gpuE5ELNS1_3repE0EEENS1_30default_config_static_selectorELNS0_4arch9wavefront6targetE0EEEvT1_ ; -- Begin function _ZN7rocprim17ROCPRIM_400000_NS6detail17trampoline_kernelINS0_14default_configENS1_35adjacent_difference_config_selectorILb0EtEEZNS1_24adjacent_difference_implIS3_Lb0ELb0EPtS7_N6thrust23THRUST_200600_302600_NS5minusItEEEE10hipError_tPvRmT2_T3_mT4_P12ihipStream_tbEUlT_E_NS1_11comp_targetILNS1_3genE10ELNS1_11target_archE1201ELNS1_3gpuE5ELNS1_3repE0EEENS1_30default_config_static_selectorELNS0_4arch9wavefront6targetE0EEEvT1_
	.globl	_ZN7rocprim17ROCPRIM_400000_NS6detail17trampoline_kernelINS0_14default_configENS1_35adjacent_difference_config_selectorILb0EtEEZNS1_24adjacent_difference_implIS3_Lb0ELb0EPtS7_N6thrust23THRUST_200600_302600_NS5minusItEEEE10hipError_tPvRmT2_T3_mT4_P12ihipStream_tbEUlT_E_NS1_11comp_targetILNS1_3genE10ELNS1_11target_archE1201ELNS1_3gpuE5ELNS1_3repE0EEENS1_30default_config_static_selectorELNS0_4arch9wavefront6targetE0EEEvT1_
	.p2align	8
	.type	_ZN7rocprim17ROCPRIM_400000_NS6detail17trampoline_kernelINS0_14default_configENS1_35adjacent_difference_config_selectorILb0EtEEZNS1_24adjacent_difference_implIS3_Lb0ELb0EPtS7_N6thrust23THRUST_200600_302600_NS5minusItEEEE10hipError_tPvRmT2_T3_mT4_P12ihipStream_tbEUlT_E_NS1_11comp_targetILNS1_3genE10ELNS1_11target_archE1201ELNS1_3gpuE5ELNS1_3repE0EEENS1_30default_config_static_selectorELNS0_4arch9wavefront6targetE0EEEvT1_,@function
_ZN7rocprim17ROCPRIM_400000_NS6detail17trampoline_kernelINS0_14default_configENS1_35adjacent_difference_config_selectorILb0EtEEZNS1_24adjacent_difference_implIS3_Lb0ELb0EPtS7_N6thrust23THRUST_200600_302600_NS5minusItEEEE10hipError_tPvRmT2_T3_mT4_P12ihipStream_tbEUlT_E_NS1_11comp_targetILNS1_3genE10ELNS1_11target_archE1201ELNS1_3gpuE5ELNS1_3repE0EEENS1_30default_config_static_selectorELNS0_4arch9wavefront6targetE0EEEvT1_: ; @_ZN7rocprim17ROCPRIM_400000_NS6detail17trampoline_kernelINS0_14default_configENS1_35adjacent_difference_config_selectorILb0EtEEZNS1_24adjacent_difference_implIS3_Lb0ELb0EPtS7_N6thrust23THRUST_200600_302600_NS5minusItEEEE10hipError_tPvRmT2_T3_mT4_P12ihipStream_tbEUlT_E_NS1_11comp_targetILNS1_3genE10ELNS1_11target_archE1201ELNS1_3gpuE5ELNS1_3repE0EEENS1_30default_config_static_selectorELNS0_4arch9wavefront6targetE0EEEvT1_
; %bb.0:
	.section	.rodata,"a",@progbits
	.p2align	6, 0x0
	.amdhsa_kernel _ZN7rocprim17ROCPRIM_400000_NS6detail17trampoline_kernelINS0_14default_configENS1_35adjacent_difference_config_selectorILb0EtEEZNS1_24adjacent_difference_implIS3_Lb0ELb0EPtS7_N6thrust23THRUST_200600_302600_NS5minusItEEEE10hipError_tPvRmT2_T3_mT4_P12ihipStream_tbEUlT_E_NS1_11comp_targetILNS1_3genE10ELNS1_11target_archE1201ELNS1_3gpuE5ELNS1_3repE0EEENS1_30default_config_static_selectorELNS0_4arch9wavefront6targetE0EEEvT1_
		.amdhsa_group_segment_fixed_size 0
		.amdhsa_private_segment_fixed_size 0
		.amdhsa_kernarg_size 56
		.amdhsa_user_sgpr_count 15
		.amdhsa_user_sgpr_dispatch_ptr 0
		.amdhsa_user_sgpr_queue_ptr 0
		.amdhsa_user_sgpr_kernarg_segment_ptr 1
		.amdhsa_user_sgpr_dispatch_id 0
		.amdhsa_user_sgpr_private_segment_size 0
		.amdhsa_wavefront_size32 1
		.amdhsa_uses_dynamic_stack 0
		.amdhsa_enable_private_segment 0
		.amdhsa_system_sgpr_workgroup_id_x 1
		.amdhsa_system_sgpr_workgroup_id_y 0
		.amdhsa_system_sgpr_workgroup_id_z 0
		.amdhsa_system_sgpr_workgroup_info 0
		.amdhsa_system_vgpr_workitem_id 0
		.amdhsa_next_free_vgpr 1
		.amdhsa_next_free_sgpr 1
		.amdhsa_reserve_vcc 0
		.amdhsa_float_round_mode_32 0
		.amdhsa_float_round_mode_16_64 0
		.amdhsa_float_denorm_mode_32 3
		.amdhsa_float_denorm_mode_16_64 3
		.amdhsa_dx10_clamp 1
		.amdhsa_ieee_mode 1
		.amdhsa_fp16_overflow 0
		.amdhsa_workgroup_processor_mode 1
		.amdhsa_memory_ordered 1
		.amdhsa_forward_progress 0
		.amdhsa_shared_vgpr_count 0
		.amdhsa_exception_fp_ieee_invalid_op 0
		.amdhsa_exception_fp_denorm_src 0
		.amdhsa_exception_fp_ieee_div_zero 0
		.amdhsa_exception_fp_ieee_overflow 0
		.amdhsa_exception_fp_ieee_underflow 0
		.amdhsa_exception_fp_ieee_inexact 0
		.amdhsa_exception_int_div_zero 0
	.end_amdhsa_kernel
	.section	.text._ZN7rocprim17ROCPRIM_400000_NS6detail17trampoline_kernelINS0_14default_configENS1_35adjacent_difference_config_selectorILb0EtEEZNS1_24adjacent_difference_implIS3_Lb0ELb0EPtS7_N6thrust23THRUST_200600_302600_NS5minusItEEEE10hipError_tPvRmT2_T3_mT4_P12ihipStream_tbEUlT_E_NS1_11comp_targetILNS1_3genE10ELNS1_11target_archE1201ELNS1_3gpuE5ELNS1_3repE0EEENS1_30default_config_static_selectorELNS0_4arch9wavefront6targetE0EEEvT1_,"axG",@progbits,_ZN7rocprim17ROCPRIM_400000_NS6detail17trampoline_kernelINS0_14default_configENS1_35adjacent_difference_config_selectorILb0EtEEZNS1_24adjacent_difference_implIS3_Lb0ELb0EPtS7_N6thrust23THRUST_200600_302600_NS5minusItEEEE10hipError_tPvRmT2_T3_mT4_P12ihipStream_tbEUlT_E_NS1_11comp_targetILNS1_3genE10ELNS1_11target_archE1201ELNS1_3gpuE5ELNS1_3repE0EEENS1_30default_config_static_selectorELNS0_4arch9wavefront6targetE0EEEvT1_,comdat
.Lfunc_end207:
	.size	_ZN7rocprim17ROCPRIM_400000_NS6detail17trampoline_kernelINS0_14default_configENS1_35adjacent_difference_config_selectorILb0EtEEZNS1_24adjacent_difference_implIS3_Lb0ELb0EPtS7_N6thrust23THRUST_200600_302600_NS5minusItEEEE10hipError_tPvRmT2_T3_mT4_P12ihipStream_tbEUlT_E_NS1_11comp_targetILNS1_3genE10ELNS1_11target_archE1201ELNS1_3gpuE5ELNS1_3repE0EEENS1_30default_config_static_selectorELNS0_4arch9wavefront6targetE0EEEvT1_, .Lfunc_end207-_ZN7rocprim17ROCPRIM_400000_NS6detail17trampoline_kernelINS0_14default_configENS1_35adjacent_difference_config_selectorILb0EtEEZNS1_24adjacent_difference_implIS3_Lb0ELb0EPtS7_N6thrust23THRUST_200600_302600_NS5minusItEEEE10hipError_tPvRmT2_T3_mT4_P12ihipStream_tbEUlT_E_NS1_11comp_targetILNS1_3genE10ELNS1_11target_archE1201ELNS1_3gpuE5ELNS1_3repE0EEENS1_30default_config_static_selectorELNS0_4arch9wavefront6targetE0EEEvT1_
                                        ; -- End function
	.section	.AMDGPU.csdata,"",@progbits
; Kernel info:
; codeLenInByte = 0
; NumSgprs: 0
; NumVgprs: 0
; ScratchSize: 0
; MemoryBound: 0
; FloatMode: 240
; IeeeMode: 1
; LDSByteSize: 0 bytes/workgroup (compile time only)
; SGPRBlocks: 0
; VGPRBlocks: 0
; NumSGPRsForWavesPerEU: 1
; NumVGPRsForWavesPerEU: 1
; Occupancy: 16
; WaveLimiterHint : 0
; COMPUTE_PGM_RSRC2:SCRATCH_EN: 0
; COMPUTE_PGM_RSRC2:USER_SGPR: 15
; COMPUTE_PGM_RSRC2:TRAP_HANDLER: 0
; COMPUTE_PGM_RSRC2:TGID_X_EN: 1
; COMPUTE_PGM_RSRC2:TGID_Y_EN: 0
; COMPUTE_PGM_RSRC2:TGID_Z_EN: 0
; COMPUTE_PGM_RSRC2:TIDIG_COMP_CNT: 0
	.section	.text._ZN7rocprim17ROCPRIM_400000_NS6detail17trampoline_kernelINS0_14default_configENS1_35adjacent_difference_config_selectorILb0EtEEZNS1_24adjacent_difference_implIS3_Lb0ELb0EPtS7_N6thrust23THRUST_200600_302600_NS5minusItEEEE10hipError_tPvRmT2_T3_mT4_P12ihipStream_tbEUlT_E_NS1_11comp_targetILNS1_3genE5ELNS1_11target_archE942ELNS1_3gpuE9ELNS1_3repE0EEENS1_30default_config_static_selectorELNS0_4arch9wavefront6targetE0EEEvT1_,"axG",@progbits,_ZN7rocprim17ROCPRIM_400000_NS6detail17trampoline_kernelINS0_14default_configENS1_35adjacent_difference_config_selectorILb0EtEEZNS1_24adjacent_difference_implIS3_Lb0ELb0EPtS7_N6thrust23THRUST_200600_302600_NS5minusItEEEE10hipError_tPvRmT2_T3_mT4_P12ihipStream_tbEUlT_E_NS1_11comp_targetILNS1_3genE5ELNS1_11target_archE942ELNS1_3gpuE9ELNS1_3repE0EEENS1_30default_config_static_selectorELNS0_4arch9wavefront6targetE0EEEvT1_,comdat
	.protected	_ZN7rocprim17ROCPRIM_400000_NS6detail17trampoline_kernelINS0_14default_configENS1_35adjacent_difference_config_selectorILb0EtEEZNS1_24adjacent_difference_implIS3_Lb0ELb0EPtS7_N6thrust23THRUST_200600_302600_NS5minusItEEEE10hipError_tPvRmT2_T3_mT4_P12ihipStream_tbEUlT_E_NS1_11comp_targetILNS1_3genE5ELNS1_11target_archE942ELNS1_3gpuE9ELNS1_3repE0EEENS1_30default_config_static_selectorELNS0_4arch9wavefront6targetE0EEEvT1_ ; -- Begin function _ZN7rocprim17ROCPRIM_400000_NS6detail17trampoline_kernelINS0_14default_configENS1_35adjacent_difference_config_selectorILb0EtEEZNS1_24adjacent_difference_implIS3_Lb0ELb0EPtS7_N6thrust23THRUST_200600_302600_NS5minusItEEEE10hipError_tPvRmT2_T3_mT4_P12ihipStream_tbEUlT_E_NS1_11comp_targetILNS1_3genE5ELNS1_11target_archE942ELNS1_3gpuE9ELNS1_3repE0EEENS1_30default_config_static_selectorELNS0_4arch9wavefront6targetE0EEEvT1_
	.globl	_ZN7rocprim17ROCPRIM_400000_NS6detail17trampoline_kernelINS0_14default_configENS1_35adjacent_difference_config_selectorILb0EtEEZNS1_24adjacent_difference_implIS3_Lb0ELb0EPtS7_N6thrust23THRUST_200600_302600_NS5minusItEEEE10hipError_tPvRmT2_T3_mT4_P12ihipStream_tbEUlT_E_NS1_11comp_targetILNS1_3genE5ELNS1_11target_archE942ELNS1_3gpuE9ELNS1_3repE0EEENS1_30default_config_static_selectorELNS0_4arch9wavefront6targetE0EEEvT1_
	.p2align	8
	.type	_ZN7rocprim17ROCPRIM_400000_NS6detail17trampoline_kernelINS0_14default_configENS1_35adjacent_difference_config_selectorILb0EtEEZNS1_24adjacent_difference_implIS3_Lb0ELb0EPtS7_N6thrust23THRUST_200600_302600_NS5minusItEEEE10hipError_tPvRmT2_T3_mT4_P12ihipStream_tbEUlT_E_NS1_11comp_targetILNS1_3genE5ELNS1_11target_archE942ELNS1_3gpuE9ELNS1_3repE0EEENS1_30default_config_static_selectorELNS0_4arch9wavefront6targetE0EEEvT1_,@function
_ZN7rocprim17ROCPRIM_400000_NS6detail17trampoline_kernelINS0_14default_configENS1_35adjacent_difference_config_selectorILb0EtEEZNS1_24adjacent_difference_implIS3_Lb0ELb0EPtS7_N6thrust23THRUST_200600_302600_NS5minusItEEEE10hipError_tPvRmT2_T3_mT4_P12ihipStream_tbEUlT_E_NS1_11comp_targetILNS1_3genE5ELNS1_11target_archE942ELNS1_3gpuE9ELNS1_3repE0EEENS1_30default_config_static_selectorELNS0_4arch9wavefront6targetE0EEEvT1_: ; @_ZN7rocprim17ROCPRIM_400000_NS6detail17trampoline_kernelINS0_14default_configENS1_35adjacent_difference_config_selectorILb0EtEEZNS1_24adjacent_difference_implIS3_Lb0ELb0EPtS7_N6thrust23THRUST_200600_302600_NS5minusItEEEE10hipError_tPvRmT2_T3_mT4_P12ihipStream_tbEUlT_E_NS1_11comp_targetILNS1_3genE5ELNS1_11target_archE942ELNS1_3gpuE9ELNS1_3repE0EEENS1_30default_config_static_selectorELNS0_4arch9wavefront6targetE0EEEvT1_
; %bb.0:
	.section	.rodata,"a",@progbits
	.p2align	6, 0x0
	.amdhsa_kernel _ZN7rocprim17ROCPRIM_400000_NS6detail17trampoline_kernelINS0_14default_configENS1_35adjacent_difference_config_selectorILb0EtEEZNS1_24adjacent_difference_implIS3_Lb0ELb0EPtS7_N6thrust23THRUST_200600_302600_NS5minusItEEEE10hipError_tPvRmT2_T3_mT4_P12ihipStream_tbEUlT_E_NS1_11comp_targetILNS1_3genE5ELNS1_11target_archE942ELNS1_3gpuE9ELNS1_3repE0EEENS1_30default_config_static_selectorELNS0_4arch9wavefront6targetE0EEEvT1_
		.amdhsa_group_segment_fixed_size 0
		.amdhsa_private_segment_fixed_size 0
		.amdhsa_kernarg_size 56
		.amdhsa_user_sgpr_count 15
		.amdhsa_user_sgpr_dispatch_ptr 0
		.amdhsa_user_sgpr_queue_ptr 0
		.amdhsa_user_sgpr_kernarg_segment_ptr 1
		.amdhsa_user_sgpr_dispatch_id 0
		.amdhsa_user_sgpr_private_segment_size 0
		.amdhsa_wavefront_size32 1
		.amdhsa_uses_dynamic_stack 0
		.amdhsa_enable_private_segment 0
		.amdhsa_system_sgpr_workgroup_id_x 1
		.amdhsa_system_sgpr_workgroup_id_y 0
		.amdhsa_system_sgpr_workgroup_id_z 0
		.amdhsa_system_sgpr_workgroup_info 0
		.amdhsa_system_vgpr_workitem_id 0
		.amdhsa_next_free_vgpr 1
		.amdhsa_next_free_sgpr 1
		.amdhsa_reserve_vcc 0
		.amdhsa_float_round_mode_32 0
		.amdhsa_float_round_mode_16_64 0
		.amdhsa_float_denorm_mode_32 3
		.amdhsa_float_denorm_mode_16_64 3
		.amdhsa_dx10_clamp 1
		.amdhsa_ieee_mode 1
		.amdhsa_fp16_overflow 0
		.amdhsa_workgroup_processor_mode 1
		.amdhsa_memory_ordered 1
		.amdhsa_forward_progress 0
		.amdhsa_shared_vgpr_count 0
		.amdhsa_exception_fp_ieee_invalid_op 0
		.amdhsa_exception_fp_denorm_src 0
		.amdhsa_exception_fp_ieee_div_zero 0
		.amdhsa_exception_fp_ieee_overflow 0
		.amdhsa_exception_fp_ieee_underflow 0
		.amdhsa_exception_fp_ieee_inexact 0
		.amdhsa_exception_int_div_zero 0
	.end_amdhsa_kernel
	.section	.text._ZN7rocprim17ROCPRIM_400000_NS6detail17trampoline_kernelINS0_14default_configENS1_35adjacent_difference_config_selectorILb0EtEEZNS1_24adjacent_difference_implIS3_Lb0ELb0EPtS7_N6thrust23THRUST_200600_302600_NS5minusItEEEE10hipError_tPvRmT2_T3_mT4_P12ihipStream_tbEUlT_E_NS1_11comp_targetILNS1_3genE5ELNS1_11target_archE942ELNS1_3gpuE9ELNS1_3repE0EEENS1_30default_config_static_selectorELNS0_4arch9wavefront6targetE0EEEvT1_,"axG",@progbits,_ZN7rocprim17ROCPRIM_400000_NS6detail17trampoline_kernelINS0_14default_configENS1_35adjacent_difference_config_selectorILb0EtEEZNS1_24adjacent_difference_implIS3_Lb0ELb0EPtS7_N6thrust23THRUST_200600_302600_NS5minusItEEEE10hipError_tPvRmT2_T3_mT4_P12ihipStream_tbEUlT_E_NS1_11comp_targetILNS1_3genE5ELNS1_11target_archE942ELNS1_3gpuE9ELNS1_3repE0EEENS1_30default_config_static_selectorELNS0_4arch9wavefront6targetE0EEEvT1_,comdat
.Lfunc_end208:
	.size	_ZN7rocprim17ROCPRIM_400000_NS6detail17trampoline_kernelINS0_14default_configENS1_35adjacent_difference_config_selectorILb0EtEEZNS1_24adjacent_difference_implIS3_Lb0ELb0EPtS7_N6thrust23THRUST_200600_302600_NS5minusItEEEE10hipError_tPvRmT2_T3_mT4_P12ihipStream_tbEUlT_E_NS1_11comp_targetILNS1_3genE5ELNS1_11target_archE942ELNS1_3gpuE9ELNS1_3repE0EEENS1_30default_config_static_selectorELNS0_4arch9wavefront6targetE0EEEvT1_, .Lfunc_end208-_ZN7rocprim17ROCPRIM_400000_NS6detail17trampoline_kernelINS0_14default_configENS1_35adjacent_difference_config_selectorILb0EtEEZNS1_24adjacent_difference_implIS3_Lb0ELb0EPtS7_N6thrust23THRUST_200600_302600_NS5minusItEEEE10hipError_tPvRmT2_T3_mT4_P12ihipStream_tbEUlT_E_NS1_11comp_targetILNS1_3genE5ELNS1_11target_archE942ELNS1_3gpuE9ELNS1_3repE0EEENS1_30default_config_static_selectorELNS0_4arch9wavefront6targetE0EEEvT1_
                                        ; -- End function
	.section	.AMDGPU.csdata,"",@progbits
; Kernel info:
; codeLenInByte = 0
; NumSgprs: 0
; NumVgprs: 0
; ScratchSize: 0
; MemoryBound: 0
; FloatMode: 240
; IeeeMode: 1
; LDSByteSize: 0 bytes/workgroup (compile time only)
; SGPRBlocks: 0
; VGPRBlocks: 0
; NumSGPRsForWavesPerEU: 1
; NumVGPRsForWavesPerEU: 1
; Occupancy: 16
; WaveLimiterHint : 0
; COMPUTE_PGM_RSRC2:SCRATCH_EN: 0
; COMPUTE_PGM_RSRC2:USER_SGPR: 15
; COMPUTE_PGM_RSRC2:TRAP_HANDLER: 0
; COMPUTE_PGM_RSRC2:TGID_X_EN: 1
; COMPUTE_PGM_RSRC2:TGID_Y_EN: 0
; COMPUTE_PGM_RSRC2:TGID_Z_EN: 0
; COMPUTE_PGM_RSRC2:TIDIG_COMP_CNT: 0
	.section	.text._ZN7rocprim17ROCPRIM_400000_NS6detail17trampoline_kernelINS0_14default_configENS1_35adjacent_difference_config_selectorILb0EtEEZNS1_24adjacent_difference_implIS3_Lb0ELb0EPtS7_N6thrust23THRUST_200600_302600_NS5minusItEEEE10hipError_tPvRmT2_T3_mT4_P12ihipStream_tbEUlT_E_NS1_11comp_targetILNS1_3genE4ELNS1_11target_archE910ELNS1_3gpuE8ELNS1_3repE0EEENS1_30default_config_static_selectorELNS0_4arch9wavefront6targetE0EEEvT1_,"axG",@progbits,_ZN7rocprim17ROCPRIM_400000_NS6detail17trampoline_kernelINS0_14default_configENS1_35adjacent_difference_config_selectorILb0EtEEZNS1_24adjacent_difference_implIS3_Lb0ELb0EPtS7_N6thrust23THRUST_200600_302600_NS5minusItEEEE10hipError_tPvRmT2_T3_mT4_P12ihipStream_tbEUlT_E_NS1_11comp_targetILNS1_3genE4ELNS1_11target_archE910ELNS1_3gpuE8ELNS1_3repE0EEENS1_30default_config_static_selectorELNS0_4arch9wavefront6targetE0EEEvT1_,comdat
	.protected	_ZN7rocprim17ROCPRIM_400000_NS6detail17trampoline_kernelINS0_14default_configENS1_35adjacent_difference_config_selectorILb0EtEEZNS1_24adjacent_difference_implIS3_Lb0ELb0EPtS7_N6thrust23THRUST_200600_302600_NS5minusItEEEE10hipError_tPvRmT2_T3_mT4_P12ihipStream_tbEUlT_E_NS1_11comp_targetILNS1_3genE4ELNS1_11target_archE910ELNS1_3gpuE8ELNS1_3repE0EEENS1_30default_config_static_selectorELNS0_4arch9wavefront6targetE0EEEvT1_ ; -- Begin function _ZN7rocprim17ROCPRIM_400000_NS6detail17trampoline_kernelINS0_14default_configENS1_35adjacent_difference_config_selectorILb0EtEEZNS1_24adjacent_difference_implIS3_Lb0ELb0EPtS7_N6thrust23THRUST_200600_302600_NS5minusItEEEE10hipError_tPvRmT2_T3_mT4_P12ihipStream_tbEUlT_E_NS1_11comp_targetILNS1_3genE4ELNS1_11target_archE910ELNS1_3gpuE8ELNS1_3repE0EEENS1_30default_config_static_selectorELNS0_4arch9wavefront6targetE0EEEvT1_
	.globl	_ZN7rocprim17ROCPRIM_400000_NS6detail17trampoline_kernelINS0_14default_configENS1_35adjacent_difference_config_selectorILb0EtEEZNS1_24adjacent_difference_implIS3_Lb0ELb0EPtS7_N6thrust23THRUST_200600_302600_NS5minusItEEEE10hipError_tPvRmT2_T3_mT4_P12ihipStream_tbEUlT_E_NS1_11comp_targetILNS1_3genE4ELNS1_11target_archE910ELNS1_3gpuE8ELNS1_3repE0EEENS1_30default_config_static_selectorELNS0_4arch9wavefront6targetE0EEEvT1_
	.p2align	8
	.type	_ZN7rocprim17ROCPRIM_400000_NS6detail17trampoline_kernelINS0_14default_configENS1_35adjacent_difference_config_selectorILb0EtEEZNS1_24adjacent_difference_implIS3_Lb0ELb0EPtS7_N6thrust23THRUST_200600_302600_NS5minusItEEEE10hipError_tPvRmT2_T3_mT4_P12ihipStream_tbEUlT_E_NS1_11comp_targetILNS1_3genE4ELNS1_11target_archE910ELNS1_3gpuE8ELNS1_3repE0EEENS1_30default_config_static_selectorELNS0_4arch9wavefront6targetE0EEEvT1_,@function
_ZN7rocprim17ROCPRIM_400000_NS6detail17trampoline_kernelINS0_14default_configENS1_35adjacent_difference_config_selectorILb0EtEEZNS1_24adjacent_difference_implIS3_Lb0ELb0EPtS7_N6thrust23THRUST_200600_302600_NS5minusItEEEE10hipError_tPvRmT2_T3_mT4_P12ihipStream_tbEUlT_E_NS1_11comp_targetILNS1_3genE4ELNS1_11target_archE910ELNS1_3gpuE8ELNS1_3repE0EEENS1_30default_config_static_selectorELNS0_4arch9wavefront6targetE0EEEvT1_: ; @_ZN7rocprim17ROCPRIM_400000_NS6detail17trampoline_kernelINS0_14default_configENS1_35adjacent_difference_config_selectorILb0EtEEZNS1_24adjacent_difference_implIS3_Lb0ELb0EPtS7_N6thrust23THRUST_200600_302600_NS5minusItEEEE10hipError_tPvRmT2_T3_mT4_P12ihipStream_tbEUlT_E_NS1_11comp_targetILNS1_3genE4ELNS1_11target_archE910ELNS1_3gpuE8ELNS1_3repE0EEENS1_30default_config_static_selectorELNS0_4arch9wavefront6targetE0EEEvT1_
; %bb.0:
	.section	.rodata,"a",@progbits
	.p2align	6, 0x0
	.amdhsa_kernel _ZN7rocprim17ROCPRIM_400000_NS6detail17trampoline_kernelINS0_14default_configENS1_35adjacent_difference_config_selectorILb0EtEEZNS1_24adjacent_difference_implIS3_Lb0ELb0EPtS7_N6thrust23THRUST_200600_302600_NS5minusItEEEE10hipError_tPvRmT2_T3_mT4_P12ihipStream_tbEUlT_E_NS1_11comp_targetILNS1_3genE4ELNS1_11target_archE910ELNS1_3gpuE8ELNS1_3repE0EEENS1_30default_config_static_selectorELNS0_4arch9wavefront6targetE0EEEvT1_
		.amdhsa_group_segment_fixed_size 0
		.amdhsa_private_segment_fixed_size 0
		.amdhsa_kernarg_size 56
		.amdhsa_user_sgpr_count 15
		.amdhsa_user_sgpr_dispatch_ptr 0
		.amdhsa_user_sgpr_queue_ptr 0
		.amdhsa_user_sgpr_kernarg_segment_ptr 1
		.amdhsa_user_sgpr_dispatch_id 0
		.amdhsa_user_sgpr_private_segment_size 0
		.amdhsa_wavefront_size32 1
		.amdhsa_uses_dynamic_stack 0
		.amdhsa_enable_private_segment 0
		.amdhsa_system_sgpr_workgroup_id_x 1
		.amdhsa_system_sgpr_workgroup_id_y 0
		.amdhsa_system_sgpr_workgroup_id_z 0
		.amdhsa_system_sgpr_workgroup_info 0
		.amdhsa_system_vgpr_workitem_id 0
		.amdhsa_next_free_vgpr 1
		.amdhsa_next_free_sgpr 1
		.amdhsa_reserve_vcc 0
		.amdhsa_float_round_mode_32 0
		.amdhsa_float_round_mode_16_64 0
		.amdhsa_float_denorm_mode_32 3
		.amdhsa_float_denorm_mode_16_64 3
		.amdhsa_dx10_clamp 1
		.amdhsa_ieee_mode 1
		.amdhsa_fp16_overflow 0
		.amdhsa_workgroup_processor_mode 1
		.amdhsa_memory_ordered 1
		.amdhsa_forward_progress 0
		.amdhsa_shared_vgpr_count 0
		.amdhsa_exception_fp_ieee_invalid_op 0
		.amdhsa_exception_fp_denorm_src 0
		.amdhsa_exception_fp_ieee_div_zero 0
		.amdhsa_exception_fp_ieee_overflow 0
		.amdhsa_exception_fp_ieee_underflow 0
		.amdhsa_exception_fp_ieee_inexact 0
		.amdhsa_exception_int_div_zero 0
	.end_amdhsa_kernel
	.section	.text._ZN7rocprim17ROCPRIM_400000_NS6detail17trampoline_kernelINS0_14default_configENS1_35adjacent_difference_config_selectorILb0EtEEZNS1_24adjacent_difference_implIS3_Lb0ELb0EPtS7_N6thrust23THRUST_200600_302600_NS5minusItEEEE10hipError_tPvRmT2_T3_mT4_P12ihipStream_tbEUlT_E_NS1_11comp_targetILNS1_3genE4ELNS1_11target_archE910ELNS1_3gpuE8ELNS1_3repE0EEENS1_30default_config_static_selectorELNS0_4arch9wavefront6targetE0EEEvT1_,"axG",@progbits,_ZN7rocprim17ROCPRIM_400000_NS6detail17trampoline_kernelINS0_14default_configENS1_35adjacent_difference_config_selectorILb0EtEEZNS1_24adjacent_difference_implIS3_Lb0ELb0EPtS7_N6thrust23THRUST_200600_302600_NS5minusItEEEE10hipError_tPvRmT2_T3_mT4_P12ihipStream_tbEUlT_E_NS1_11comp_targetILNS1_3genE4ELNS1_11target_archE910ELNS1_3gpuE8ELNS1_3repE0EEENS1_30default_config_static_selectorELNS0_4arch9wavefront6targetE0EEEvT1_,comdat
.Lfunc_end209:
	.size	_ZN7rocprim17ROCPRIM_400000_NS6detail17trampoline_kernelINS0_14default_configENS1_35adjacent_difference_config_selectorILb0EtEEZNS1_24adjacent_difference_implIS3_Lb0ELb0EPtS7_N6thrust23THRUST_200600_302600_NS5minusItEEEE10hipError_tPvRmT2_T3_mT4_P12ihipStream_tbEUlT_E_NS1_11comp_targetILNS1_3genE4ELNS1_11target_archE910ELNS1_3gpuE8ELNS1_3repE0EEENS1_30default_config_static_selectorELNS0_4arch9wavefront6targetE0EEEvT1_, .Lfunc_end209-_ZN7rocprim17ROCPRIM_400000_NS6detail17trampoline_kernelINS0_14default_configENS1_35adjacent_difference_config_selectorILb0EtEEZNS1_24adjacent_difference_implIS3_Lb0ELb0EPtS7_N6thrust23THRUST_200600_302600_NS5minusItEEEE10hipError_tPvRmT2_T3_mT4_P12ihipStream_tbEUlT_E_NS1_11comp_targetILNS1_3genE4ELNS1_11target_archE910ELNS1_3gpuE8ELNS1_3repE0EEENS1_30default_config_static_selectorELNS0_4arch9wavefront6targetE0EEEvT1_
                                        ; -- End function
	.section	.AMDGPU.csdata,"",@progbits
; Kernel info:
; codeLenInByte = 0
; NumSgprs: 0
; NumVgprs: 0
; ScratchSize: 0
; MemoryBound: 0
; FloatMode: 240
; IeeeMode: 1
; LDSByteSize: 0 bytes/workgroup (compile time only)
; SGPRBlocks: 0
; VGPRBlocks: 0
; NumSGPRsForWavesPerEU: 1
; NumVGPRsForWavesPerEU: 1
; Occupancy: 16
; WaveLimiterHint : 0
; COMPUTE_PGM_RSRC2:SCRATCH_EN: 0
; COMPUTE_PGM_RSRC2:USER_SGPR: 15
; COMPUTE_PGM_RSRC2:TRAP_HANDLER: 0
; COMPUTE_PGM_RSRC2:TGID_X_EN: 1
; COMPUTE_PGM_RSRC2:TGID_Y_EN: 0
; COMPUTE_PGM_RSRC2:TGID_Z_EN: 0
; COMPUTE_PGM_RSRC2:TIDIG_COMP_CNT: 0
	.section	.text._ZN7rocprim17ROCPRIM_400000_NS6detail17trampoline_kernelINS0_14default_configENS1_35adjacent_difference_config_selectorILb0EtEEZNS1_24adjacent_difference_implIS3_Lb0ELb0EPtS7_N6thrust23THRUST_200600_302600_NS5minusItEEEE10hipError_tPvRmT2_T3_mT4_P12ihipStream_tbEUlT_E_NS1_11comp_targetILNS1_3genE3ELNS1_11target_archE908ELNS1_3gpuE7ELNS1_3repE0EEENS1_30default_config_static_selectorELNS0_4arch9wavefront6targetE0EEEvT1_,"axG",@progbits,_ZN7rocprim17ROCPRIM_400000_NS6detail17trampoline_kernelINS0_14default_configENS1_35adjacent_difference_config_selectorILb0EtEEZNS1_24adjacent_difference_implIS3_Lb0ELb0EPtS7_N6thrust23THRUST_200600_302600_NS5minusItEEEE10hipError_tPvRmT2_T3_mT4_P12ihipStream_tbEUlT_E_NS1_11comp_targetILNS1_3genE3ELNS1_11target_archE908ELNS1_3gpuE7ELNS1_3repE0EEENS1_30default_config_static_selectorELNS0_4arch9wavefront6targetE0EEEvT1_,comdat
	.protected	_ZN7rocprim17ROCPRIM_400000_NS6detail17trampoline_kernelINS0_14default_configENS1_35adjacent_difference_config_selectorILb0EtEEZNS1_24adjacent_difference_implIS3_Lb0ELb0EPtS7_N6thrust23THRUST_200600_302600_NS5minusItEEEE10hipError_tPvRmT2_T3_mT4_P12ihipStream_tbEUlT_E_NS1_11comp_targetILNS1_3genE3ELNS1_11target_archE908ELNS1_3gpuE7ELNS1_3repE0EEENS1_30default_config_static_selectorELNS0_4arch9wavefront6targetE0EEEvT1_ ; -- Begin function _ZN7rocprim17ROCPRIM_400000_NS6detail17trampoline_kernelINS0_14default_configENS1_35adjacent_difference_config_selectorILb0EtEEZNS1_24adjacent_difference_implIS3_Lb0ELb0EPtS7_N6thrust23THRUST_200600_302600_NS5minusItEEEE10hipError_tPvRmT2_T3_mT4_P12ihipStream_tbEUlT_E_NS1_11comp_targetILNS1_3genE3ELNS1_11target_archE908ELNS1_3gpuE7ELNS1_3repE0EEENS1_30default_config_static_selectorELNS0_4arch9wavefront6targetE0EEEvT1_
	.globl	_ZN7rocprim17ROCPRIM_400000_NS6detail17trampoline_kernelINS0_14default_configENS1_35adjacent_difference_config_selectorILb0EtEEZNS1_24adjacent_difference_implIS3_Lb0ELb0EPtS7_N6thrust23THRUST_200600_302600_NS5minusItEEEE10hipError_tPvRmT2_T3_mT4_P12ihipStream_tbEUlT_E_NS1_11comp_targetILNS1_3genE3ELNS1_11target_archE908ELNS1_3gpuE7ELNS1_3repE0EEENS1_30default_config_static_selectorELNS0_4arch9wavefront6targetE0EEEvT1_
	.p2align	8
	.type	_ZN7rocprim17ROCPRIM_400000_NS6detail17trampoline_kernelINS0_14default_configENS1_35adjacent_difference_config_selectorILb0EtEEZNS1_24adjacent_difference_implIS3_Lb0ELb0EPtS7_N6thrust23THRUST_200600_302600_NS5minusItEEEE10hipError_tPvRmT2_T3_mT4_P12ihipStream_tbEUlT_E_NS1_11comp_targetILNS1_3genE3ELNS1_11target_archE908ELNS1_3gpuE7ELNS1_3repE0EEENS1_30default_config_static_selectorELNS0_4arch9wavefront6targetE0EEEvT1_,@function
_ZN7rocprim17ROCPRIM_400000_NS6detail17trampoline_kernelINS0_14default_configENS1_35adjacent_difference_config_selectorILb0EtEEZNS1_24adjacent_difference_implIS3_Lb0ELb0EPtS7_N6thrust23THRUST_200600_302600_NS5minusItEEEE10hipError_tPvRmT2_T3_mT4_P12ihipStream_tbEUlT_E_NS1_11comp_targetILNS1_3genE3ELNS1_11target_archE908ELNS1_3gpuE7ELNS1_3repE0EEENS1_30default_config_static_selectorELNS0_4arch9wavefront6targetE0EEEvT1_: ; @_ZN7rocprim17ROCPRIM_400000_NS6detail17trampoline_kernelINS0_14default_configENS1_35adjacent_difference_config_selectorILb0EtEEZNS1_24adjacent_difference_implIS3_Lb0ELb0EPtS7_N6thrust23THRUST_200600_302600_NS5minusItEEEE10hipError_tPvRmT2_T3_mT4_P12ihipStream_tbEUlT_E_NS1_11comp_targetILNS1_3genE3ELNS1_11target_archE908ELNS1_3gpuE7ELNS1_3repE0EEENS1_30default_config_static_selectorELNS0_4arch9wavefront6targetE0EEEvT1_
; %bb.0:
	.section	.rodata,"a",@progbits
	.p2align	6, 0x0
	.amdhsa_kernel _ZN7rocprim17ROCPRIM_400000_NS6detail17trampoline_kernelINS0_14default_configENS1_35adjacent_difference_config_selectorILb0EtEEZNS1_24adjacent_difference_implIS3_Lb0ELb0EPtS7_N6thrust23THRUST_200600_302600_NS5minusItEEEE10hipError_tPvRmT2_T3_mT4_P12ihipStream_tbEUlT_E_NS1_11comp_targetILNS1_3genE3ELNS1_11target_archE908ELNS1_3gpuE7ELNS1_3repE0EEENS1_30default_config_static_selectorELNS0_4arch9wavefront6targetE0EEEvT1_
		.amdhsa_group_segment_fixed_size 0
		.amdhsa_private_segment_fixed_size 0
		.amdhsa_kernarg_size 56
		.amdhsa_user_sgpr_count 15
		.amdhsa_user_sgpr_dispatch_ptr 0
		.amdhsa_user_sgpr_queue_ptr 0
		.amdhsa_user_sgpr_kernarg_segment_ptr 1
		.amdhsa_user_sgpr_dispatch_id 0
		.amdhsa_user_sgpr_private_segment_size 0
		.amdhsa_wavefront_size32 1
		.amdhsa_uses_dynamic_stack 0
		.amdhsa_enable_private_segment 0
		.amdhsa_system_sgpr_workgroup_id_x 1
		.amdhsa_system_sgpr_workgroup_id_y 0
		.amdhsa_system_sgpr_workgroup_id_z 0
		.amdhsa_system_sgpr_workgroup_info 0
		.amdhsa_system_vgpr_workitem_id 0
		.amdhsa_next_free_vgpr 1
		.amdhsa_next_free_sgpr 1
		.amdhsa_reserve_vcc 0
		.amdhsa_float_round_mode_32 0
		.amdhsa_float_round_mode_16_64 0
		.amdhsa_float_denorm_mode_32 3
		.amdhsa_float_denorm_mode_16_64 3
		.amdhsa_dx10_clamp 1
		.amdhsa_ieee_mode 1
		.amdhsa_fp16_overflow 0
		.amdhsa_workgroup_processor_mode 1
		.amdhsa_memory_ordered 1
		.amdhsa_forward_progress 0
		.amdhsa_shared_vgpr_count 0
		.amdhsa_exception_fp_ieee_invalid_op 0
		.amdhsa_exception_fp_denorm_src 0
		.amdhsa_exception_fp_ieee_div_zero 0
		.amdhsa_exception_fp_ieee_overflow 0
		.amdhsa_exception_fp_ieee_underflow 0
		.amdhsa_exception_fp_ieee_inexact 0
		.amdhsa_exception_int_div_zero 0
	.end_amdhsa_kernel
	.section	.text._ZN7rocprim17ROCPRIM_400000_NS6detail17trampoline_kernelINS0_14default_configENS1_35adjacent_difference_config_selectorILb0EtEEZNS1_24adjacent_difference_implIS3_Lb0ELb0EPtS7_N6thrust23THRUST_200600_302600_NS5minusItEEEE10hipError_tPvRmT2_T3_mT4_P12ihipStream_tbEUlT_E_NS1_11comp_targetILNS1_3genE3ELNS1_11target_archE908ELNS1_3gpuE7ELNS1_3repE0EEENS1_30default_config_static_selectorELNS0_4arch9wavefront6targetE0EEEvT1_,"axG",@progbits,_ZN7rocprim17ROCPRIM_400000_NS6detail17trampoline_kernelINS0_14default_configENS1_35adjacent_difference_config_selectorILb0EtEEZNS1_24adjacent_difference_implIS3_Lb0ELb0EPtS7_N6thrust23THRUST_200600_302600_NS5minusItEEEE10hipError_tPvRmT2_T3_mT4_P12ihipStream_tbEUlT_E_NS1_11comp_targetILNS1_3genE3ELNS1_11target_archE908ELNS1_3gpuE7ELNS1_3repE0EEENS1_30default_config_static_selectorELNS0_4arch9wavefront6targetE0EEEvT1_,comdat
.Lfunc_end210:
	.size	_ZN7rocprim17ROCPRIM_400000_NS6detail17trampoline_kernelINS0_14default_configENS1_35adjacent_difference_config_selectorILb0EtEEZNS1_24adjacent_difference_implIS3_Lb0ELb0EPtS7_N6thrust23THRUST_200600_302600_NS5minusItEEEE10hipError_tPvRmT2_T3_mT4_P12ihipStream_tbEUlT_E_NS1_11comp_targetILNS1_3genE3ELNS1_11target_archE908ELNS1_3gpuE7ELNS1_3repE0EEENS1_30default_config_static_selectorELNS0_4arch9wavefront6targetE0EEEvT1_, .Lfunc_end210-_ZN7rocprim17ROCPRIM_400000_NS6detail17trampoline_kernelINS0_14default_configENS1_35adjacent_difference_config_selectorILb0EtEEZNS1_24adjacent_difference_implIS3_Lb0ELb0EPtS7_N6thrust23THRUST_200600_302600_NS5minusItEEEE10hipError_tPvRmT2_T3_mT4_P12ihipStream_tbEUlT_E_NS1_11comp_targetILNS1_3genE3ELNS1_11target_archE908ELNS1_3gpuE7ELNS1_3repE0EEENS1_30default_config_static_selectorELNS0_4arch9wavefront6targetE0EEEvT1_
                                        ; -- End function
	.section	.AMDGPU.csdata,"",@progbits
; Kernel info:
; codeLenInByte = 0
; NumSgprs: 0
; NumVgprs: 0
; ScratchSize: 0
; MemoryBound: 0
; FloatMode: 240
; IeeeMode: 1
; LDSByteSize: 0 bytes/workgroup (compile time only)
; SGPRBlocks: 0
; VGPRBlocks: 0
; NumSGPRsForWavesPerEU: 1
; NumVGPRsForWavesPerEU: 1
; Occupancy: 16
; WaveLimiterHint : 0
; COMPUTE_PGM_RSRC2:SCRATCH_EN: 0
; COMPUTE_PGM_RSRC2:USER_SGPR: 15
; COMPUTE_PGM_RSRC2:TRAP_HANDLER: 0
; COMPUTE_PGM_RSRC2:TGID_X_EN: 1
; COMPUTE_PGM_RSRC2:TGID_Y_EN: 0
; COMPUTE_PGM_RSRC2:TGID_Z_EN: 0
; COMPUTE_PGM_RSRC2:TIDIG_COMP_CNT: 0
	.section	.text._ZN7rocprim17ROCPRIM_400000_NS6detail17trampoline_kernelINS0_14default_configENS1_35adjacent_difference_config_selectorILb0EtEEZNS1_24adjacent_difference_implIS3_Lb0ELb0EPtS7_N6thrust23THRUST_200600_302600_NS5minusItEEEE10hipError_tPvRmT2_T3_mT4_P12ihipStream_tbEUlT_E_NS1_11comp_targetILNS1_3genE2ELNS1_11target_archE906ELNS1_3gpuE6ELNS1_3repE0EEENS1_30default_config_static_selectorELNS0_4arch9wavefront6targetE0EEEvT1_,"axG",@progbits,_ZN7rocprim17ROCPRIM_400000_NS6detail17trampoline_kernelINS0_14default_configENS1_35adjacent_difference_config_selectorILb0EtEEZNS1_24adjacent_difference_implIS3_Lb0ELb0EPtS7_N6thrust23THRUST_200600_302600_NS5minusItEEEE10hipError_tPvRmT2_T3_mT4_P12ihipStream_tbEUlT_E_NS1_11comp_targetILNS1_3genE2ELNS1_11target_archE906ELNS1_3gpuE6ELNS1_3repE0EEENS1_30default_config_static_selectorELNS0_4arch9wavefront6targetE0EEEvT1_,comdat
	.protected	_ZN7rocprim17ROCPRIM_400000_NS6detail17trampoline_kernelINS0_14default_configENS1_35adjacent_difference_config_selectorILb0EtEEZNS1_24adjacent_difference_implIS3_Lb0ELb0EPtS7_N6thrust23THRUST_200600_302600_NS5minusItEEEE10hipError_tPvRmT2_T3_mT4_P12ihipStream_tbEUlT_E_NS1_11comp_targetILNS1_3genE2ELNS1_11target_archE906ELNS1_3gpuE6ELNS1_3repE0EEENS1_30default_config_static_selectorELNS0_4arch9wavefront6targetE0EEEvT1_ ; -- Begin function _ZN7rocprim17ROCPRIM_400000_NS6detail17trampoline_kernelINS0_14default_configENS1_35adjacent_difference_config_selectorILb0EtEEZNS1_24adjacent_difference_implIS3_Lb0ELb0EPtS7_N6thrust23THRUST_200600_302600_NS5minusItEEEE10hipError_tPvRmT2_T3_mT4_P12ihipStream_tbEUlT_E_NS1_11comp_targetILNS1_3genE2ELNS1_11target_archE906ELNS1_3gpuE6ELNS1_3repE0EEENS1_30default_config_static_selectorELNS0_4arch9wavefront6targetE0EEEvT1_
	.globl	_ZN7rocprim17ROCPRIM_400000_NS6detail17trampoline_kernelINS0_14default_configENS1_35adjacent_difference_config_selectorILb0EtEEZNS1_24adjacent_difference_implIS3_Lb0ELb0EPtS7_N6thrust23THRUST_200600_302600_NS5minusItEEEE10hipError_tPvRmT2_T3_mT4_P12ihipStream_tbEUlT_E_NS1_11comp_targetILNS1_3genE2ELNS1_11target_archE906ELNS1_3gpuE6ELNS1_3repE0EEENS1_30default_config_static_selectorELNS0_4arch9wavefront6targetE0EEEvT1_
	.p2align	8
	.type	_ZN7rocprim17ROCPRIM_400000_NS6detail17trampoline_kernelINS0_14default_configENS1_35adjacent_difference_config_selectorILb0EtEEZNS1_24adjacent_difference_implIS3_Lb0ELb0EPtS7_N6thrust23THRUST_200600_302600_NS5minusItEEEE10hipError_tPvRmT2_T3_mT4_P12ihipStream_tbEUlT_E_NS1_11comp_targetILNS1_3genE2ELNS1_11target_archE906ELNS1_3gpuE6ELNS1_3repE0EEENS1_30default_config_static_selectorELNS0_4arch9wavefront6targetE0EEEvT1_,@function
_ZN7rocprim17ROCPRIM_400000_NS6detail17trampoline_kernelINS0_14default_configENS1_35adjacent_difference_config_selectorILb0EtEEZNS1_24adjacent_difference_implIS3_Lb0ELb0EPtS7_N6thrust23THRUST_200600_302600_NS5minusItEEEE10hipError_tPvRmT2_T3_mT4_P12ihipStream_tbEUlT_E_NS1_11comp_targetILNS1_3genE2ELNS1_11target_archE906ELNS1_3gpuE6ELNS1_3repE0EEENS1_30default_config_static_selectorELNS0_4arch9wavefront6targetE0EEEvT1_: ; @_ZN7rocprim17ROCPRIM_400000_NS6detail17trampoline_kernelINS0_14default_configENS1_35adjacent_difference_config_selectorILb0EtEEZNS1_24adjacent_difference_implIS3_Lb0ELb0EPtS7_N6thrust23THRUST_200600_302600_NS5minusItEEEE10hipError_tPvRmT2_T3_mT4_P12ihipStream_tbEUlT_E_NS1_11comp_targetILNS1_3genE2ELNS1_11target_archE906ELNS1_3gpuE6ELNS1_3repE0EEENS1_30default_config_static_selectorELNS0_4arch9wavefront6targetE0EEEvT1_
; %bb.0:
	.section	.rodata,"a",@progbits
	.p2align	6, 0x0
	.amdhsa_kernel _ZN7rocprim17ROCPRIM_400000_NS6detail17trampoline_kernelINS0_14default_configENS1_35adjacent_difference_config_selectorILb0EtEEZNS1_24adjacent_difference_implIS3_Lb0ELb0EPtS7_N6thrust23THRUST_200600_302600_NS5minusItEEEE10hipError_tPvRmT2_T3_mT4_P12ihipStream_tbEUlT_E_NS1_11comp_targetILNS1_3genE2ELNS1_11target_archE906ELNS1_3gpuE6ELNS1_3repE0EEENS1_30default_config_static_selectorELNS0_4arch9wavefront6targetE0EEEvT1_
		.amdhsa_group_segment_fixed_size 0
		.amdhsa_private_segment_fixed_size 0
		.amdhsa_kernarg_size 56
		.amdhsa_user_sgpr_count 15
		.amdhsa_user_sgpr_dispatch_ptr 0
		.amdhsa_user_sgpr_queue_ptr 0
		.amdhsa_user_sgpr_kernarg_segment_ptr 1
		.amdhsa_user_sgpr_dispatch_id 0
		.amdhsa_user_sgpr_private_segment_size 0
		.amdhsa_wavefront_size32 1
		.amdhsa_uses_dynamic_stack 0
		.amdhsa_enable_private_segment 0
		.amdhsa_system_sgpr_workgroup_id_x 1
		.amdhsa_system_sgpr_workgroup_id_y 0
		.amdhsa_system_sgpr_workgroup_id_z 0
		.amdhsa_system_sgpr_workgroup_info 0
		.amdhsa_system_vgpr_workitem_id 0
		.amdhsa_next_free_vgpr 1
		.amdhsa_next_free_sgpr 1
		.amdhsa_reserve_vcc 0
		.amdhsa_float_round_mode_32 0
		.amdhsa_float_round_mode_16_64 0
		.amdhsa_float_denorm_mode_32 3
		.amdhsa_float_denorm_mode_16_64 3
		.amdhsa_dx10_clamp 1
		.amdhsa_ieee_mode 1
		.amdhsa_fp16_overflow 0
		.amdhsa_workgroup_processor_mode 1
		.amdhsa_memory_ordered 1
		.amdhsa_forward_progress 0
		.amdhsa_shared_vgpr_count 0
		.amdhsa_exception_fp_ieee_invalid_op 0
		.amdhsa_exception_fp_denorm_src 0
		.amdhsa_exception_fp_ieee_div_zero 0
		.amdhsa_exception_fp_ieee_overflow 0
		.amdhsa_exception_fp_ieee_underflow 0
		.amdhsa_exception_fp_ieee_inexact 0
		.amdhsa_exception_int_div_zero 0
	.end_amdhsa_kernel
	.section	.text._ZN7rocprim17ROCPRIM_400000_NS6detail17trampoline_kernelINS0_14default_configENS1_35adjacent_difference_config_selectorILb0EtEEZNS1_24adjacent_difference_implIS3_Lb0ELb0EPtS7_N6thrust23THRUST_200600_302600_NS5minusItEEEE10hipError_tPvRmT2_T3_mT4_P12ihipStream_tbEUlT_E_NS1_11comp_targetILNS1_3genE2ELNS1_11target_archE906ELNS1_3gpuE6ELNS1_3repE0EEENS1_30default_config_static_selectorELNS0_4arch9wavefront6targetE0EEEvT1_,"axG",@progbits,_ZN7rocprim17ROCPRIM_400000_NS6detail17trampoline_kernelINS0_14default_configENS1_35adjacent_difference_config_selectorILb0EtEEZNS1_24adjacent_difference_implIS3_Lb0ELb0EPtS7_N6thrust23THRUST_200600_302600_NS5minusItEEEE10hipError_tPvRmT2_T3_mT4_P12ihipStream_tbEUlT_E_NS1_11comp_targetILNS1_3genE2ELNS1_11target_archE906ELNS1_3gpuE6ELNS1_3repE0EEENS1_30default_config_static_selectorELNS0_4arch9wavefront6targetE0EEEvT1_,comdat
.Lfunc_end211:
	.size	_ZN7rocprim17ROCPRIM_400000_NS6detail17trampoline_kernelINS0_14default_configENS1_35adjacent_difference_config_selectorILb0EtEEZNS1_24adjacent_difference_implIS3_Lb0ELb0EPtS7_N6thrust23THRUST_200600_302600_NS5minusItEEEE10hipError_tPvRmT2_T3_mT4_P12ihipStream_tbEUlT_E_NS1_11comp_targetILNS1_3genE2ELNS1_11target_archE906ELNS1_3gpuE6ELNS1_3repE0EEENS1_30default_config_static_selectorELNS0_4arch9wavefront6targetE0EEEvT1_, .Lfunc_end211-_ZN7rocprim17ROCPRIM_400000_NS6detail17trampoline_kernelINS0_14default_configENS1_35adjacent_difference_config_selectorILb0EtEEZNS1_24adjacent_difference_implIS3_Lb0ELb0EPtS7_N6thrust23THRUST_200600_302600_NS5minusItEEEE10hipError_tPvRmT2_T3_mT4_P12ihipStream_tbEUlT_E_NS1_11comp_targetILNS1_3genE2ELNS1_11target_archE906ELNS1_3gpuE6ELNS1_3repE0EEENS1_30default_config_static_selectorELNS0_4arch9wavefront6targetE0EEEvT1_
                                        ; -- End function
	.section	.AMDGPU.csdata,"",@progbits
; Kernel info:
; codeLenInByte = 0
; NumSgprs: 0
; NumVgprs: 0
; ScratchSize: 0
; MemoryBound: 0
; FloatMode: 240
; IeeeMode: 1
; LDSByteSize: 0 bytes/workgroup (compile time only)
; SGPRBlocks: 0
; VGPRBlocks: 0
; NumSGPRsForWavesPerEU: 1
; NumVGPRsForWavesPerEU: 1
; Occupancy: 16
; WaveLimiterHint : 0
; COMPUTE_PGM_RSRC2:SCRATCH_EN: 0
; COMPUTE_PGM_RSRC2:USER_SGPR: 15
; COMPUTE_PGM_RSRC2:TRAP_HANDLER: 0
; COMPUTE_PGM_RSRC2:TGID_X_EN: 1
; COMPUTE_PGM_RSRC2:TGID_Y_EN: 0
; COMPUTE_PGM_RSRC2:TGID_Z_EN: 0
; COMPUTE_PGM_RSRC2:TIDIG_COMP_CNT: 0
	.section	.text._ZN7rocprim17ROCPRIM_400000_NS6detail17trampoline_kernelINS0_14default_configENS1_35adjacent_difference_config_selectorILb0EtEEZNS1_24adjacent_difference_implIS3_Lb0ELb0EPtS7_N6thrust23THRUST_200600_302600_NS5minusItEEEE10hipError_tPvRmT2_T3_mT4_P12ihipStream_tbEUlT_E_NS1_11comp_targetILNS1_3genE9ELNS1_11target_archE1100ELNS1_3gpuE3ELNS1_3repE0EEENS1_30default_config_static_selectorELNS0_4arch9wavefront6targetE0EEEvT1_,"axG",@progbits,_ZN7rocprim17ROCPRIM_400000_NS6detail17trampoline_kernelINS0_14default_configENS1_35adjacent_difference_config_selectorILb0EtEEZNS1_24adjacent_difference_implIS3_Lb0ELb0EPtS7_N6thrust23THRUST_200600_302600_NS5minusItEEEE10hipError_tPvRmT2_T3_mT4_P12ihipStream_tbEUlT_E_NS1_11comp_targetILNS1_3genE9ELNS1_11target_archE1100ELNS1_3gpuE3ELNS1_3repE0EEENS1_30default_config_static_selectorELNS0_4arch9wavefront6targetE0EEEvT1_,comdat
	.protected	_ZN7rocprim17ROCPRIM_400000_NS6detail17trampoline_kernelINS0_14default_configENS1_35adjacent_difference_config_selectorILb0EtEEZNS1_24adjacent_difference_implIS3_Lb0ELb0EPtS7_N6thrust23THRUST_200600_302600_NS5minusItEEEE10hipError_tPvRmT2_T3_mT4_P12ihipStream_tbEUlT_E_NS1_11comp_targetILNS1_3genE9ELNS1_11target_archE1100ELNS1_3gpuE3ELNS1_3repE0EEENS1_30default_config_static_selectorELNS0_4arch9wavefront6targetE0EEEvT1_ ; -- Begin function _ZN7rocprim17ROCPRIM_400000_NS6detail17trampoline_kernelINS0_14default_configENS1_35adjacent_difference_config_selectorILb0EtEEZNS1_24adjacent_difference_implIS3_Lb0ELb0EPtS7_N6thrust23THRUST_200600_302600_NS5minusItEEEE10hipError_tPvRmT2_T3_mT4_P12ihipStream_tbEUlT_E_NS1_11comp_targetILNS1_3genE9ELNS1_11target_archE1100ELNS1_3gpuE3ELNS1_3repE0EEENS1_30default_config_static_selectorELNS0_4arch9wavefront6targetE0EEEvT1_
	.globl	_ZN7rocprim17ROCPRIM_400000_NS6detail17trampoline_kernelINS0_14default_configENS1_35adjacent_difference_config_selectorILb0EtEEZNS1_24adjacent_difference_implIS3_Lb0ELb0EPtS7_N6thrust23THRUST_200600_302600_NS5minusItEEEE10hipError_tPvRmT2_T3_mT4_P12ihipStream_tbEUlT_E_NS1_11comp_targetILNS1_3genE9ELNS1_11target_archE1100ELNS1_3gpuE3ELNS1_3repE0EEENS1_30default_config_static_selectorELNS0_4arch9wavefront6targetE0EEEvT1_
	.p2align	8
	.type	_ZN7rocprim17ROCPRIM_400000_NS6detail17trampoline_kernelINS0_14default_configENS1_35adjacent_difference_config_selectorILb0EtEEZNS1_24adjacent_difference_implIS3_Lb0ELb0EPtS7_N6thrust23THRUST_200600_302600_NS5minusItEEEE10hipError_tPvRmT2_T3_mT4_P12ihipStream_tbEUlT_E_NS1_11comp_targetILNS1_3genE9ELNS1_11target_archE1100ELNS1_3gpuE3ELNS1_3repE0EEENS1_30default_config_static_selectorELNS0_4arch9wavefront6targetE0EEEvT1_,@function
_ZN7rocprim17ROCPRIM_400000_NS6detail17trampoline_kernelINS0_14default_configENS1_35adjacent_difference_config_selectorILb0EtEEZNS1_24adjacent_difference_implIS3_Lb0ELb0EPtS7_N6thrust23THRUST_200600_302600_NS5minusItEEEE10hipError_tPvRmT2_T3_mT4_P12ihipStream_tbEUlT_E_NS1_11comp_targetILNS1_3genE9ELNS1_11target_archE1100ELNS1_3gpuE3ELNS1_3repE0EEENS1_30default_config_static_selectorELNS0_4arch9wavefront6targetE0EEEvT1_: ; @_ZN7rocprim17ROCPRIM_400000_NS6detail17trampoline_kernelINS0_14default_configENS1_35adjacent_difference_config_selectorILb0EtEEZNS1_24adjacent_difference_implIS3_Lb0ELb0EPtS7_N6thrust23THRUST_200600_302600_NS5minusItEEEE10hipError_tPvRmT2_T3_mT4_P12ihipStream_tbEUlT_E_NS1_11comp_targetILNS1_3genE9ELNS1_11target_archE1100ELNS1_3gpuE3ELNS1_3repE0EEENS1_30default_config_static_selectorELNS0_4arch9wavefront6targetE0EEEvT1_
; %bb.0:
	s_load_b256 s[4:11], s[0:1], 0x0
	s_waitcnt lgkmcnt(0)
	s_lshl_b64 s[6:7], s[6:7], 1
	s_delay_alu instid0(SALU_CYCLE_1)
	s_add_u32 s17, s4, s6
	s_addc_u32 s18, s5, s7
	s_add_u32 s2, 0, 0x45249
	s_addc_u32 s3, 0, 0
	;; [unrolled: 2-line block ×3, first 2 shown]
	s_addc_u32 s3, 0, 0
	s_add_u32 s2, s2, 0
	s_addc_u32 s3, 0, s3
	v_add_co_u32 v1, s2, 0x92492040, s2
	s_delay_alu instid0(VALU_DEP_1) | instskip(SKIP_1) | instid1(VALU_DEP_1)
	s_cmp_lg_u32 s2, 0
	s_addc_u32 s2, s3, 0x924924
	v_readfirstlane_b32 s3, v1
	s_mul_i32 s5, s10, s2
	s_mul_hi_u32 s4, s10, s2
	s_mul_hi_u32 s12, s11, s2
	s_mul_i32 s2, s11, s2
	s_mul_hi_u32 s13, s10, s3
	s_mul_hi_u32 s14, s11, s3
	s_mul_i32 s3, s11, s3
	s_add_u32 s5, s13, s5
	s_addc_u32 s4, 0, s4
	s_add_u32 s3, s5, s3
	s_addc_u32 s3, s4, s14
	s_addc_u32 s4, s12, 0
	s_add_u32 s5, s3, s2
	s_addc_u32 s4, 0, s4
	s_mul_i32 s3, s5, 0x1c0
	s_add_u32 s2, s5, 1
	v_sub_co_u32 v1, s3, s10, s3
	s_mul_hi_u32 s12, s5, 0x1c0
	s_addc_u32 s13, s4, 0
	s_mul_i32 s14, s4, 0x1c0
	s_delay_alu instid0(VALU_DEP_1)
	v_subrev_co_u32 v2, s16, 0x1c0, v1
	s_add_u32 s19, s5, 2
	s_addc_u32 s20, s4, 0
	s_add_i32 s12, s12, s14
	s_cmp_lg_u32 s3, 0
	v_readfirstlane_b32 s3, v2
	s_subb_u32 s12, s11, s12
	s_cmp_lg_u32 s16, 0
	s_subb_u32 s14, s12, 0
	s_delay_alu instid0(VALU_DEP_1) | instskip(SKIP_4) | instid1(SALU_CYCLE_1)
	s_cmpk_gt_u32 s3, 0x1bf
	s_cselect_b32 s3, -1, 0
	s_cmp_eq_u32 s14, 0
	v_readfirstlane_b32 s14, v1
	s_cselect_b32 s3, s3, -1
	s_cmp_lg_u32 s3, 0
	s_cselect_b32 s16, s19, s2
	s_cselect_b32 s13, s20, s13
	s_cmpk_gt_u32 s14, 0x1bf
	s_mov_b32 s14, -1
	s_cselect_b32 s2, -1, 0
	s_cmp_eq_u32 s12, 0
	s_cselect_b32 s2, s2, -1
	s_delay_alu instid0(SALU_CYCLE_1)
	s_cmp_lg_u32 s2, 0
	s_load_b64 s[2:3], s[0:1], 0x30
	s_cselect_b32 s4, s13, s4
	s_cselect_b32 s5, s16, s5
	s_mul_i32 s0, s4, 0x1c0
	s_mul_hi_u32 s1, s5, 0x1c0
	s_mul_i32 s12, s5, 0x1c0
	s_add_i32 s1, s1, s0
	s_sub_u32 s0, s10, s12
	s_subb_u32 s1, s11, s1
	s_delay_alu instid0(SALU_CYCLE_1) | instskip(SKIP_1) | instid1(SALU_CYCLE_1)
	s_cmp_lg_u64 s[0:1], 0
	s_cselect_b32 s0, -1, 0
	v_cndmask_b32_e64 v1, 0, 1, s0
	s_delay_alu instid0(VALU_DEP_1) | instskip(NEXT) | instid1(VALU_DEP_1)
	v_readfirstlane_b32 s0, v1
	s_add_u32 s0, s5, s0
	s_addc_u32 s1, s4, 0
	s_waitcnt lgkmcnt(0)
	s_add_u32 s4, s2, s15
	s_addc_u32 s5, s3, 0
	s_add_u32 s12, s0, -1
	s_addc_u32 s13, s1, -1
	s_mul_i32 s2, s15, 0x1c0
	v_cmp_ge_u64_e64 s16, s[4:5], s[12:13]
	s_mov_b32 s3, 0
	s_mul_i32 s11, s12, 0xfffffe40
	s_delay_alu instid0(VALU_DEP_1)
	s_and_b32 vcc_lo, exec_lo, s16
	s_cbranch_vccz .LBB212_16
; %bb.1:
	s_lshl_b64 s[14:15], s[2:3], 1
	s_add_i32 s19, s11, s10
	s_add_u32 s14, s17, s14
	s_addc_u32 s15, s18, s15
	s_mov_b32 s3, exec_lo
                                        ; implicit-def: $vgpr1_vgpr2_vgpr3_vgpr4
	v_cmpx_gt_u32_e64 s19, v0
	s_cbranch_execz .LBB212_3
; %bb.2:
	v_lshlrev_b32_e32 v1, 1, v0
	global_load_d16_b16 v1, v1, s[14:15]
.LBB212_3:
	s_or_b32 exec_lo, exec_lo, s3
	v_or_b32_e32 v5, 64, v0
	s_mov_b32 s3, exec_lo
	s_delay_alu instid0(VALU_DEP_1)
	v_cmpx_gt_u32_e64 s19, v5
	s_cbranch_execz .LBB212_5
; %bb.4:
	v_lshlrev_b32_e32 v5, 1, v0
	global_load_d16_hi_b16 v1, v5, s[14:15] offset:128
.LBB212_5:
	s_or_b32 exec_lo, exec_lo, s3
	v_or_b32_e32 v5, 0x80, v0
	s_mov_b32 s3, exec_lo
	s_delay_alu instid0(VALU_DEP_1)
	v_cmpx_gt_u32_e64 s19, v5
	s_cbranch_execz .LBB212_7
; %bb.6:
	v_lshlrev_b32_e32 v5, 1, v0
	global_load_d16_b16 v2, v5, s[14:15] offset:256
.LBB212_7:
	s_or_b32 exec_lo, exec_lo, s3
	v_or_b32_e32 v5, 0xc0, v0
	s_mov_b32 s3, exec_lo
	s_delay_alu instid0(VALU_DEP_1)
	v_cmpx_gt_u32_e64 s19, v5
	s_cbranch_execz .LBB212_9
; %bb.8:
	v_lshlrev_b32_e32 v5, 1, v0
	global_load_d16_hi_b16 v2, v5, s[14:15] offset:384
.LBB212_9:
	s_or_b32 exec_lo, exec_lo, s3
	v_or_b32_e32 v5, 0x100, v0
	s_mov_b32 s3, exec_lo
	s_delay_alu instid0(VALU_DEP_1)
	v_cmpx_gt_u32_e64 s19, v5
	s_cbranch_execz .LBB212_11
; %bb.10:
	v_lshlrev_b32_e32 v5, 1, v0
	global_load_d16_b16 v3, v5, s[14:15] offset:512
.LBB212_11:
	;; [unrolled: 20-line block ×3, first 2 shown]
	s_or_b32 exec_lo, exec_lo, s3
	v_lshlrev_b32_e32 v5, 1, v0
	s_mov_b32 s14, 0
	s_waitcnt vmcnt(0)
	ds_store_b16 v5, v1
	ds_store_b16_d16_hi v5, v1 offset:128
	ds_store_b16 v5, v2 offset:256
	ds_store_b16_d16_hi v5, v2 offset:384
	ds_store_b16 v5, v3 offset:512
	;; [unrolled: 2-line block ×3, first 2 shown]
	s_waitcnt lgkmcnt(0)
	s_barrier
.LBB212_16:
	v_lshlrev_b32_e32 v8, 1, v0
	s_and_b32 vcc_lo, exec_lo, s14
	s_cbranch_vccz .LBB212_18
; %bb.17:
	s_mov_b32 s3, 0
	s_delay_alu instid0(SALU_CYCLE_1) | instskip(NEXT) | instid1(SALU_CYCLE_1)
	s_lshl_b64 s[14:15], s[2:3], 1
	s_add_u32 s14, s17, s14
	s_addc_u32 s15, s18, s15
	s_clause 0x6
	global_load_u16 v1, v8, s[14:15]
	global_load_u16 v2, v8, s[14:15] offset:128
	global_load_u16 v3, v8, s[14:15] offset:256
	;; [unrolled: 1-line block ×6, first 2 shown]
	s_waitcnt vmcnt(6)
	ds_store_b16 v8, v1
	s_waitcnt vmcnt(5)
	ds_store_b16 v8, v2 offset:128
	s_waitcnt vmcnt(4)
	ds_store_b16 v8, v3 offset:256
	;; [unrolled: 2-line block ×6, first 2 shown]
	s_waitcnt lgkmcnt(0)
	s_barrier
.LBB212_18:
	v_mul_u32_u24_e32 v1, 7, v0
	buffer_gl0_inv
	s_cmp_eq_u64 s[4:5], 0
	v_lshlrev_b32_e32 v1, 1, v1
	ds_load_b96 v[5:7], v1
	ds_load_u16 v11, v1 offset:12
	s_waitcnt lgkmcnt(0)
	s_barrier
	buffer_gl0_inv
	v_lshrrev_b32_e32 v10, 16, v5
	v_lshrrev_b32_e32 v12, 16, v6
	v_lshrrev_b32_e32 v13, 16, v7
	s_cbranch_scc1 .LBB212_23
; %bb.19:
	s_mov_b32 s3, 0
	v_mov_b32_e32 v1, 0
	s_lshl_b64 s[14:15], s[2:3], 1
	s_delay_alu instid0(SALU_CYCLE_1)
	s_add_u32 s14, s17, s14
	s_addc_u32 s15, s18, s15
	s_cmp_eq_u64 s[4:5], s[12:13]
	global_load_u16 v15, v1, s[14:15] offset:-2
	s_cbranch_scc1 .LBB212_24
; %bb.20:
	v_sub_nc_u16 v3, v13, v7
	v_sub_nc_u16 v4, v7, v12
	;; [unrolled: 1-line block ×5, first 2 shown]
	s_waitcnt vmcnt(0)
	v_mov_b32_e32 v14, v15
	s_mov_b32 s3, exec_lo
	ds_store_b16 v8, v11
	s_waitcnt lgkmcnt(0)
	s_barrier
	buffer_gl0_inv
	v_cmpx_ne_u32_e32 0, v0
	s_cbranch_execz .LBB212_22
; %bb.21:
	v_add_nc_u32_e32 v9, -2, v8
	ds_load_u16 v14, v9
.LBB212_22:
	s_or_b32 exec_lo, exec_lo, s3
	v_sub_nc_u16 v9, v11, v13
	v_lshlrev_b32_e32 v1, 16, v1
	v_perm_b32 v2, v2, v16, 0x5040100
	v_perm_b32 v3, v3, v4, 0x5040100
	s_cbranch_execz .LBB212_25
	s_branch .LBB212_28
.LBB212_23:
	s_mov_b32 s3, 0
                                        ; implicit-def: $vgpr9
                                        ; implicit-def: $vgpr14
                                        ; implicit-def: $vgpr1_vgpr2_vgpr3_vgpr4
	s_branch .LBB212_29
.LBB212_24:
                                        ; implicit-def: $vgpr9
                                        ; implicit-def: $vgpr14
                                        ; implicit-def: $vgpr1_vgpr2_vgpr3_vgpr4
.LBB212_25:
	v_mul_u32_u24_e32 v4, 7, v0
	s_mov_b32 s3, exec_lo
	ds_store_b16 v8, v11
	s_waitcnt vmcnt(0) lgkmcnt(0)
	s_barrier
	buffer_gl0_inv
	v_cmpx_ne_u32_e32 0, v0
	s_cbranch_execz .LBB212_27
; %bb.26:
	v_add_nc_u32_e32 v1, -2, v8
	ds_load_u16 v15, v1
.LBB212_27:
	s_or_b32 exec_lo, exec_lo, s3
	v_sub_nc_u16 v3, v11, v13
	v_add_nc_u32_e32 v2, 6, v4
	s_mul_i32 s3, s4, 0xfffffe40
	v_sub_nc_u16 v1, v13, v7
	s_add_i32 s3, s3, s10
	v_lshlrev_b32_e32 v16, 16, v13
	v_cmp_gt_u32_e32 vcc_lo, s3, v2
	v_sub_nc_u16 v2, v12, v6
	v_lshlrev_b32_e32 v21, 16, v10
	v_sub_nc_u16 v17, v7, v12
	v_dual_cndmask_b32 v9, v11, v3 :: v_dual_add_nc_u32 v20, 1, v4
	s_delay_alu instid0(VALU_DEP_4) | instskip(SKIP_3) | instid1(VALU_DEP_2)
	v_lshlrev_b32_e32 v2, 16, v2
	v_lshlrev_b32_e32 v1, 16, v1
	v_add_nc_u32_e32 v14, 5, v4
	v_add_nc_u32_e32 v3, 3, v4
	v_cmp_gt_u32_e32 vcc_lo, s3, v14
	s_delay_alu instid0(VALU_DEP_4) | instskip(NEXT) | instid1(VALU_DEP_3)
	v_dual_cndmask_b32 v1, v16, v1 :: v_dual_add_nc_u32 v16, 4, v4
	v_cmp_gt_u32_e32 vcc_lo, s3, v3
	v_sub_nc_u16 v3, v6, v10
	s_delay_alu instid0(VALU_DEP_3) | instskip(SKIP_3) | instid1(VALU_DEP_2)
	v_bfi_b32 v18, 0xffff, v7, v1
	v_bfi_b32 v1, 0xffff, v17, v1
	v_lshlrev_b32_e32 v14, 16, v12
	v_sub_nc_u16 v17, v10, v5
	v_cndmask_b32_e32 v2, v14, v2, vcc_lo
	v_add_nc_u32_e32 v14, 2, v4
	v_cmp_gt_u32_e32 vcc_lo, s3, v16
	s_delay_alu instid0(VALU_DEP_4) | instskip(NEXT) | instid1(VALU_DEP_4)
	v_lshlrev_b32_e32 v17, 16, v17
	v_bfi_b32 v19, 0xffff, v6, v2
	v_bfi_b32 v2, 0xffff, v3, v2
	v_cndmask_b32_e32 v3, v18, v1, vcc_lo
	v_cmp_gt_u32_e32 vcc_lo, s3, v14
	s_delay_alu instid0(VALU_DEP_3)
	v_cndmask_b32_e32 v2, v19, v2, vcc_lo
	v_cmp_gt_u32_e32 vcc_lo, s3, v20
	v_cndmask_b32_e32 v1, v21, v17, vcc_lo
	v_cmp_gt_u32_e32 vcc_lo, s3, v4
	s_waitcnt lgkmcnt(0)
	v_cndmask_b32_e32 v14, 0, v15, vcc_lo
.LBB212_28:
	s_mov_b32 s3, -1
	s_cbranch_execnz .LBB212_37
.LBB212_29:
	s_delay_alu instid0(VALU_DEP_1)
	v_sub_nc_u16 v9, v11, v13
	v_sub_nc_u16 v19, v13, v7
	;; [unrolled: 1-line block ×4, first 2 shown]
	s_waitcnt vmcnt(0)
	v_sub_nc_u16 v15, v6, v10
	v_sub_nc_u16 v16, v10, v5
	v_cmp_ne_u32_e32 vcc_lo, 0, v0
	s_cmp_lg_u64 s[0:1], 1
	s_cbranch_scc0 .LBB212_33
; %bb.30:
	v_perm_b32 v3, v19, v18, 0x5040100
	v_perm_b32 v2, v17, v15, 0x5040100
	;; [unrolled: 1-line block ×3, first 2 shown]
	s_mov_b32 s0, 0
	ds_store_b16 v8, v11
	s_waitcnt lgkmcnt(0)
	s_barrier
	buffer_gl0_inv
                                        ; implicit-def: $vgpr14
	s_and_saveexec_b32 s1, vcc_lo
	s_cbranch_execz .LBB212_32
; %bb.31:
	v_add_nc_u32_e32 v4, -2, v8
	s_or_b32 s3, s3, exec_lo
	ds_load_u16 v14, v4
.LBB212_32:
	s_or_b32 exec_lo, exec_lo, s1
	s_delay_alu instid0(SALU_CYCLE_1)
	s_and_b32 vcc_lo, exec_lo, s0
	s_cbranch_vccnz .LBB212_34
	s_branch .LBB212_37
.LBB212_33:
                                        ; implicit-def: $vgpr14
                                        ; implicit-def: $vgpr1_vgpr2_vgpr3_vgpr4
	s_cbranch_execz .LBB212_37
.LBB212_34:
	v_mad_u32_u24 v1, v0, 7, 5
	v_lshlrev_b32_e32 v3, 16, v19
	v_lshlrev_b32_e32 v12, 16, v12
	s_waitcnt lgkmcnt(0)
	v_lshlrev_b32_e32 v14, 16, v17
	v_lshlrev_b32_e32 v2, 16, v13
	v_cmp_gt_u32_e32 vcc_lo, s10, v1
	v_mad_u32_u24 v4, v0, 7, 4
	v_mad_u32_u24 v13, v0, 7, 3
	ds_store_b16 v8, v11
	s_waitcnt lgkmcnt(0)
	v_cndmask_b32_e32 v1, v2, v3, vcc_lo
	v_mad_u32_u24 v3, v0, 7, 6
	v_mul_u32_u24_e32 v2, 7, v0
	s_barrier
	buffer_gl0_inv
	v_bfi_b32 v7, 0xffff, v7, v1
	v_cmp_gt_u32_e32 vcc_lo, s10, v3
	v_bfi_b32 v1, 0xffff, v18, v1
	v_cmp_gt_u32_e64 s0, s10, v2
	v_cndmask_b32_e32 v9, v11, v9, vcc_lo
	v_cmp_gt_u32_e32 vcc_lo, s10, v4
	v_mad_u32_u24 v4, v0, 7, 1
	v_mad_u32_u24 v11, v0, 7, 2
	v_cndmask_b32_e32 v3, v7, v1, vcc_lo
	v_cmp_gt_u32_e32 vcc_lo, s10, v13
	v_lshlrev_b32_e32 v7, 16, v10
	v_lshlrev_b32_e32 v10, 16, v16
	v_cmp_gt_u32_e64 s1, s10, v11
	v_cndmask_b32_e32 v1, v12, v14, vcc_lo
	v_cmp_gt_u32_e32 vcc_lo, s10, v4
                                        ; implicit-def: $vgpr14
	s_delay_alu instid0(VALU_DEP_2) | instskip(SKIP_3) | instid1(VALU_DEP_3)
	v_bfi_b32 v6, 0xffff, v6, v1
	v_bfi_b32 v1, 0xffff, v15, v1
	v_cndmask_b32_e32 v4, v7, v10, vcc_lo
	v_cmp_ne_u32_e32 vcc_lo, 0, v0
	v_cndmask_b32_e64 v2, v6, v1, s1
	s_delay_alu instid0(VALU_DEP_3) | instskip(SKIP_1) | instid1(SALU_CYCLE_1)
	v_bfi_b32 v1, 0xffff, v5, v4
	s_and_b32 s1, vcc_lo, s0
	s_and_saveexec_b32 s0, s1
	s_cbranch_execz .LBB212_36
; %bb.35:
	v_add_nc_u32_e32 v4, -2, v8
	s_or_b32 s3, s3, exec_lo
	ds_load_u16 v14, v4
.LBB212_36:
	s_or_b32 exec_lo, exec_lo, s0
.LBB212_37:
	s_and_saveexec_b32 s0, s3
	s_cbranch_execz .LBB212_39
; %bb.38:
	s_waitcnt lgkmcnt(0)
	v_sub_nc_u16 v4, v5, v14
	s_delay_alu instid0(VALU_DEP_1)
	v_bfi_b32 v1, 0xffff, v4, v1
.LBB212_39:
	s_or_b32 exec_lo, exec_lo, s0
	v_mul_u32_u24_e32 v6, 14, v0
	v_mul_i32_i24_e32 v7, -12, v0
	s_add_u32 s0, s8, s6
	s_addc_u32 s1, s9, s7
	s_and_b32 vcc_lo, exec_lo, s16
	s_waitcnt vmcnt(0) lgkmcnt(0)
	s_barrier
	buffer_gl0_inv
	s_cbranch_vccz .LBB212_53
; %bb.40:
	v_mad_u32_u24 v4, v0, 14, v7
	ds_store_b96 v6, v[1:3]
	ds_store_b16 v6, v9 offset:12
	s_waitcnt lgkmcnt(0)
	s_barrier
	buffer_gl0_inv
	ds_load_u16 v15, v4 offset:128
	ds_load_u16 v14, v4 offset:256
	;; [unrolled: 1-line block ×6, first 2 shown]
	s_mov_b32 s3, 0
	s_add_i32 s11, s11, s10
	s_lshl_b64 s[4:5], s[2:3], 1
	s_delay_alu instid0(SALU_CYCLE_1) | instskip(SKIP_2) | instid1(VALU_DEP_1)
	s_add_u32 s3, s0, s4
	s_addc_u32 s4, s1, s5
	v_add_co_u32 v4, s3, s3, v8
	v_add_co_ci_u32_e64 v5, null, s4, 0, s3
	s_mov_b32 s3, exec_lo
	v_cmpx_gt_u32_e64 s11, v0
	s_cbranch_execz .LBB212_42
; %bb.41:
	v_add_nc_u32_e32 v16, v6, v7
	ds_load_u16 v16, v16
	s_waitcnt lgkmcnt(0)
	global_store_b16 v[4:5], v16, off
.LBB212_42:
	s_or_b32 exec_lo, exec_lo, s3
	v_or_b32_e32 v16, 64, v0
	s_mov_b32 s3, exec_lo
	s_delay_alu instid0(VALU_DEP_1)
	v_cmpx_gt_u32_e64 s11, v16
	s_cbranch_execz .LBB212_44
; %bb.43:
	s_waitcnt lgkmcnt(5)
	global_store_b16 v[4:5], v15, off offset:128
.LBB212_44:
	s_or_b32 exec_lo, exec_lo, s3
	s_waitcnt lgkmcnt(5)
	v_or_b32_e32 v15, 0x80, v0
	s_mov_b32 s3, exec_lo
	s_delay_alu instid0(VALU_DEP_1)
	v_cmpx_gt_u32_e64 s11, v15
	s_cbranch_execz .LBB212_46
; %bb.45:
	s_waitcnt lgkmcnt(4)
	global_store_b16 v[4:5], v14, off offset:256
.LBB212_46:
	s_or_b32 exec_lo, exec_lo, s3
	s_waitcnt lgkmcnt(4)
	;; [unrolled: 11-line block ×5, first 2 shown]
	v_or_b32_e32 v11, 0x180, v0
	s_delay_alu instid0(VALU_DEP_1)
	v_cmp_gt_u32_e64 s4, s11, v11
	s_branch .LBB212_55
.LBB212_53:
	s_mov_b32 s4, 0
                                        ; implicit-def: $vgpr10
                                        ; implicit-def: $vgpr4_vgpr5
	s_cbranch_execz .LBB212_55
; %bb.54:
	v_mad_u32_u24 v0, v0, 14, v7
	ds_store_b96 v6, v[1:3]
	ds_store_b16 v6, v9 offset:12
	s_waitcnt lgkmcnt(0)
	s_waitcnt_vscnt null, 0x0
	s_barrier
	buffer_gl0_inv
	ds_load_u16 v1, v0
	ds_load_u16 v2, v0 offset:128
	ds_load_u16 v3, v0 offset:256
	;; [unrolled: 1-line block ×6, first 2 shown]
	s_mov_b32 s3, 0
	s_delay_alu instid0(SALU_CYCLE_1) | instskip(NEXT) | instid1(SALU_CYCLE_1)
	s_lshl_b64 s[2:3], s[2:3], 1
	s_add_u32 s0, s0, s2
	s_addc_u32 s1, s1, s3
	v_add_co_u32 v4, s2, s0, v8
	s_delay_alu instid0(VALU_DEP_1)
	v_add_co_ci_u32_e64 v5, null, s1, 0, s2
	s_or_b32 s4, s4, exec_lo
	s_waitcnt lgkmcnt(6)
	global_store_b16 v8, v1, s[0:1]
	s_waitcnt lgkmcnt(5)
	global_store_b16 v8, v2, s[0:1] offset:128
	s_waitcnt lgkmcnt(4)
	global_store_b16 v8, v3, s[0:1] offset:256
	;; [unrolled: 2-line block ×5, first 2 shown]
.LBB212_55:
	s_delay_alu instid0(VALU_DEP_1)
	s_and_saveexec_b32 s0, s4
	s_cbranch_execnz .LBB212_57
; %bb.56:
	s_nop 0
	s_sendmsg sendmsg(MSG_DEALLOC_VGPRS)
	s_endpgm
.LBB212_57:
	s_waitcnt lgkmcnt(0)
	global_store_b16 v[4:5], v10, off offset:768
	s_nop 0
	s_sendmsg sendmsg(MSG_DEALLOC_VGPRS)
	s_endpgm
	.section	.rodata,"a",@progbits
	.p2align	6, 0x0
	.amdhsa_kernel _ZN7rocprim17ROCPRIM_400000_NS6detail17trampoline_kernelINS0_14default_configENS1_35adjacent_difference_config_selectorILb0EtEEZNS1_24adjacent_difference_implIS3_Lb0ELb0EPtS7_N6thrust23THRUST_200600_302600_NS5minusItEEEE10hipError_tPvRmT2_T3_mT4_P12ihipStream_tbEUlT_E_NS1_11comp_targetILNS1_3genE9ELNS1_11target_archE1100ELNS1_3gpuE3ELNS1_3repE0EEENS1_30default_config_static_selectorELNS0_4arch9wavefront6targetE0EEEvT1_
		.amdhsa_group_segment_fixed_size 896
		.amdhsa_private_segment_fixed_size 0
		.amdhsa_kernarg_size 56
		.amdhsa_user_sgpr_count 15
		.amdhsa_user_sgpr_dispatch_ptr 0
		.amdhsa_user_sgpr_queue_ptr 0
		.amdhsa_user_sgpr_kernarg_segment_ptr 1
		.amdhsa_user_sgpr_dispatch_id 0
		.amdhsa_user_sgpr_private_segment_size 0
		.amdhsa_wavefront_size32 1
		.amdhsa_uses_dynamic_stack 0
		.amdhsa_enable_private_segment 0
		.amdhsa_system_sgpr_workgroup_id_x 1
		.amdhsa_system_sgpr_workgroup_id_y 0
		.amdhsa_system_sgpr_workgroup_id_z 0
		.amdhsa_system_sgpr_workgroup_info 0
		.amdhsa_system_vgpr_workitem_id 0
		.amdhsa_next_free_vgpr 22
		.amdhsa_next_free_sgpr 21
		.amdhsa_reserve_vcc 1
		.amdhsa_float_round_mode_32 0
		.amdhsa_float_round_mode_16_64 0
		.amdhsa_float_denorm_mode_32 3
		.amdhsa_float_denorm_mode_16_64 3
		.amdhsa_dx10_clamp 1
		.amdhsa_ieee_mode 1
		.amdhsa_fp16_overflow 0
		.amdhsa_workgroup_processor_mode 1
		.amdhsa_memory_ordered 1
		.amdhsa_forward_progress 0
		.amdhsa_shared_vgpr_count 0
		.amdhsa_exception_fp_ieee_invalid_op 0
		.amdhsa_exception_fp_denorm_src 0
		.amdhsa_exception_fp_ieee_div_zero 0
		.amdhsa_exception_fp_ieee_overflow 0
		.amdhsa_exception_fp_ieee_underflow 0
		.amdhsa_exception_fp_ieee_inexact 0
		.amdhsa_exception_int_div_zero 0
	.end_amdhsa_kernel
	.section	.text._ZN7rocprim17ROCPRIM_400000_NS6detail17trampoline_kernelINS0_14default_configENS1_35adjacent_difference_config_selectorILb0EtEEZNS1_24adjacent_difference_implIS3_Lb0ELb0EPtS7_N6thrust23THRUST_200600_302600_NS5minusItEEEE10hipError_tPvRmT2_T3_mT4_P12ihipStream_tbEUlT_E_NS1_11comp_targetILNS1_3genE9ELNS1_11target_archE1100ELNS1_3gpuE3ELNS1_3repE0EEENS1_30default_config_static_selectorELNS0_4arch9wavefront6targetE0EEEvT1_,"axG",@progbits,_ZN7rocprim17ROCPRIM_400000_NS6detail17trampoline_kernelINS0_14default_configENS1_35adjacent_difference_config_selectorILb0EtEEZNS1_24adjacent_difference_implIS3_Lb0ELb0EPtS7_N6thrust23THRUST_200600_302600_NS5minusItEEEE10hipError_tPvRmT2_T3_mT4_P12ihipStream_tbEUlT_E_NS1_11comp_targetILNS1_3genE9ELNS1_11target_archE1100ELNS1_3gpuE3ELNS1_3repE0EEENS1_30default_config_static_selectorELNS0_4arch9wavefront6targetE0EEEvT1_,comdat
.Lfunc_end212:
	.size	_ZN7rocprim17ROCPRIM_400000_NS6detail17trampoline_kernelINS0_14default_configENS1_35adjacent_difference_config_selectorILb0EtEEZNS1_24adjacent_difference_implIS3_Lb0ELb0EPtS7_N6thrust23THRUST_200600_302600_NS5minusItEEEE10hipError_tPvRmT2_T3_mT4_P12ihipStream_tbEUlT_E_NS1_11comp_targetILNS1_3genE9ELNS1_11target_archE1100ELNS1_3gpuE3ELNS1_3repE0EEENS1_30default_config_static_selectorELNS0_4arch9wavefront6targetE0EEEvT1_, .Lfunc_end212-_ZN7rocprim17ROCPRIM_400000_NS6detail17trampoline_kernelINS0_14default_configENS1_35adjacent_difference_config_selectorILb0EtEEZNS1_24adjacent_difference_implIS3_Lb0ELb0EPtS7_N6thrust23THRUST_200600_302600_NS5minusItEEEE10hipError_tPvRmT2_T3_mT4_P12ihipStream_tbEUlT_E_NS1_11comp_targetILNS1_3genE9ELNS1_11target_archE1100ELNS1_3gpuE3ELNS1_3repE0EEENS1_30default_config_static_selectorELNS0_4arch9wavefront6targetE0EEEvT1_
                                        ; -- End function
	.section	.AMDGPU.csdata,"",@progbits
; Kernel info:
; codeLenInByte = 2820
; NumSgprs: 23
; NumVgprs: 22
; ScratchSize: 0
; MemoryBound: 0
; FloatMode: 240
; IeeeMode: 1
; LDSByteSize: 896 bytes/workgroup (compile time only)
; SGPRBlocks: 2
; VGPRBlocks: 2
; NumSGPRsForWavesPerEU: 23
; NumVGPRsForWavesPerEU: 22
; Occupancy: 16
; WaveLimiterHint : 1
; COMPUTE_PGM_RSRC2:SCRATCH_EN: 0
; COMPUTE_PGM_RSRC2:USER_SGPR: 15
; COMPUTE_PGM_RSRC2:TRAP_HANDLER: 0
; COMPUTE_PGM_RSRC2:TGID_X_EN: 1
; COMPUTE_PGM_RSRC2:TGID_Y_EN: 0
; COMPUTE_PGM_RSRC2:TGID_Z_EN: 0
; COMPUTE_PGM_RSRC2:TIDIG_COMP_CNT: 0
	.section	.text._ZN7rocprim17ROCPRIM_400000_NS6detail17trampoline_kernelINS0_14default_configENS1_35adjacent_difference_config_selectorILb0EtEEZNS1_24adjacent_difference_implIS3_Lb0ELb0EPtS7_N6thrust23THRUST_200600_302600_NS5minusItEEEE10hipError_tPvRmT2_T3_mT4_P12ihipStream_tbEUlT_E_NS1_11comp_targetILNS1_3genE8ELNS1_11target_archE1030ELNS1_3gpuE2ELNS1_3repE0EEENS1_30default_config_static_selectorELNS0_4arch9wavefront6targetE0EEEvT1_,"axG",@progbits,_ZN7rocprim17ROCPRIM_400000_NS6detail17trampoline_kernelINS0_14default_configENS1_35adjacent_difference_config_selectorILb0EtEEZNS1_24adjacent_difference_implIS3_Lb0ELb0EPtS7_N6thrust23THRUST_200600_302600_NS5minusItEEEE10hipError_tPvRmT2_T3_mT4_P12ihipStream_tbEUlT_E_NS1_11comp_targetILNS1_3genE8ELNS1_11target_archE1030ELNS1_3gpuE2ELNS1_3repE0EEENS1_30default_config_static_selectorELNS0_4arch9wavefront6targetE0EEEvT1_,comdat
	.protected	_ZN7rocprim17ROCPRIM_400000_NS6detail17trampoline_kernelINS0_14default_configENS1_35adjacent_difference_config_selectorILb0EtEEZNS1_24adjacent_difference_implIS3_Lb0ELb0EPtS7_N6thrust23THRUST_200600_302600_NS5minusItEEEE10hipError_tPvRmT2_T3_mT4_P12ihipStream_tbEUlT_E_NS1_11comp_targetILNS1_3genE8ELNS1_11target_archE1030ELNS1_3gpuE2ELNS1_3repE0EEENS1_30default_config_static_selectorELNS0_4arch9wavefront6targetE0EEEvT1_ ; -- Begin function _ZN7rocprim17ROCPRIM_400000_NS6detail17trampoline_kernelINS0_14default_configENS1_35adjacent_difference_config_selectorILb0EtEEZNS1_24adjacent_difference_implIS3_Lb0ELb0EPtS7_N6thrust23THRUST_200600_302600_NS5minusItEEEE10hipError_tPvRmT2_T3_mT4_P12ihipStream_tbEUlT_E_NS1_11comp_targetILNS1_3genE8ELNS1_11target_archE1030ELNS1_3gpuE2ELNS1_3repE0EEENS1_30default_config_static_selectorELNS0_4arch9wavefront6targetE0EEEvT1_
	.globl	_ZN7rocprim17ROCPRIM_400000_NS6detail17trampoline_kernelINS0_14default_configENS1_35adjacent_difference_config_selectorILb0EtEEZNS1_24adjacent_difference_implIS3_Lb0ELb0EPtS7_N6thrust23THRUST_200600_302600_NS5minusItEEEE10hipError_tPvRmT2_T3_mT4_P12ihipStream_tbEUlT_E_NS1_11comp_targetILNS1_3genE8ELNS1_11target_archE1030ELNS1_3gpuE2ELNS1_3repE0EEENS1_30default_config_static_selectorELNS0_4arch9wavefront6targetE0EEEvT1_
	.p2align	8
	.type	_ZN7rocprim17ROCPRIM_400000_NS6detail17trampoline_kernelINS0_14default_configENS1_35adjacent_difference_config_selectorILb0EtEEZNS1_24adjacent_difference_implIS3_Lb0ELb0EPtS7_N6thrust23THRUST_200600_302600_NS5minusItEEEE10hipError_tPvRmT2_T3_mT4_P12ihipStream_tbEUlT_E_NS1_11comp_targetILNS1_3genE8ELNS1_11target_archE1030ELNS1_3gpuE2ELNS1_3repE0EEENS1_30default_config_static_selectorELNS0_4arch9wavefront6targetE0EEEvT1_,@function
_ZN7rocprim17ROCPRIM_400000_NS6detail17trampoline_kernelINS0_14default_configENS1_35adjacent_difference_config_selectorILb0EtEEZNS1_24adjacent_difference_implIS3_Lb0ELb0EPtS7_N6thrust23THRUST_200600_302600_NS5minusItEEEE10hipError_tPvRmT2_T3_mT4_P12ihipStream_tbEUlT_E_NS1_11comp_targetILNS1_3genE8ELNS1_11target_archE1030ELNS1_3gpuE2ELNS1_3repE0EEENS1_30default_config_static_selectorELNS0_4arch9wavefront6targetE0EEEvT1_: ; @_ZN7rocprim17ROCPRIM_400000_NS6detail17trampoline_kernelINS0_14default_configENS1_35adjacent_difference_config_selectorILb0EtEEZNS1_24adjacent_difference_implIS3_Lb0ELb0EPtS7_N6thrust23THRUST_200600_302600_NS5minusItEEEE10hipError_tPvRmT2_T3_mT4_P12ihipStream_tbEUlT_E_NS1_11comp_targetILNS1_3genE8ELNS1_11target_archE1030ELNS1_3gpuE2ELNS1_3repE0EEENS1_30default_config_static_selectorELNS0_4arch9wavefront6targetE0EEEvT1_
; %bb.0:
	.section	.rodata,"a",@progbits
	.p2align	6, 0x0
	.amdhsa_kernel _ZN7rocprim17ROCPRIM_400000_NS6detail17trampoline_kernelINS0_14default_configENS1_35adjacent_difference_config_selectorILb0EtEEZNS1_24adjacent_difference_implIS3_Lb0ELb0EPtS7_N6thrust23THRUST_200600_302600_NS5minusItEEEE10hipError_tPvRmT2_T3_mT4_P12ihipStream_tbEUlT_E_NS1_11comp_targetILNS1_3genE8ELNS1_11target_archE1030ELNS1_3gpuE2ELNS1_3repE0EEENS1_30default_config_static_selectorELNS0_4arch9wavefront6targetE0EEEvT1_
		.amdhsa_group_segment_fixed_size 0
		.amdhsa_private_segment_fixed_size 0
		.amdhsa_kernarg_size 56
		.amdhsa_user_sgpr_count 15
		.amdhsa_user_sgpr_dispatch_ptr 0
		.amdhsa_user_sgpr_queue_ptr 0
		.amdhsa_user_sgpr_kernarg_segment_ptr 1
		.amdhsa_user_sgpr_dispatch_id 0
		.amdhsa_user_sgpr_private_segment_size 0
		.amdhsa_wavefront_size32 1
		.amdhsa_uses_dynamic_stack 0
		.amdhsa_enable_private_segment 0
		.amdhsa_system_sgpr_workgroup_id_x 1
		.amdhsa_system_sgpr_workgroup_id_y 0
		.amdhsa_system_sgpr_workgroup_id_z 0
		.amdhsa_system_sgpr_workgroup_info 0
		.amdhsa_system_vgpr_workitem_id 0
		.amdhsa_next_free_vgpr 1
		.amdhsa_next_free_sgpr 1
		.amdhsa_reserve_vcc 0
		.amdhsa_float_round_mode_32 0
		.amdhsa_float_round_mode_16_64 0
		.amdhsa_float_denorm_mode_32 3
		.amdhsa_float_denorm_mode_16_64 3
		.amdhsa_dx10_clamp 1
		.amdhsa_ieee_mode 1
		.amdhsa_fp16_overflow 0
		.amdhsa_workgroup_processor_mode 1
		.amdhsa_memory_ordered 1
		.amdhsa_forward_progress 0
		.amdhsa_shared_vgpr_count 0
		.amdhsa_exception_fp_ieee_invalid_op 0
		.amdhsa_exception_fp_denorm_src 0
		.amdhsa_exception_fp_ieee_div_zero 0
		.amdhsa_exception_fp_ieee_overflow 0
		.amdhsa_exception_fp_ieee_underflow 0
		.amdhsa_exception_fp_ieee_inexact 0
		.amdhsa_exception_int_div_zero 0
	.end_amdhsa_kernel
	.section	.text._ZN7rocprim17ROCPRIM_400000_NS6detail17trampoline_kernelINS0_14default_configENS1_35adjacent_difference_config_selectorILb0EtEEZNS1_24adjacent_difference_implIS3_Lb0ELb0EPtS7_N6thrust23THRUST_200600_302600_NS5minusItEEEE10hipError_tPvRmT2_T3_mT4_P12ihipStream_tbEUlT_E_NS1_11comp_targetILNS1_3genE8ELNS1_11target_archE1030ELNS1_3gpuE2ELNS1_3repE0EEENS1_30default_config_static_selectorELNS0_4arch9wavefront6targetE0EEEvT1_,"axG",@progbits,_ZN7rocprim17ROCPRIM_400000_NS6detail17trampoline_kernelINS0_14default_configENS1_35adjacent_difference_config_selectorILb0EtEEZNS1_24adjacent_difference_implIS3_Lb0ELb0EPtS7_N6thrust23THRUST_200600_302600_NS5minusItEEEE10hipError_tPvRmT2_T3_mT4_P12ihipStream_tbEUlT_E_NS1_11comp_targetILNS1_3genE8ELNS1_11target_archE1030ELNS1_3gpuE2ELNS1_3repE0EEENS1_30default_config_static_selectorELNS0_4arch9wavefront6targetE0EEEvT1_,comdat
.Lfunc_end213:
	.size	_ZN7rocprim17ROCPRIM_400000_NS6detail17trampoline_kernelINS0_14default_configENS1_35adjacent_difference_config_selectorILb0EtEEZNS1_24adjacent_difference_implIS3_Lb0ELb0EPtS7_N6thrust23THRUST_200600_302600_NS5minusItEEEE10hipError_tPvRmT2_T3_mT4_P12ihipStream_tbEUlT_E_NS1_11comp_targetILNS1_3genE8ELNS1_11target_archE1030ELNS1_3gpuE2ELNS1_3repE0EEENS1_30default_config_static_selectorELNS0_4arch9wavefront6targetE0EEEvT1_, .Lfunc_end213-_ZN7rocprim17ROCPRIM_400000_NS6detail17trampoline_kernelINS0_14default_configENS1_35adjacent_difference_config_selectorILb0EtEEZNS1_24adjacent_difference_implIS3_Lb0ELb0EPtS7_N6thrust23THRUST_200600_302600_NS5minusItEEEE10hipError_tPvRmT2_T3_mT4_P12ihipStream_tbEUlT_E_NS1_11comp_targetILNS1_3genE8ELNS1_11target_archE1030ELNS1_3gpuE2ELNS1_3repE0EEENS1_30default_config_static_selectorELNS0_4arch9wavefront6targetE0EEEvT1_
                                        ; -- End function
	.section	.AMDGPU.csdata,"",@progbits
; Kernel info:
; codeLenInByte = 0
; NumSgprs: 0
; NumVgprs: 0
; ScratchSize: 0
; MemoryBound: 0
; FloatMode: 240
; IeeeMode: 1
; LDSByteSize: 0 bytes/workgroup (compile time only)
; SGPRBlocks: 0
; VGPRBlocks: 0
; NumSGPRsForWavesPerEU: 1
; NumVGPRsForWavesPerEU: 1
; Occupancy: 16
; WaveLimiterHint : 0
; COMPUTE_PGM_RSRC2:SCRATCH_EN: 0
; COMPUTE_PGM_RSRC2:USER_SGPR: 15
; COMPUTE_PGM_RSRC2:TRAP_HANDLER: 0
; COMPUTE_PGM_RSRC2:TGID_X_EN: 1
; COMPUTE_PGM_RSRC2:TGID_Y_EN: 0
; COMPUTE_PGM_RSRC2:TGID_Z_EN: 0
; COMPUTE_PGM_RSRC2:TIDIG_COMP_CNT: 0
	.section	.text._ZN7rocprim17ROCPRIM_400000_NS6detail17trampoline_kernelINS0_14default_configENS1_25transform_config_selectorItLb0EEEZNS1_14transform_implILb0ES3_S5_NS0_18transform_iteratorINS0_17counting_iteratorImlEEZNS1_24adjacent_difference_implIS3_Lb1ELb0EPtSB_N6thrust23THRUST_200600_302600_NS5minusItEEEE10hipError_tPvRmT2_T3_mT4_P12ihipStream_tbEUlmE_tEESB_NS0_8identityIvEEEESG_SJ_SK_mSL_SN_bEUlT_E_NS1_11comp_targetILNS1_3genE0ELNS1_11target_archE4294967295ELNS1_3gpuE0ELNS1_3repE0EEENS1_30default_config_static_selectorELNS0_4arch9wavefront6targetE0EEEvT1_,"axG",@progbits,_ZN7rocprim17ROCPRIM_400000_NS6detail17trampoline_kernelINS0_14default_configENS1_25transform_config_selectorItLb0EEEZNS1_14transform_implILb0ES3_S5_NS0_18transform_iteratorINS0_17counting_iteratorImlEEZNS1_24adjacent_difference_implIS3_Lb1ELb0EPtSB_N6thrust23THRUST_200600_302600_NS5minusItEEEE10hipError_tPvRmT2_T3_mT4_P12ihipStream_tbEUlmE_tEESB_NS0_8identityIvEEEESG_SJ_SK_mSL_SN_bEUlT_E_NS1_11comp_targetILNS1_3genE0ELNS1_11target_archE4294967295ELNS1_3gpuE0ELNS1_3repE0EEENS1_30default_config_static_selectorELNS0_4arch9wavefront6targetE0EEEvT1_,comdat
	.protected	_ZN7rocprim17ROCPRIM_400000_NS6detail17trampoline_kernelINS0_14default_configENS1_25transform_config_selectorItLb0EEEZNS1_14transform_implILb0ES3_S5_NS0_18transform_iteratorINS0_17counting_iteratorImlEEZNS1_24adjacent_difference_implIS3_Lb1ELb0EPtSB_N6thrust23THRUST_200600_302600_NS5minusItEEEE10hipError_tPvRmT2_T3_mT4_P12ihipStream_tbEUlmE_tEESB_NS0_8identityIvEEEESG_SJ_SK_mSL_SN_bEUlT_E_NS1_11comp_targetILNS1_3genE0ELNS1_11target_archE4294967295ELNS1_3gpuE0ELNS1_3repE0EEENS1_30default_config_static_selectorELNS0_4arch9wavefront6targetE0EEEvT1_ ; -- Begin function _ZN7rocprim17ROCPRIM_400000_NS6detail17trampoline_kernelINS0_14default_configENS1_25transform_config_selectorItLb0EEEZNS1_14transform_implILb0ES3_S5_NS0_18transform_iteratorINS0_17counting_iteratorImlEEZNS1_24adjacent_difference_implIS3_Lb1ELb0EPtSB_N6thrust23THRUST_200600_302600_NS5minusItEEEE10hipError_tPvRmT2_T3_mT4_P12ihipStream_tbEUlmE_tEESB_NS0_8identityIvEEEESG_SJ_SK_mSL_SN_bEUlT_E_NS1_11comp_targetILNS1_3genE0ELNS1_11target_archE4294967295ELNS1_3gpuE0ELNS1_3repE0EEENS1_30default_config_static_selectorELNS0_4arch9wavefront6targetE0EEEvT1_
	.globl	_ZN7rocprim17ROCPRIM_400000_NS6detail17trampoline_kernelINS0_14default_configENS1_25transform_config_selectorItLb0EEEZNS1_14transform_implILb0ES3_S5_NS0_18transform_iteratorINS0_17counting_iteratorImlEEZNS1_24adjacent_difference_implIS3_Lb1ELb0EPtSB_N6thrust23THRUST_200600_302600_NS5minusItEEEE10hipError_tPvRmT2_T3_mT4_P12ihipStream_tbEUlmE_tEESB_NS0_8identityIvEEEESG_SJ_SK_mSL_SN_bEUlT_E_NS1_11comp_targetILNS1_3genE0ELNS1_11target_archE4294967295ELNS1_3gpuE0ELNS1_3repE0EEENS1_30default_config_static_selectorELNS0_4arch9wavefront6targetE0EEEvT1_
	.p2align	8
	.type	_ZN7rocprim17ROCPRIM_400000_NS6detail17trampoline_kernelINS0_14default_configENS1_25transform_config_selectorItLb0EEEZNS1_14transform_implILb0ES3_S5_NS0_18transform_iteratorINS0_17counting_iteratorImlEEZNS1_24adjacent_difference_implIS3_Lb1ELb0EPtSB_N6thrust23THRUST_200600_302600_NS5minusItEEEE10hipError_tPvRmT2_T3_mT4_P12ihipStream_tbEUlmE_tEESB_NS0_8identityIvEEEESG_SJ_SK_mSL_SN_bEUlT_E_NS1_11comp_targetILNS1_3genE0ELNS1_11target_archE4294967295ELNS1_3gpuE0ELNS1_3repE0EEENS1_30default_config_static_selectorELNS0_4arch9wavefront6targetE0EEEvT1_,@function
_ZN7rocprim17ROCPRIM_400000_NS6detail17trampoline_kernelINS0_14default_configENS1_25transform_config_selectorItLb0EEEZNS1_14transform_implILb0ES3_S5_NS0_18transform_iteratorINS0_17counting_iteratorImlEEZNS1_24adjacent_difference_implIS3_Lb1ELb0EPtSB_N6thrust23THRUST_200600_302600_NS5minusItEEEE10hipError_tPvRmT2_T3_mT4_P12ihipStream_tbEUlmE_tEESB_NS0_8identityIvEEEESG_SJ_SK_mSL_SN_bEUlT_E_NS1_11comp_targetILNS1_3genE0ELNS1_11target_archE4294967295ELNS1_3gpuE0ELNS1_3repE0EEENS1_30default_config_static_selectorELNS0_4arch9wavefront6targetE0EEEvT1_: ; @_ZN7rocprim17ROCPRIM_400000_NS6detail17trampoline_kernelINS0_14default_configENS1_25transform_config_selectorItLb0EEEZNS1_14transform_implILb0ES3_S5_NS0_18transform_iteratorINS0_17counting_iteratorImlEEZNS1_24adjacent_difference_implIS3_Lb1ELb0EPtSB_N6thrust23THRUST_200600_302600_NS5minusItEEEE10hipError_tPvRmT2_T3_mT4_P12ihipStream_tbEUlmE_tEESB_NS0_8identityIvEEEESG_SJ_SK_mSL_SN_bEUlT_E_NS1_11comp_targetILNS1_3genE0ELNS1_11target_archE4294967295ELNS1_3gpuE0ELNS1_3repE0EEENS1_30default_config_static_selectorELNS0_4arch9wavefront6targetE0EEEvT1_
; %bb.0:
	.section	.rodata,"a",@progbits
	.p2align	6, 0x0
	.amdhsa_kernel _ZN7rocprim17ROCPRIM_400000_NS6detail17trampoline_kernelINS0_14default_configENS1_25transform_config_selectorItLb0EEEZNS1_14transform_implILb0ES3_S5_NS0_18transform_iteratorINS0_17counting_iteratorImlEEZNS1_24adjacent_difference_implIS3_Lb1ELb0EPtSB_N6thrust23THRUST_200600_302600_NS5minusItEEEE10hipError_tPvRmT2_T3_mT4_P12ihipStream_tbEUlmE_tEESB_NS0_8identityIvEEEESG_SJ_SK_mSL_SN_bEUlT_E_NS1_11comp_targetILNS1_3genE0ELNS1_11target_archE4294967295ELNS1_3gpuE0ELNS1_3repE0EEENS1_30default_config_static_selectorELNS0_4arch9wavefront6targetE0EEEvT1_
		.amdhsa_group_segment_fixed_size 0
		.amdhsa_private_segment_fixed_size 0
		.amdhsa_kernarg_size 56
		.amdhsa_user_sgpr_count 15
		.amdhsa_user_sgpr_dispatch_ptr 0
		.amdhsa_user_sgpr_queue_ptr 0
		.amdhsa_user_sgpr_kernarg_segment_ptr 1
		.amdhsa_user_sgpr_dispatch_id 0
		.amdhsa_user_sgpr_private_segment_size 0
		.amdhsa_wavefront_size32 1
		.amdhsa_uses_dynamic_stack 0
		.amdhsa_enable_private_segment 0
		.amdhsa_system_sgpr_workgroup_id_x 1
		.amdhsa_system_sgpr_workgroup_id_y 0
		.amdhsa_system_sgpr_workgroup_id_z 0
		.amdhsa_system_sgpr_workgroup_info 0
		.amdhsa_system_vgpr_workitem_id 0
		.amdhsa_next_free_vgpr 1
		.amdhsa_next_free_sgpr 1
		.amdhsa_reserve_vcc 0
		.amdhsa_float_round_mode_32 0
		.amdhsa_float_round_mode_16_64 0
		.amdhsa_float_denorm_mode_32 3
		.amdhsa_float_denorm_mode_16_64 3
		.amdhsa_dx10_clamp 1
		.amdhsa_ieee_mode 1
		.amdhsa_fp16_overflow 0
		.amdhsa_workgroup_processor_mode 1
		.amdhsa_memory_ordered 1
		.amdhsa_forward_progress 0
		.amdhsa_shared_vgpr_count 0
		.amdhsa_exception_fp_ieee_invalid_op 0
		.amdhsa_exception_fp_denorm_src 0
		.amdhsa_exception_fp_ieee_div_zero 0
		.amdhsa_exception_fp_ieee_overflow 0
		.amdhsa_exception_fp_ieee_underflow 0
		.amdhsa_exception_fp_ieee_inexact 0
		.amdhsa_exception_int_div_zero 0
	.end_amdhsa_kernel
	.section	.text._ZN7rocprim17ROCPRIM_400000_NS6detail17trampoline_kernelINS0_14default_configENS1_25transform_config_selectorItLb0EEEZNS1_14transform_implILb0ES3_S5_NS0_18transform_iteratorINS0_17counting_iteratorImlEEZNS1_24adjacent_difference_implIS3_Lb1ELb0EPtSB_N6thrust23THRUST_200600_302600_NS5minusItEEEE10hipError_tPvRmT2_T3_mT4_P12ihipStream_tbEUlmE_tEESB_NS0_8identityIvEEEESG_SJ_SK_mSL_SN_bEUlT_E_NS1_11comp_targetILNS1_3genE0ELNS1_11target_archE4294967295ELNS1_3gpuE0ELNS1_3repE0EEENS1_30default_config_static_selectorELNS0_4arch9wavefront6targetE0EEEvT1_,"axG",@progbits,_ZN7rocprim17ROCPRIM_400000_NS6detail17trampoline_kernelINS0_14default_configENS1_25transform_config_selectorItLb0EEEZNS1_14transform_implILb0ES3_S5_NS0_18transform_iteratorINS0_17counting_iteratorImlEEZNS1_24adjacent_difference_implIS3_Lb1ELb0EPtSB_N6thrust23THRUST_200600_302600_NS5minusItEEEE10hipError_tPvRmT2_T3_mT4_P12ihipStream_tbEUlmE_tEESB_NS0_8identityIvEEEESG_SJ_SK_mSL_SN_bEUlT_E_NS1_11comp_targetILNS1_3genE0ELNS1_11target_archE4294967295ELNS1_3gpuE0ELNS1_3repE0EEENS1_30default_config_static_selectorELNS0_4arch9wavefront6targetE0EEEvT1_,comdat
.Lfunc_end214:
	.size	_ZN7rocprim17ROCPRIM_400000_NS6detail17trampoline_kernelINS0_14default_configENS1_25transform_config_selectorItLb0EEEZNS1_14transform_implILb0ES3_S5_NS0_18transform_iteratorINS0_17counting_iteratorImlEEZNS1_24adjacent_difference_implIS3_Lb1ELb0EPtSB_N6thrust23THRUST_200600_302600_NS5minusItEEEE10hipError_tPvRmT2_T3_mT4_P12ihipStream_tbEUlmE_tEESB_NS0_8identityIvEEEESG_SJ_SK_mSL_SN_bEUlT_E_NS1_11comp_targetILNS1_3genE0ELNS1_11target_archE4294967295ELNS1_3gpuE0ELNS1_3repE0EEENS1_30default_config_static_selectorELNS0_4arch9wavefront6targetE0EEEvT1_, .Lfunc_end214-_ZN7rocprim17ROCPRIM_400000_NS6detail17trampoline_kernelINS0_14default_configENS1_25transform_config_selectorItLb0EEEZNS1_14transform_implILb0ES3_S5_NS0_18transform_iteratorINS0_17counting_iteratorImlEEZNS1_24adjacent_difference_implIS3_Lb1ELb0EPtSB_N6thrust23THRUST_200600_302600_NS5minusItEEEE10hipError_tPvRmT2_T3_mT4_P12ihipStream_tbEUlmE_tEESB_NS0_8identityIvEEEESG_SJ_SK_mSL_SN_bEUlT_E_NS1_11comp_targetILNS1_3genE0ELNS1_11target_archE4294967295ELNS1_3gpuE0ELNS1_3repE0EEENS1_30default_config_static_selectorELNS0_4arch9wavefront6targetE0EEEvT1_
                                        ; -- End function
	.section	.AMDGPU.csdata,"",@progbits
; Kernel info:
; codeLenInByte = 0
; NumSgprs: 0
; NumVgprs: 0
; ScratchSize: 0
; MemoryBound: 0
; FloatMode: 240
; IeeeMode: 1
; LDSByteSize: 0 bytes/workgroup (compile time only)
; SGPRBlocks: 0
; VGPRBlocks: 0
; NumSGPRsForWavesPerEU: 1
; NumVGPRsForWavesPerEU: 1
; Occupancy: 16
; WaveLimiterHint : 0
; COMPUTE_PGM_RSRC2:SCRATCH_EN: 0
; COMPUTE_PGM_RSRC2:USER_SGPR: 15
; COMPUTE_PGM_RSRC2:TRAP_HANDLER: 0
; COMPUTE_PGM_RSRC2:TGID_X_EN: 1
; COMPUTE_PGM_RSRC2:TGID_Y_EN: 0
; COMPUTE_PGM_RSRC2:TGID_Z_EN: 0
; COMPUTE_PGM_RSRC2:TIDIG_COMP_CNT: 0
	.section	.text._ZN7rocprim17ROCPRIM_400000_NS6detail17trampoline_kernelINS0_14default_configENS1_25transform_config_selectorItLb0EEEZNS1_14transform_implILb0ES3_S5_NS0_18transform_iteratorINS0_17counting_iteratorImlEEZNS1_24adjacent_difference_implIS3_Lb1ELb0EPtSB_N6thrust23THRUST_200600_302600_NS5minusItEEEE10hipError_tPvRmT2_T3_mT4_P12ihipStream_tbEUlmE_tEESB_NS0_8identityIvEEEESG_SJ_SK_mSL_SN_bEUlT_E_NS1_11comp_targetILNS1_3genE5ELNS1_11target_archE942ELNS1_3gpuE9ELNS1_3repE0EEENS1_30default_config_static_selectorELNS0_4arch9wavefront6targetE0EEEvT1_,"axG",@progbits,_ZN7rocprim17ROCPRIM_400000_NS6detail17trampoline_kernelINS0_14default_configENS1_25transform_config_selectorItLb0EEEZNS1_14transform_implILb0ES3_S5_NS0_18transform_iteratorINS0_17counting_iteratorImlEEZNS1_24adjacent_difference_implIS3_Lb1ELb0EPtSB_N6thrust23THRUST_200600_302600_NS5minusItEEEE10hipError_tPvRmT2_T3_mT4_P12ihipStream_tbEUlmE_tEESB_NS0_8identityIvEEEESG_SJ_SK_mSL_SN_bEUlT_E_NS1_11comp_targetILNS1_3genE5ELNS1_11target_archE942ELNS1_3gpuE9ELNS1_3repE0EEENS1_30default_config_static_selectorELNS0_4arch9wavefront6targetE0EEEvT1_,comdat
	.protected	_ZN7rocprim17ROCPRIM_400000_NS6detail17trampoline_kernelINS0_14default_configENS1_25transform_config_selectorItLb0EEEZNS1_14transform_implILb0ES3_S5_NS0_18transform_iteratorINS0_17counting_iteratorImlEEZNS1_24adjacent_difference_implIS3_Lb1ELb0EPtSB_N6thrust23THRUST_200600_302600_NS5minusItEEEE10hipError_tPvRmT2_T3_mT4_P12ihipStream_tbEUlmE_tEESB_NS0_8identityIvEEEESG_SJ_SK_mSL_SN_bEUlT_E_NS1_11comp_targetILNS1_3genE5ELNS1_11target_archE942ELNS1_3gpuE9ELNS1_3repE0EEENS1_30default_config_static_selectorELNS0_4arch9wavefront6targetE0EEEvT1_ ; -- Begin function _ZN7rocprim17ROCPRIM_400000_NS6detail17trampoline_kernelINS0_14default_configENS1_25transform_config_selectorItLb0EEEZNS1_14transform_implILb0ES3_S5_NS0_18transform_iteratorINS0_17counting_iteratorImlEEZNS1_24adjacent_difference_implIS3_Lb1ELb0EPtSB_N6thrust23THRUST_200600_302600_NS5minusItEEEE10hipError_tPvRmT2_T3_mT4_P12ihipStream_tbEUlmE_tEESB_NS0_8identityIvEEEESG_SJ_SK_mSL_SN_bEUlT_E_NS1_11comp_targetILNS1_3genE5ELNS1_11target_archE942ELNS1_3gpuE9ELNS1_3repE0EEENS1_30default_config_static_selectorELNS0_4arch9wavefront6targetE0EEEvT1_
	.globl	_ZN7rocprim17ROCPRIM_400000_NS6detail17trampoline_kernelINS0_14default_configENS1_25transform_config_selectorItLb0EEEZNS1_14transform_implILb0ES3_S5_NS0_18transform_iteratorINS0_17counting_iteratorImlEEZNS1_24adjacent_difference_implIS3_Lb1ELb0EPtSB_N6thrust23THRUST_200600_302600_NS5minusItEEEE10hipError_tPvRmT2_T3_mT4_P12ihipStream_tbEUlmE_tEESB_NS0_8identityIvEEEESG_SJ_SK_mSL_SN_bEUlT_E_NS1_11comp_targetILNS1_3genE5ELNS1_11target_archE942ELNS1_3gpuE9ELNS1_3repE0EEENS1_30default_config_static_selectorELNS0_4arch9wavefront6targetE0EEEvT1_
	.p2align	8
	.type	_ZN7rocprim17ROCPRIM_400000_NS6detail17trampoline_kernelINS0_14default_configENS1_25transform_config_selectorItLb0EEEZNS1_14transform_implILb0ES3_S5_NS0_18transform_iteratorINS0_17counting_iteratorImlEEZNS1_24adjacent_difference_implIS3_Lb1ELb0EPtSB_N6thrust23THRUST_200600_302600_NS5minusItEEEE10hipError_tPvRmT2_T3_mT4_P12ihipStream_tbEUlmE_tEESB_NS0_8identityIvEEEESG_SJ_SK_mSL_SN_bEUlT_E_NS1_11comp_targetILNS1_3genE5ELNS1_11target_archE942ELNS1_3gpuE9ELNS1_3repE0EEENS1_30default_config_static_selectorELNS0_4arch9wavefront6targetE0EEEvT1_,@function
_ZN7rocprim17ROCPRIM_400000_NS6detail17trampoline_kernelINS0_14default_configENS1_25transform_config_selectorItLb0EEEZNS1_14transform_implILb0ES3_S5_NS0_18transform_iteratorINS0_17counting_iteratorImlEEZNS1_24adjacent_difference_implIS3_Lb1ELb0EPtSB_N6thrust23THRUST_200600_302600_NS5minusItEEEE10hipError_tPvRmT2_T3_mT4_P12ihipStream_tbEUlmE_tEESB_NS0_8identityIvEEEESG_SJ_SK_mSL_SN_bEUlT_E_NS1_11comp_targetILNS1_3genE5ELNS1_11target_archE942ELNS1_3gpuE9ELNS1_3repE0EEENS1_30default_config_static_selectorELNS0_4arch9wavefront6targetE0EEEvT1_: ; @_ZN7rocprim17ROCPRIM_400000_NS6detail17trampoline_kernelINS0_14default_configENS1_25transform_config_selectorItLb0EEEZNS1_14transform_implILb0ES3_S5_NS0_18transform_iteratorINS0_17counting_iteratorImlEEZNS1_24adjacent_difference_implIS3_Lb1ELb0EPtSB_N6thrust23THRUST_200600_302600_NS5minusItEEEE10hipError_tPvRmT2_T3_mT4_P12ihipStream_tbEUlmE_tEESB_NS0_8identityIvEEEESG_SJ_SK_mSL_SN_bEUlT_E_NS1_11comp_targetILNS1_3genE5ELNS1_11target_archE942ELNS1_3gpuE9ELNS1_3repE0EEENS1_30default_config_static_selectorELNS0_4arch9wavefront6targetE0EEEvT1_
; %bb.0:
	.section	.rodata,"a",@progbits
	.p2align	6, 0x0
	.amdhsa_kernel _ZN7rocprim17ROCPRIM_400000_NS6detail17trampoline_kernelINS0_14default_configENS1_25transform_config_selectorItLb0EEEZNS1_14transform_implILb0ES3_S5_NS0_18transform_iteratorINS0_17counting_iteratorImlEEZNS1_24adjacent_difference_implIS3_Lb1ELb0EPtSB_N6thrust23THRUST_200600_302600_NS5minusItEEEE10hipError_tPvRmT2_T3_mT4_P12ihipStream_tbEUlmE_tEESB_NS0_8identityIvEEEESG_SJ_SK_mSL_SN_bEUlT_E_NS1_11comp_targetILNS1_3genE5ELNS1_11target_archE942ELNS1_3gpuE9ELNS1_3repE0EEENS1_30default_config_static_selectorELNS0_4arch9wavefront6targetE0EEEvT1_
		.amdhsa_group_segment_fixed_size 0
		.amdhsa_private_segment_fixed_size 0
		.amdhsa_kernarg_size 56
		.amdhsa_user_sgpr_count 15
		.amdhsa_user_sgpr_dispatch_ptr 0
		.amdhsa_user_sgpr_queue_ptr 0
		.amdhsa_user_sgpr_kernarg_segment_ptr 1
		.amdhsa_user_sgpr_dispatch_id 0
		.amdhsa_user_sgpr_private_segment_size 0
		.amdhsa_wavefront_size32 1
		.amdhsa_uses_dynamic_stack 0
		.amdhsa_enable_private_segment 0
		.amdhsa_system_sgpr_workgroup_id_x 1
		.amdhsa_system_sgpr_workgroup_id_y 0
		.amdhsa_system_sgpr_workgroup_id_z 0
		.amdhsa_system_sgpr_workgroup_info 0
		.amdhsa_system_vgpr_workitem_id 0
		.amdhsa_next_free_vgpr 1
		.amdhsa_next_free_sgpr 1
		.amdhsa_reserve_vcc 0
		.amdhsa_float_round_mode_32 0
		.amdhsa_float_round_mode_16_64 0
		.amdhsa_float_denorm_mode_32 3
		.amdhsa_float_denorm_mode_16_64 3
		.amdhsa_dx10_clamp 1
		.amdhsa_ieee_mode 1
		.amdhsa_fp16_overflow 0
		.amdhsa_workgroup_processor_mode 1
		.amdhsa_memory_ordered 1
		.amdhsa_forward_progress 0
		.amdhsa_shared_vgpr_count 0
		.amdhsa_exception_fp_ieee_invalid_op 0
		.amdhsa_exception_fp_denorm_src 0
		.amdhsa_exception_fp_ieee_div_zero 0
		.amdhsa_exception_fp_ieee_overflow 0
		.amdhsa_exception_fp_ieee_underflow 0
		.amdhsa_exception_fp_ieee_inexact 0
		.amdhsa_exception_int_div_zero 0
	.end_amdhsa_kernel
	.section	.text._ZN7rocprim17ROCPRIM_400000_NS6detail17trampoline_kernelINS0_14default_configENS1_25transform_config_selectorItLb0EEEZNS1_14transform_implILb0ES3_S5_NS0_18transform_iteratorINS0_17counting_iteratorImlEEZNS1_24adjacent_difference_implIS3_Lb1ELb0EPtSB_N6thrust23THRUST_200600_302600_NS5minusItEEEE10hipError_tPvRmT2_T3_mT4_P12ihipStream_tbEUlmE_tEESB_NS0_8identityIvEEEESG_SJ_SK_mSL_SN_bEUlT_E_NS1_11comp_targetILNS1_3genE5ELNS1_11target_archE942ELNS1_3gpuE9ELNS1_3repE0EEENS1_30default_config_static_selectorELNS0_4arch9wavefront6targetE0EEEvT1_,"axG",@progbits,_ZN7rocprim17ROCPRIM_400000_NS6detail17trampoline_kernelINS0_14default_configENS1_25transform_config_selectorItLb0EEEZNS1_14transform_implILb0ES3_S5_NS0_18transform_iteratorINS0_17counting_iteratorImlEEZNS1_24adjacent_difference_implIS3_Lb1ELb0EPtSB_N6thrust23THRUST_200600_302600_NS5minusItEEEE10hipError_tPvRmT2_T3_mT4_P12ihipStream_tbEUlmE_tEESB_NS0_8identityIvEEEESG_SJ_SK_mSL_SN_bEUlT_E_NS1_11comp_targetILNS1_3genE5ELNS1_11target_archE942ELNS1_3gpuE9ELNS1_3repE0EEENS1_30default_config_static_selectorELNS0_4arch9wavefront6targetE0EEEvT1_,comdat
.Lfunc_end215:
	.size	_ZN7rocprim17ROCPRIM_400000_NS6detail17trampoline_kernelINS0_14default_configENS1_25transform_config_selectorItLb0EEEZNS1_14transform_implILb0ES3_S5_NS0_18transform_iteratorINS0_17counting_iteratorImlEEZNS1_24adjacent_difference_implIS3_Lb1ELb0EPtSB_N6thrust23THRUST_200600_302600_NS5minusItEEEE10hipError_tPvRmT2_T3_mT4_P12ihipStream_tbEUlmE_tEESB_NS0_8identityIvEEEESG_SJ_SK_mSL_SN_bEUlT_E_NS1_11comp_targetILNS1_3genE5ELNS1_11target_archE942ELNS1_3gpuE9ELNS1_3repE0EEENS1_30default_config_static_selectorELNS0_4arch9wavefront6targetE0EEEvT1_, .Lfunc_end215-_ZN7rocprim17ROCPRIM_400000_NS6detail17trampoline_kernelINS0_14default_configENS1_25transform_config_selectorItLb0EEEZNS1_14transform_implILb0ES3_S5_NS0_18transform_iteratorINS0_17counting_iteratorImlEEZNS1_24adjacent_difference_implIS3_Lb1ELb0EPtSB_N6thrust23THRUST_200600_302600_NS5minusItEEEE10hipError_tPvRmT2_T3_mT4_P12ihipStream_tbEUlmE_tEESB_NS0_8identityIvEEEESG_SJ_SK_mSL_SN_bEUlT_E_NS1_11comp_targetILNS1_3genE5ELNS1_11target_archE942ELNS1_3gpuE9ELNS1_3repE0EEENS1_30default_config_static_selectorELNS0_4arch9wavefront6targetE0EEEvT1_
                                        ; -- End function
	.section	.AMDGPU.csdata,"",@progbits
; Kernel info:
; codeLenInByte = 0
; NumSgprs: 0
; NumVgprs: 0
; ScratchSize: 0
; MemoryBound: 0
; FloatMode: 240
; IeeeMode: 1
; LDSByteSize: 0 bytes/workgroup (compile time only)
; SGPRBlocks: 0
; VGPRBlocks: 0
; NumSGPRsForWavesPerEU: 1
; NumVGPRsForWavesPerEU: 1
; Occupancy: 16
; WaveLimiterHint : 0
; COMPUTE_PGM_RSRC2:SCRATCH_EN: 0
; COMPUTE_PGM_RSRC2:USER_SGPR: 15
; COMPUTE_PGM_RSRC2:TRAP_HANDLER: 0
; COMPUTE_PGM_RSRC2:TGID_X_EN: 1
; COMPUTE_PGM_RSRC2:TGID_Y_EN: 0
; COMPUTE_PGM_RSRC2:TGID_Z_EN: 0
; COMPUTE_PGM_RSRC2:TIDIG_COMP_CNT: 0
	.section	.text._ZN7rocprim17ROCPRIM_400000_NS6detail17trampoline_kernelINS0_14default_configENS1_25transform_config_selectorItLb0EEEZNS1_14transform_implILb0ES3_S5_NS0_18transform_iteratorINS0_17counting_iteratorImlEEZNS1_24adjacent_difference_implIS3_Lb1ELb0EPtSB_N6thrust23THRUST_200600_302600_NS5minusItEEEE10hipError_tPvRmT2_T3_mT4_P12ihipStream_tbEUlmE_tEESB_NS0_8identityIvEEEESG_SJ_SK_mSL_SN_bEUlT_E_NS1_11comp_targetILNS1_3genE4ELNS1_11target_archE910ELNS1_3gpuE8ELNS1_3repE0EEENS1_30default_config_static_selectorELNS0_4arch9wavefront6targetE0EEEvT1_,"axG",@progbits,_ZN7rocprim17ROCPRIM_400000_NS6detail17trampoline_kernelINS0_14default_configENS1_25transform_config_selectorItLb0EEEZNS1_14transform_implILb0ES3_S5_NS0_18transform_iteratorINS0_17counting_iteratorImlEEZNS1_24adjacent_difference_implIS3_Lb1ELb0EPtSB_N6thrust23THRUST_200600_302600_NS5minusItEEEE10hipError_tPvRmT2_T3_mT4_P12ihipStream_tbEUlmE_tEESB_NS0_8identityIvEEEESG_SJ_SK_mSL_SN_bEUlT_E_NS1_11comp_targetILNS1_3genE4ELNS1_11target_archE910ELNS1_3gpuE8ELNS1_3repE0EEENS1_30default_config_static_selectorELNS0_4arch9wavefront6targetE0EEEvT1_,comdat
	.protected	_ZN7rocprim17ROCPRIM_400000_NS6detail17trampoline_kernelINS0_14default_configENS1_25transform_config_selectorItLb0EEEZNS1_14transform_implILb0ES3_S5_NS0_18transform_iteratorINS0_17counting_iteratorImlEEZNS1_24adjacent_difference_implIS3_Lb1ELb0EPtSB_N6thrust23THRUST_200600_302600_NS5minusItEEEE10hipError_tPvRmT2_T3_mT4_P12ihipStream_tbEUlmE_tEESB_NS0_8identityIvEEEESG_SJ_SK_mSL_SN_bEUlT_E_NS1_11comp_targetILNS1_3genE4ELNS1_11target_archE910ELNS1_3gpuE8ELNS1_3repE0EEENS1_30default_config_static_selectorELNS0_4arch9wavefront6targetE0EEEvT1_ ; -- Begin function _ZN7rocprim17ROCPRIM_400000_NS6detail17trampoline_kernelINS0_14default_configENS1_25transform_config_selectorItLb0EEEZNS1_14transform_implILb0ES3_S5_NS0_18transform_iteratorINS0_17counting_iteratorImlEEZNS1_24adjacent_difference_implIS3_Lb1ELb0EPtSB_N6thrust23THRUST_200600_302600_NS5minusItEEEE10hipError_tPvRmT2_T3_mT4_P12ihipStream_tbEUlmE_tEESB_NS0_8identityIvEEEESG_SJ_SK_mSL_SN_bEUlT_E_NS1_11comp_targetILNS1_3genE4ELNS1_11target_archE910ELNS1_3gpuE8ELNS1_3repE0EEENS1_30default_config_static_selectorELNS0_4arch9wavefront6targetE0EEEvT1_
	.globl	_ZN7rocprim17ROCPRIM_400000_NS6detail17trampoline_kernelINS0_14default_configENS1_25transform_config_selectorItLb0EEEZNS1_14transform_implILb0ES3_S5_NS0_18transform_iteratorINS0_17counting_iteratorImlEEZNS1_24adjacent_difference_implIS3_Lb1ELb0EPtSB_N6thrust23THRUST_200600_302600_NS5minusItEEEE10hipError_tPvRmT2_T3_mT4_P12ihipStream_tbEUlmE_tEESB_NS0_8identityIvEEEESG_SJ_SK_mSL_SN_bEUlT_E_NS1_11comp_targetILNS1_3genE4ELNS1_11target_archE910ELNS1_3gpuE8ELNS1_3repE0EEENS1_30default_config_static_selectorELNS0_4arch9wavefront6targetE0EEEvT1_
	.p2align	8
	.type	_ZN7rocprim17ROCPRIM_400000_NS6detail17trampoline_kernelINS0_14default_configENS1_25transform_config_selectorItLb0EEEZNS1_14transform_implILb0ES3_S5_NS0_18transform_iteratorINS0_17counting_iteratorImlEEZNS1_24adjacent_difference_implIS3_Lb1ELb0EPtSB_N6thrust23THRUST_200600_302600_NS5minusItEEEE10hipError_tPvRmT2_T3_mT4_P12ihipStream_tbEUlmE_tEESB_NS0_8identityIvEEEESG_SJ_SK_mSL_SN_bEUlT_E_NS1_11comp_targetILNS1_3genE4ELNS1_11target_archE910ELNS1_3gpuE8ELNS1_3repE0EEENS1_30default_config_static_selectorELNS0_4arch9wavefront6targetE0EEEvT1_,@function
_ZN7rocprim17ROCPRIM_400000_NS6detail17trampoline_kernelINS0_14default_configENS1_25transform_config_selectorItLb0EEEZNS1_14transform_implILb0ES3_S5_NS0_18transform_iteratorINS0_17counting_iteratorImlEEZNS1_24adjacent_difference_implIS3_Lb1ELb0EPtSB_N6thrust23THRUST_200600_302600_NS5minusItEEEE10hipError_tPvRmT2_T3_mT4_P12ihipStream_tbEUlmE_tEESB_NS0_8identityIvEEEESG_SJ_SK_mSL_SN_bEUlT_E_NS1_11comp_targetILNS1_3genE4ELNS1_11target_archE910ELNS1_3gpuE8ELNS1_3repE0EEENS1_30default_config_static_selectorELNS0_4arch9wavefront6targetE0EEEvT1_: ; @_ZN7rocprim17ROCPRIM_400000_NS6detail17trampoline_kernelINS0_14default_configENS1_25transform_config_selectorItLb0EEEZNS1_14transform_implILb0ES3_S5_NS0_18transform_iteratorINS0_17counting_iteratorImlEEZNS1_24adjacent_difference_implIS3_Lb1ELb0EPtSB_N6thrust23THRUST_200600_302600_NS5minusItEEEE10hipError_tPvRmT2_T3_mT4_P12ihipStream_tbEUlmE_tEESB_NS0_8identityIvEEEESG_SJ_SK_mSL_SN_bEUlT_E_NS1_11comp_targetILNS1_3genE4ELNS1_11target_archE910ELNS1_3gpuE8ELNS1_3repE0EEENS1_30default_config_static_selectorELNS0_4arch9wavefront6targetE0EEEvT1_
; %bb.0:
	.section	.rodata,"a",@progbits
	.p2align	6, 0x0
	.amdhsa_kernel _ZN7rocprim17ROCPRIM_400000_NS6detail17trampoline_kernelINS0_14default_configENS1_25transform_config_selectorItLb0EEEZNS1_14transform_implILb0ES3_S5_NS0_18transform_iteratorINS0_17counting_iteratorImlEEZNS1_24adjacent_difference_implIS3_Lb1ELb0EPtSB_N6thrust23THRUST_200600_302600_NS5minusItEEEE10hipError_tPvRmT2_T3_mT4_P12ihipStream_tbEUlmE_tEESB_NS0_8identityIvEEEESG_SJ_SK_mSL_SN_bEUlT_E_NS1_11comp_targetILNS1_3genE4ELNS1_11target_archE910ELNS1_3gpuE8ELNS1_3repE0EEENS1_30default_config_static_selectorELNS0_4arch9wavefront6targetE0EEEvT1_
		.amdhsa_group_segment_fixed_size 0
		.amdhsa_private_segment_fixed_size 0
		.amdhsa_kernarg_size 56
		.amdhsa_user_sgpr_count 15
		.amdhsa_user_sgpr_dispatch_ptr 0
		.amdhsa_user_sgpr_queue_ptr 0
		.amdhsa_user_sgpr_kernarg_segment_ptr 1
		.amdhsa_user_sgpr_dispatch_id 0
		.amdhsa_user_sgpr_private_segment_size 0
		.amdhsa_wavefront_size32 1
		.amdhsa_uses_dynamic_stack 0
		.amdhsa_enable_private_segment 0
		.amdhsa_system_sgpr_workgroup_id_x 1
		.amdhsa_system_sgpr_workgroup_id_y 0
		.amdhsa_system_sgpr_workgroup_id_z 0
		.amdhsa_system_sgpr_workgroup_info 0
		.amdhsa_system_vgpr_workitem_id 0
		.amdhsa_next_free_vgpr 1
		.amdhsa_next_free_sgpr 1
		.amdhsa_reserve_vcc 0
		.amdhsa_float_round_mode_32 0
		.amdhsa_float_round_mode_16_64 0
		.amdhsa_float_denorm_mode_32 3
		.amdhsa_float_denorm_mode_16_64 3
		.amdhsa_dx10_clamp 1
		.amdhsa_ieee_mode 1
		.amdhsa_fp16_overflow 0
		.amdhsa_workgroup_processor_mode 1
		.amdhsa_memory_ordered 1
		.amdhsa_forward_progress 0
		.amdhsa_shared_vgpr_count 0
		.amdhsa_exception_fp_ieee_invalid_op 0
		.amdhsa_exception_fp_denorm_src 0
		.amdhsa_exception_fp_ieee_div_zero 0
		.amdhsa_exception_fp_ieee_overflow 0
		.amdhsa_exception_fp_ieee_underflow 0
		.amdhsa_exception_fp_ieee_inexact 0
		.amdhsa_exception_int_div_zero 0
	.end_amdhsa_kernel
	.section	.text._ZN7rocprim17ROCPRIM_400000_NS6detail17trampoline_kernelINS0_14default_configENS1_25transform_config_selectorItLb0EEEZNS1_14transform_implILb0ES3_S5_NS0_18transform_iteratorINS0_17counting_iteratorImlEEZNS1_24adjacent_difference_implIS3_Lb1ELb0EPtSB_N6thrust23THRUST_200600_302600_NS5minusItEEEE10hipError_tPvRmT2_T3_mT4_P12ihipStream_tbEUlmE_tEESB_NS0_8identityIvEEEESG_SJ_SK_mSL_SN_bEUlT_E_NS1_11comp_targetILNS1_3genE4ELNS1_11target_archE910ELNS1_3gpuE8ELNS1_3repE0EEENS1_30default_config_static_selectorELNS0_4arch9wavefront6targetE0EEEvT1_,"axG",@progbits,_ZN7rocprim17ROCPRIM_400000_NS6detail17trampoline_kernelINS0_14default_configENS1_25transform_config_selectorItLb0EEEZNS1_14transform_implILb0ES3_S5_NS0_18transform_iteratorINS0_17counting_iteratorImlEEZNS1_24adjacent_difference_implIS3_Lb1ELb0EPtSB_N6thrust23THRUST_200600_302600_NS5minusItEEEE10hipError_tPvRmT2_T3_mT4_P12ihipStream_tbEUlmE_tEESB_NS0_8identityIvEEEESG_SJ_SK_mSL_SN_bEUlT_E_NS1_11comp_targetILNS1_3genE4ELNS1_11target_archE910ELNS1_3gpuE8ELNS1_3repE0EEENS1_30default_config_static_selectorELNS0_4arch9wavefront6targetE0EEEvT1_,comdat
.Lfunc_end216:
	.size	_ZN7rocprim17ROCPRIM_400000_NS6detail17trampoline_kernelINS0_14default_configENS1_25transform_config_selectorItLb0EEEZNS1_14transform_implILb0ES3_S5_NS0_18transform_iteratorINS0_17counting_iteratorImlEEZNS1_24adjacent_difference_implIS3_Lb1ELb0EPtSB_N6thrust23THRUST_200600_302600_NS5minusItEEEE10hipError_tPvRmT2_T3_mT4_P12ihipStream_tbEUlmE_tEESB_NS0_8identityIvEEEESG_SJ_SK_mSL_SN_bEUlT_E_NS1_11comp_targetILNS1_3genE4ELNS1_11target_archE910ELNS1_3gpuE8ELNS1_3repE0EEENS1_30default_config_static_selectorELNS0_4arch9wavefront6targetE0EEEvT1_, .Lfunc_end216-_ZN7rocprim17ROCPRIM_400000_NS6detail17trampoline_kernelINS0_14default_configENS1_25transform_config_selectorItLb0EEEZNS1_14transform_implILb0ES3_S5_NS0_18transform_iteratorINS0_17counting_iteratorImlEEZNS1_24adjacent_difference_implIS3_Lb1ELb0EPtSB_N6thrust23THRUST_200600_302600_NS5minusItEEEE10hipError_tPvRmT2_T3_mT4_P12ihipStream_tbEUlmE_tEESB_NS0_8identityIvEEEESG_SJ_SK_mSL_SN_bEUlT_E_NS1_11comp_targetILNS1_3genE4ELNS1_11target_archE910ELNS1_3gpuE8ELNS1_3repE0EEENS1_30default_config_static_selectorELNS0_4arch9wavefront6targetE0EEEvT1_
                                        ; -- End function
	.section	.AMDGPU.csdata,"",@progbits
; Kernel info:
; codeLenInByte = 0
; NumSgprs: 0
; NumVgprs: 0
; ScratchSize: 0
; MemoryBound: 0
; FloatMode: 240
; IeeeMode: 1
; LDSByteSize: 0 bytes/workgroup (compile time only)
; SGPRBlocks: 0
; VGPRBlocks: 0
; NumSGPRsForWavesPerEU: 1
; NumVGPRsForWavesPerEU: 1
; Occupancy: 16
; WaveLimiterHint : 0
; COMPUTE_PGM_RSRC2:SCRATCH_EN: 0
; COMPUTE_PGM_RSRC2:USER_SGPR: 15
; COMPUTE_PGM_RSRC2:TRAP_HANDLER: 0
; COMPUTE_PGM_RSRC2:TGID_X_EN: 1
; COMPUTE_PGM_RSRC2:TGID_Y_EN: 0
; COMPUTE_PGM_RSRC2:TGID_Z_EN: 0
; COMPUTE_PGM_RSRC2:TIDIG_COMP_CNT: 0
	.section	.text._ZN7rocprim17ROCPRIM_400000_NS6detail17trampoline_kernelINS0_14default_configENS1_25transform_config_selectorItLb0EEEZNS1_14transform_implILb0ES3_S5_NS0_18transform_iteratorINS0_17counting_iteratorImlEEZNS1_24adjacent_difference_implIS3_Lb1ELb0EPtSB_N6thrust23THRUST_200600_302600_NS5minusItEEEE10hipError_tPvRmT2_T3_mT4_P12ihipStream_tbEUlmE_tEESB_NS0_8identityIvEEEESG_SJ_SK_mSL_SN_bEUlT_E_NS1_11comp_targetILNS1_3genE3ELNS1_11target_archE908ELNS1_3gpuE7ELNS1_3repE0EEENS1_30default_config_static_selectorELNS0_4arch9wavefront6targetE0EEEvT1_,"axG",@progbits,_ZN7rocprim17ROCPRIM_400000_NS6detail17trampoline_kernelINS0_14default_configENS1_25transform_config_selectorItLb0EEEZNS1_14transform_implILb0ES3_S5_NS0_18transform_iteratorINS0_17counting_iteratorImlEEZNS1_24adjacent_difference_implIS3_Lb1ELb0EPtSB_N6thrust23THRUST_200600_302600_NS5minusItEEEE10hipError_tPvRmT2_T3_mT4_P12ihipStream_tbEUlmE_tEESB_NS0_8identityIvEEEESG_SJ_SK_mSL_SN_bEUlT_E_NS1_11comp_targetILNS1_3genE3ELNS1_11target_archE908ELNS1_3gpuE7ELNS1_3repE0EEENS1_30default_config_static_selectorELNS0_4arch9wavefront6targetE0EEEvT1_,comdat
	.protected	_ZN7rocprim17ROCPRIM_400000_NS6detail17trampoline_kernelINS0_14default_configENS1_25transform_config_selectorItLb0EEEZNS1_14transform_implILb0ES3_S5_NS0_18transform_iteratorINS0_17counting_iteratorImlEEZNS1_24adjacent_difference_implIS3_Lb1ELb0EPtSB_N6thrust23THRUST_200600_302600_NS5minusItEEEE10hipError_tPvRmT2_T3_mT4_P12ihipStream_tbEUlmE_tEESB_NS0_8identityIvEEEESG_SJ_SK_mSL_SN_bEUlT_E_NS1_11comp_targetILNS1_3genE3ELNS1_11target_archE908ELNS1_3gpuE7ELNS1_3repE0EEENS1_30default_config_static_selectorELNS0_4arch9wavefront6targetE0EEEvT1_ ; -- Begin function _ZN7rocprim17ROCPRIM_400000_NS6detail17trampoline_kernelINS0_14default_configENS1_25transform_config_selectorItLb0EEEZNS1_14transform_implILb0ES3_S5_NS0_18transform_iteratorINS0_17counting_iteratorImlEEZNS1_24adjacent_difference_implIS3_Lb1ELb0EPtSB_N6thrust23THRUST_200600_302600_NS5minusItEEEE10hipError_tPvRmT2_T3_mT4_P12ihipStream_tbEUlmE_tEESB_NS0_8identityIvEEEESG_SJ_SK_mSL_SN_bEUlT_E_NS1_11comp_targetILNS1_3genE3ELNS1_11target_archE908ELNS1_3gpuE7ELNS1_3repE0EEENS1_30default_config_static_selectorELNS0_4arch9wavefront6targetE0EEEvT1_
	.globl	_ZN7rocprim17ROCPRIM_400000_NS6detail17trampoline_kernelINS0_14default_configENS1_25transform_config_selectorItLb0EEEZNS1_14transform_implILb0ES3_S5_NS0_18transform_iteratorINS0_17counting_iteratorImlEEZNS1_24adjacent_difference_implIS3_Lb1ELb0EPtSB_N6thrust23THRUST_200600_302600_NS5minusItEEEE10hipError_tPvRmT2_T3_mT4_P12ihipStream_tbEUlmE_tEESB_NS0_8identityIvEEEESG_SJ_SK_mSL_SN_bEUlT_E_NS1_11comp_targetILNS1_3genE3ELNS1_11target_archE908ELNS1_3gpuE7ELNS1_3repE0EEENS1_30default_config_static_selectorELNS0_4arch9wavefront6targetE0EEEvT1_
	.p2align	8
	.type	_ZN7rocprim17ROCPRIM_400000_NS6detail17trampoline_kernelINS0_14default_configENS1_25transform_config_selectorItLb0EEEZNS1_14transform_implILb0ES3_S5_NS0_18transform_iteratorINS0_17counting_iteratorImlEEZNS1_24adjacent_difference_implIS3_Lb1ELb0EPtSB_N6thrust23THRUST_200600_302600_NS5minusItEEEE10hipError_tPvRmT2_T3_mT4_P12ihipStream_tbEUlmE_tEESB_NS0_8identityIvEEEESG_SJ_SK_mSL_SN_bEUlT_E_NS1_11comp_targetILNS1_3genE3ELNS1_11target_archE908ELNS1_3gpuE7ELNS1_3repE0EEENS1_30default_config_static_selectorELNS0_4arch9wavefront6targetE0EEEvT1_,@function
_ZN7rocprim17ROCPRIM_400000_NS6detail17trampoline_kernelINS0_14default_configENS1_25transform_config_selectorItLb0EEEZNS1_14transform_implILb0ES3_S5_NS0_18transform_iteratorINS0_17counting_iteratorImlEEZNS1_24adjacent_difference_implIS3_Lb1ELb0EPtSB_N6thrust23THRUST_200600_302600_NS5minusItEEEE10hipError_tPvRmT2_T3_mT4_P12ihipStream_tbEUlmE_tEESB_NS0_8identityIvEEEESG_SJ_SK_mSL_SN_bEUlT_E_NS1_11comp_targetILNS1_3genE3ELNS1_11target_archE908ELNS1_3gpuE7ELNS1_3repE0EEENS1_30default_config_static_selectorELNS0_4arch9wavefront6targetE0EEEvT1_: ; @_ZN7rocprim17ROCPRIM_400000_NS6detail17trampoline_kernelINS0_14default_configENS1_25transform_config_selectorItLb0EEEZNS1_14transform_implILb0ES3_S5_NS0_18transform_iteratorINS0_17counting_iteratorImlEEZNS1_24adjacent_difference_implIS3_Lb1ELb0EPtSB_N6thrust23THRUST_200600_302600_NS5minusItEEEE10hipError_tPvRmT2_T3_mT4_P12ihipStream_tbEUlmE_tEESB_NS0_8identityIvEEEESG_SJ_SK_mSL_SN_bEUlT_E_NS1_11comp_targetILNS1_3genE3ELNS1_11target_archE908ELNS1_3gpuE7ELNS1_3repE0EEENS1_30default_config_static_selectorELNS0_4arch9wavefront6targetE0EEEvT1_
; %bb.0:
	.section	.rodata,"a",@progbits
	.p2align	6, 0x0
	.amdhsa_kernel _ZN7rocprim17ROCPRIM_400000_NS6detail17trampoline_kernelINS0_14default_configENS1_25transform_config_selectorItLb0EEEZNS1_14transform_implILb0ES3_S5_NS0_18transform_iteratorINS0_17counting_iteratorImlEEZNS1_24adjacent_difference_implIS3_Lb1ELb0EPtSB_N6thrust23THRUST_200600_302600_NS5minusItEEEE10hipError_tPvRmT2_T3_mT4_P12ihipStream_tbEUlmE_tEESB_NS0_8identityIvEEEESG_SJ_SK_mSL_SN_bEUlT_E_NS1_11comp_targetILNS1_3genE3ELNS1_11target_archE908ELNS1_3gpuE7ELNS1_3repE0EEENS1_30default_config_static_selectorELNS0_4arch9wavefront6targetE0EEEvT1_
		.amdhsa_group_segment_fixed_size 0
		.amdhsa_private_segment_fixed_size 0
		.amdhsa_kernarg_size 56
		.amdhsa_user_sgpr_count 15
		.amdhsa_user_sgpr_dispatch_ptr 0
		.amdhsa_user_sgpr_queue_ptr 0
		.amdhsa_user_sgpr_kernarg_segment_ptr 1
		.amdhsa_user_sgpr_dispatch_id 0
		.amdhsa_user_sgpr_private_segment_size 0
		.amdhsa_wavefront_size32 1
		.amdhsa_uses_dynamic_stack 0
		.amdhsa_enable_private_segment 0
		.amdhsa_system_sgpr_workgroup_id_x 1
		.amdhsa_system_sgpr_workgroup_id_y 0
		.amdhsa_system_sgpr_workgroup_id_z 0
		.amdhsa_system_sgpr_workgroup_info 0
		.amdhsa_system_vgpr_workitem_id 0
		.amdhsa_next_free_vgpr 1
		.amdhsa_next_free_sgpr 1
		.amdhsa_reserve_vcc 0
		.amdhsa_float_round_mode_32 0
		.amdhsa_float_round_mode_16_64 0
		.amdhsa_float_denorm_mode_32 3
		.amdhsa_float_denorm_mode_16_64 3
		.amdhsa_dx10_clamp 1
		.amdhsa_ieee_mode 1
		.amdhsa_fp16_overflow 0
		.amdhsa_workgroup_processor_mode 1
		.amdhsa_memory_ordered 1
		.amdhsa_forward_progress 0
		.amdhsa_shared_vgpr_count 0
		.amdhsa_exception_fp_ieee_invalid_op 0
		.amdhsa_exception_fp_denorm_src 0
		.amdhsa_exception_fp_ieee_div_zero 0
		.amdhsa_exception_fp_ieee_overflow 0
		.amdhsa_exception_fp_ieee_underflow 0
		.amdhsa_exception_fp_ieee_inexact 0
		.amdhsa_exception_int_div_zero 0
	.end_amdhsa_kernel
	.section	.text._ZN7rocprim17ROCPRIM_400000_NS6detail17trampoline_kernelINS0_14default_configENS1_25transform_config_selectorItLb0EEEZNS1_14transform_implILb0ES3_S5_NS0_18transform_iteratorINS0_17counting_iteratorImlEEZNS1_24adjacent_difference_implIS3_Lb1ELb0EPtSB_N6thrust23THRUST_200600_302600_NS5minusItEEEE10hipError_tPvRmT2_T3_mT4_P12ihipStream_tbEUlmE_tEESB_NS0_8identityIvEEEESG_SJ_SK_mSL_SN_bEUlT_E_NS1_11comp_targetILNS1_3genE3ELNS1_11target_archE908ELNS1_3gpuE7ELNS1_3repE0EEENS1_30default_config_static_selectorELNS0_4arch9wavefront6targetE0EEEvT1_,"axG",@progbits,_ZN7rocprim17ROCPRIM_400000_NS6detail17trampoline_kernelINS0_14default_configENS1_25transform_config_selectorItLb0EEEZNS1_14transform_implILb0ES3_S5_NS0_18transform_iteratorINS0_17counting_iteratorImlEEZNS1_24adjacent_difference_implIS3_Lb1ELb0EPtSB_N6thrust23THRUST_200600_302600_NS5minusItEEEE10hipError_tPvRmT2_T3_mT4_P12ihipStream_tbEUlmE_tEESB_NS0_8identityIvEEEESG_SJ_SK_mSL_SN_bEUlT_E_NS1_11comp_targetILNS1_3genE3ELNS1_11target_archE908ELNS1_3gpuE7ELNS1_3repE0EEENS1_30default_config_static_selectorELNS0_4arch9wavefront6targetE0EEEvT1_,comdat
.Lfunc_end217:
	.size	_ZN7rocprim17ROCPRIM_400000_NS6detail17trampoline_kernelINS0_14default_configENS1_25transform_config_selectorItLb0EEEZNS1_14transform_implILb0ES3_S5_NS0_18transform_iteratorINS0_17counting_iteratorImlEEZNS1_24adjacent_difference_implIS3_Lb1ELb0EPtSB_N6thrust23THRUST_200600_302600_NS5minusItEEEE10hipError_tPvRmT2_T3_mT4_P12ihipStream_tbEUlmE_tEESB_NS0_8identityIvEEEESG_SJ_SK_mSL_SN_bEUlT_E_NS1_11comp_targetILNS1_3genE3ELNS1_11target_archE908ELNS1_3gpuE7ELNS1_3repE0EEENS1_30default_config_static_selectorELNS0_4arch9wavefront6targetE0EEEvT1_, .Lfunc_end217-_ZN7rocprim17ROCPRIM_400000_NS6detail17trampoline_kernelINS0_14default_configENS1_25transform_config_selectorItLb0EEEZNS1_14transform_implILb0ES3_S5_NS0_18transform_iteratorINS0_17counting_iteratorImlEEZNS1_24adjacent_difference_implIS3_Lb1ELb0EPtSB_N6thrust23THRUST_200600_302600_NS5minusItEEEE10hipError_tPvRmT2_T3_mT4_P12ihipStream_tbEUlmE_tEESB_NS0_8identityIvEEEESG_SJ_SK_mSL_SN_bEUlT_E_NS1_11comp_targetILNS1_3genE3ELNS1_11target_archE908ELNS1_3gpuE7ELNS1_3repE0EEENS1_30default_config_static_selectorELNS0_4arch9wavefront6targetE0EEEvT1_
                                        ; -- End function
	.section	.AMDGPU.csdata,"",@progbits
; Kernel info:
; codeLenInByte = 0
; NumSgprs: 0
; NumVgprs: 0
; ScratchSize: 0
; MemoryBound: 0
; FloatMode: 240
; IeeeMode: 1
; LDSByteSize: 0 bytes/workgroup (compile time only)
; SGPRBlocks: 0
; VGPRBlocks: 0
; NumSGPRsForWavesPerEU: 1
; NumVGPRsForWavesPerEU: 1
; Occupancy: 16
; WaveLimiterHint : 0
; COMPUTE_PGM_RSRC2:SCRATCH_EN: 0
; COMPUTE_PGM_RSRC2:USER_SGPR: 15
; COMPUTE_PGM_RSRC2:TRAP_HANDLER: 0
; COMPUTE_PGM_RSRC2:TGID_X_EN: 1
; COMPUTE_PGM_RSRC2:TGID_Y_EN: 0
; COMPUTE_PGM_RSRC2:TGID_Z_EN: 0
; COMPUTE_PGM_RSRC2:TIDIG_COMP_CNT: 0
	.section	.text._ZN7rocprim17ROCPRIM_400000_NS6detail17trampoline_kernelINS0_14default_configENS1_25transform_config_selectorItLb0EEEZNS1_14transform_implILb0ES3_S5_NS0_18transform_iteratorINS0_17counting_iteratorImlEEZNS1_24adjacent_difference_implIS3_Lb1ELb0EPtSB_N6thrust23THRUST_200600_302600_NS5minusItEEEE10hipError_tPvRmT2_T3_mT4_P12ihipStream_tbEUlmE_tEESB_NS0_8identityIvEEEESG_SJ_SK_mSL_SN_bEUlT_E_NS1_11comp_targetILNS1_3genE2ELNS1_11target_archE906ELNS1_3gpuE6ELNS1_3repE0EEENS1_30default_config_static_selectorELNS0_4arch9wavefront6targetE0EEEvT1_,"axG",@progbits,_ZN7rocprim17ROCPRIM_400000_NS6detail17trampoline_kernelINS0_14default_configENS1_25transform_config_selectorItLb0EEEZNS1_14transform_implILb0ES3_S5_NS0_18transform_iteratorINS0_17counting_iteratorImlEEZNS1_24adjacent_difference_implIS3_Lb1ELb0EPtSB_N6thrust23THRUST_200600_302600_NS5minusItEEEE10hipError_tPvRmT2_T3_mT4_P12ihipStream_tbEUlmE_tEESB_NS0_8identityIvEEEESG_SJ_SK_mSL_SN_bEUlT_E_NS1_11comp_targetILNS1_3genE2ELNS1_11target_archE906ELNS1_3gpuE6ELNS1_3repE0EEENS1_30default_config_static_selectorELNS0_4arch9wavefront6targetE0EEEvT1_,comdat
	.protected	_ZN7rocprim17ROCPRIM_400000_NS6detail17trampoline_kernelINS0_14default_configENS1_25transform_config_selectorItLb0EEEZNS1_14transform_implILb0ES3_S5_NS0_18transform_iteratorINS0_17counting_iteratorImlEEZNS1_24adjacent_difference_implIS3_Lb1ELb0EPtSB_N6thrust23THRUST_200600_302600_NS5minusItEEEE10hipError_tPvRmT2_T3_mT4_P12ihipStream_tbEUlmE_tEESB_NS0_8identityIvEEEESG_SJ_SK_mSL_SN_bEUlT_E_NS1_11comp_targetILNS1_3genE2ELNS1_11target_archE906ELNS1_3gpuE6ELNS1_3repE0EEENS1_30default_config_static_selectorELNS0_4arch9wavefront6targetE0EEEvT1_ ; -- Begin function _ZN7rocprim17ROCPRIM_400000_NS6detail17trampoline_kernelINS0_14default_configENS1_25transform_config_selectorItLb0EEEZNS1_14transform_implILb0ES3_S5_NS0_18transform_iteratorINS0_17counting_iteratorImlEEZNS1_24adjacent_difference_implIS3_Lb1ELb0EPtSB_N6thrust23THRUST_200600_302600_NS5minusItEEEE10hipError_tPvRmT2_T3_mT4_P12ihipStream_tbEUlmE_tEESB_NS0_8identityIvEEEESG_SJ_SK_mSL_SN_bEUlT_E_NS1_11comp_targetILNS1_3genE2ELNS1_11target_archE906ELNS1_3gpuE6ELNS1_3repE0EEENS1_30default_config_static_selectorELNS0_4arch9wavefront6targetE0EEEvT1_
	.globl	_ZN7rocprim17ROCPRIM_400000_NS6detail17trampoline_kernelINS0_14default_configENS1_25transform_config_selectorItLb0EEEZNS1_14transform_implILb0ES3_S5_NS0_18transform_iteratorINS0_17counting_iteratorImlEEZNS1_24adjacent_difference_implIS3_Lb1ELb0EPtSB_N6thrust23THRUST_200600_302600_NS5minusItEEEE10hipError_tPvRmT2_T3_mT4_P12ihipStream_tbEUlmE_tEESB_NS0_8identityIvEEEESG_SJ_SK_mSL_SN_bEUlT_E_NS1_11comp_targetILNS1_3genE2ELNS1_11target_archE906ELNS1_3gpuE6ELNS1_3repE0EEENS1_30default_config_static_selectorELNS0_4arch9wavefront6targetE0EEEvT1_
	.p2align	8
	.type	_ZN7rocprim17ROCPRIM_400000_NS6detail17trampoline_kernelINS0_14default_configENS1_25transform_config_selectorItLb0EEEZNS1_14transform_implILb0ES3_S5_NS0_18transform_iteratorINS0_17counting_iteratorImlEEZNS1_24adjacent_difference_implIS3_Lb1ELb0EPtSB_N6thrust23THRUST_200600_302600_NS5minusItEEEE10hipError_tPvRmT2_T3_mT4_P12ihipStream_tbEUlmE_tEESB_NS0_8identityIvEEEESG_SJ_SK_mSL_SN_bEUlT_E_NS1_11comp_targetILNS1_3genE2ELNS1_11target_archE906ELNS1_3gpuE6ELNS1_3repE0EEENS1_30default_config_static_selectorELNS0_4arch9wavefront6targetE0EEEvT1_,@function
_ZN7rocprim17ROCPRIM_400000_NS6detail17trampoline_kernelINS0_14default_configENS1_25transform_config_selectorItLb0EEEZNS1_14transform_implILb0ES3_S5_NS0_18transform_iteratorINS0_17counting_iteratorImlEEZNS1_24adjacent_difference_implIS3_Lb1ELb0EPtSB_N6thrust23THRUST_200600_302600_NS5minusItEEEE10hipError_tPvRmT2_T3_mT4_P12ihipStream_tbEUlmE_tEESB_NS0_8identityIvEEEESG_SJ_SK_mSL_SN_bEUlT_E_NS1_11comp_targetILNS1_3genE2ELNS1_11target_archE906ELNS1_3gpuE6ELNS1_3repE0EEENS1_30default_config_static_selectorELNS0_4arch9wavefront6targetE0EEEvT1_: ; @_ZN7rocprim17ROCPRIM_400000_NS6detail17trampoline_kernelINS0_14default_configENS1_25transform_config_selectorItLb0EEEZNS1_14transform_implILb0ES3_S5_NS0_18transform_iteratorINS0_17counting_iteratorImlEEZNS1_24adjacent_difference_implIS3_Lb1ELb0EPtSB_N6thrust23THRUST_200600_302600_NS5minusItEEEE10hipError_tPvRmT2_T3_mT4_P12ihipStream_tbEUlmE_tEESB_NS0_8identityIvEEEESG_SJ_SK_mSL_SN_bEUlT_E_NS1_11comp_targetILNS1_3genE2ELNS1_11target_archE906ELNS1_3gpuE6ELNS1_3repE0EEENS1_30default_config_static_selectorELNS0_4arch9wavefront6targetE0EEEvT1_
; %bb.0:
	.section	.rodata,"a",@progbits
	.p2align	6, 0x0
	.amdhsa_kernel _ZN7rocprim17ROCPRIM_400000_NS6detail17trampoline_kernelINS0_14default_configENS1_25transform_config_selectorItLb0EEEZNS1_14transform_implILb0ES3_S5_NS0_18transform_iteratorINS0_17counting_iteratorImlEEZNS1_24adjacent_difference_implIS3_Lb1ELb0EPtSB_N6thrust23THRUST_200600_302600_NS5minusItEEEE10hipError_tPvRmT2_T3_mT4_P12ihipStream_tbEUlmE_tEESB_NS0_8identityIvEEEESG_SJ_SK_mSL_SN_bEUlT_E_NS1_11comp_targetILNS1_3genE2ELNS1_11target_archE906ELNS1_3gpuE6ELNS1_3repE0EEENS1_30default_config_static_selectorELNS0_4arch9wavefront6targetE0EEEvT1_
		.amdhsa_group_segment_fixed_size 0
		.amdhsa_private_segment_fixed_size 0
		.amdhsa_kernarg_size 56
		.amdhsa_user_sgpr_count 15
		.amdhsa_user_sgpr_dispatch_ptr 0
		.amdhsa_user_sgpr_queue_ptr 0
		.amdhsa_user_sgpr_kernarg_segment_ptr 1
		.amdhsa_user_sgpr_dispatch_id 0
		.amdhsa_user_sgpr_private_segment_size 0
		.amdhsa_wavefront_size32 1
		.amdhsa_uses_dynamic_stack 0
		.amdhsa_enable_private_segment 0
		.amdhsa_system_sgpr_workgroup_id_x 1
		.amdhsa_system_sgpr_workgroup_id_y 0
		.amdhsa_system_sgpr_workgroup_id_z 0
		.amdhsa_system_sgpr_workgroup_info 0
		.amdhsa_system_vgpr_workitem_id 0
		.amdhsa_next_free_vgpr 1
		.amdhsa_next_free_sgpr 1
		.amdhsa_reserve_vcc 0
		.amdhsa_float_round_mode_32 0
		.amdhsa_float_round_mode_16_64 0
		.amdhsa_float_denorm_mode_32 3
		.amdhsa_float_denorm_mode_16_64 3
		.amdhsa_dx10_clamp 1
		.amdhsa_ieee_mode 1
		.amdhsa_fp16_overflow 0
		.amdhsa_workgroup_processor_mode 1
		.amdhsa_memory_ordered 1
		.amdhsa_forward_progress 0
		.amdhsa_shared_vgpr_count 0
		.amdhsa_exception_fp_ieee_invalid_op 0
		.amdhsa_exception_fp_denorm_src 0
		.amdhsa_exception_fp_ieee_div_zero 0
		.amdhsa_exception_fp_ieee_overflow 0
		.amdhsa_exception_fp_ieee_underflow 0
		.amdhsa_exception_fp_ieee_inexact 0
		.amdhsa_exception_int_div_zero 0
	.end_amdhsa_kernel
	.section	.text._ZN7rocprim17ROCPRIM_400000_NS6detail17trampoline_kernelINS0_14default_configENS1_25transform_config_selectorItLb0EEEZNS1_14transform_implILb0ES3_S5_NS0_18transform_iteratorINS0_17counting_iteratorImlEEZNS1_24adjacent_difference_implIS3_Lb1ELb0EPtSB_N6thrust23THRUST_200600_302600_NS5minusItEEEE10hipError_tPvRmT2_T3_mT4_P12ihipStream_tbEUlmE_tEESB_NS0_8identityIvEEEESG_SJ_SK_mSL_SN_bEUlT_E_NS1_11comp_targetILNS1_3genE2ELNS1_11target_archE906ELNS1_3gpuE6ELNS1_3repE0EEENS1_30default_config_static_selectorELNS0_4arch9wavefront6targetE0EEEvT1_,"axG",@progbits,_ZN7rocprim17ROCPRIM_400000_NS6detail17trampoline_kernelINS0_14default_configENS1_25transform_config_selectorItLb0EEEZNS1_14transform_implILb0ES3_S5_NS0_18transform_iteratorINS0_17counting_iteratorImlEEZNS1_24adjacent_difference_implIS3_Lb1ELb0EPtSB_N6thrust23THRUST_200600_302600_NS5minusItEEEE10hipError_tPvRmT2_T3_mT4_P12ihipStream_tbEUlmE_tEESB_NS0_8identityIvEEEESG_SJ_SK_mSL_SN_bEUlT_E_NS1_11comp_targetILNS1_3genE2ELNS1_11target_archE906ELNS1_3gpuE6ELNS1_3repE0EEENS1_30default_config_static_selectorELNS0_4arch9wavefront6targetE0EEEvT1_,comdat
.Lfunc_end218:
	.size	_ZN7rocprim17ROCPRIM_400000_NS6detail17trampoline_kernelINS0_14default_configENS1_25transform_config_selectorItLb0EEEZNS1_14transform_implILb0ES3_S5_NS0_18transform_iteratorINS0_17counting_iteratorImlEEZNS1_24adjacent_difference_implIS3_Lb1ELb0EPtSB_N6thrust23THRUST_200600_302600_NS5minusItEEEE10hipError_tPvRmT2_T3_mT4_P12ihipStream_tbEUlmE_tEESB_NS0_8identityIvEEEESG_SJ_SK_mSL_SN_bEUlT_E_NS1_11comp_targetILNS1_3genE2ELNS1_11target_archE906ELNS1_3gpuE6ELNS1_3repE0EEENS1_30default_config_static_selectorELNS0_4arch9wavefront6targetE0EEEvT1_, .Lfunc_end218-_ZN7rocprim17ROCPRIM_400000_NS6detail17trampoline_kernelINS0_14default_configENS1_25transform_config_selectorItLb0EEEZNS1_14transform_implILb0ES3_S5_NS0_18transform_iteratorINS0_17counting_iteratorImlEEZNS1_24adjacent_difference_implIS3_Lb1ELb0EPtSB_N6thrust23THRUST_200600_302600_NS5minusItEEEE10hipError_tPvRmT2_T3_mT4_P12ihipStream_tbEUlmE_tEESB_NS0_8identityIvEEEESG_SJ_SK_mSL_SN_bEUlT_E_NS1_11comp_targetILNS1_3genE2ELNS1_11target_archE906ELNS1_3gpuE6ELNS1_3repE0EEENS1_30default_config_static_selectorELNS0_4arch9wavefront6targetE0EEEvT1_
                                        ; -- End function
	.section	.AMDGPU.csdata,"",@progbits
; Kernel info:
; codeLenInByte = 0
; NumSgprs: 0
; NumVgprs: 0
; ScratchSize: 0
; MemoryBound: 0
; FloatMode: 240
; IeeeMode: 1
; LDSByteSize: 0 bytes/workgroup (compile time only)
; SGPRBlocks: 0
; VGPRBlocks: 0
; NumSGPRsForWavesPerEU: 1
; NumVGPRsForWavesPerEU: 1
; Occupancy: 16
; WaveLimiterHint : 0
; COMPUTE_PGM_RSRC2:SCRATCH_EN: 0
; COMPUTE_PGM_RSRC2:USER_SGPR: 15
; COMPUTE_PGM_RSRC2:TRAP_HANDLER: 0
; COMPUTE_PGM_RSRC2:TGID_X_EN: 1
; COMPUTE_PGM_RSRC2:TGID_Y_EN: 0
; COMPUTE_PGM_RSRC2:TGID_Z_EN: 0
; COMPUTE_PGM_RSRC2:TIDIG_COMP_CNT: 0
	.section	.text._ZN7rocprim17ROCPRIM_400000_NS6detail17trampoline_kernelINS0_14default_configENS1_25transform_config_selectorItLb0EEEZNS1_14transform_implILb0ES3_S5_NS0_18transform_iteratorINS0_17counting_iteratorImlEEZNS1_24adjacent_difference_implIS3_Lb1ELb0EPtSB_N6thrust23THRUST_200600_302600_NS5minusItEEEE10hipError_tPvRmT2_T3_mT4_P12ihipStream_tbEUlmE_tEESB_NS0_8identityIvEEEESG_SJ_SK_mSL_SN_bEUlT_E_NS1_11comp_targetILNS1_3genE10ELNS1_11target_archE1201ELNS1_3gpuE5ELNS1_3repE0EEENS1_30default_config_static_selectorELNS0_4arch9wavefront6targetE0EEEvT1_,"axG",@progbits,_ZN7rocprim17ROCPRIM_400000_NS6detail17trampoline_kernelINS0_14default_configENS1_25transform_config_selectorItLb0EEEZNS1_14transform_implILb0ES3_S5_NS0_18transform_iteratorINS0_17counting_iteratorImlEEZNS1_24adjacent_difference_implIS3_Lb1ELb0EPtSB_N6thrust23THRUST_200600_302600_NS5minusItEEEE10hipError_tPvRmT2_T3_mT4_P12ihipStream_tbEUlmE_tEESB_NS0_8identityIvEEEESG_SJ_SK_mSL_SN_bEUlT_E_NS1_11comp_targetILNS1_3genE10ELNS1_11target_archE1201ELNS1_3gpuE5ELNS1_3repE0EEENS1_30default_config_static_selectorELNS0_4arch9wavefront6targetE0EEEvT1_,comdat
	.protected	_ZN7rocprim17ROCPRIM_400000_NS6detail17trampoline_kernelINS0_14default_configENS1_25transform_config_selectorItLb0EEEZNS1_14transform_implILb0ES3_S5_NS0_18transform_iteratorINS0_17counting_iteratorImlEEZNS1_24adjacent_difference_implIS3_Lb1ELb0EPtSB_N6thrust23THRUST_200600_302600_NS5minusItEEEE10hipError_tPvRmT2_T3_mT4_P12ihipStream_tbEUlmE_tEESB_NS0_8identityIvEEEESG_SJ_SK_mSL_SN_bEUlT_E_NS1_11comp_targetILNS1_3genE10ELNS1_11target_archE1201ELNS1_3gpuE5ELNS1_3repE0EEENS1_30default_config_static_selectorELNS0_4arch9wavefront6targetE0EEEvT1_ ; -- Begin function _ZN7rocprim17ROCPRIM_400000_NS6detail17trampoline_kernelINS0_14default_configENS1_25transform_config_selectorItLb0EEEZNS1_14transform_implILb0ES3_S5_NS0_18transform_iteratorINS0_17counting_iteratorImlEEZNS1_24adjacent_difference_implIS3_Lb1ELb0EPtSB_N6thrust23THRUST_200600_302600_NS5minusItEEEE10hipError_tPvRmT2_T3_mT4_P12ihipStream_tbEUlmE_tEESB_NS0_8identityIvEEEESG_SJ_SK_mSL_SN_bEUlT_E_NS1_11comp_targetILNS1_3genE10ELNS1_11target_archE1201ELNS1_3gpuE5ELNS1_3repE0EEENS1_30default_config_static_selectorELNS0_4arch9wavefront6targetE0EEEvT1_
	.globl	_ZN7rocprim17ROCPRIM_400000_NS6detail17trampoline_kernelINS0_14default_configENS1_25transform_config_selectorItLb0EEEZNS1_14transform_implILb0ES3_S5_NS0_18transform_iteratorINS0_17counting_iteratorImlEEZNS1_24adjacent_difference_implIS3_Lb1ELb0EPtSB_N6thrust23THRUST_200600_302600_NS5minusItEEEE10hipError_tPvRmT2_T3_mT4_P12ihipStream_tbEUlmE_tEESB_NS0_8identityIvEEEESG_SJ_SK_mSL_SN_bEUlT_E_NS1_11comp_targetILNS1_3genE10ELNS1_11target_archE1201ELNS1_3gpuE5ELNS1_3repE0EEENS1_30default_config_static_selectorELNS0_4arch9wavefront6targetE0EEEvT1_
	.p2align	8
	.type	_ZN7rocprim17ROCPRIM_400000_NS6detail17trampoline_kernelINS0_14default_configENS1_25transform_config_selectorItLb0EEEZNS1_14transform_implILb0ES3_S5_NS0_18transform_iteratorINS0_17counting_iteratorImlEEZNS1_24adjacent_difference_implIS3_Lb1ELb0EPtSB_N6thrust23THRUST_200600_302600_NS5minusItEEEE10hipError_tPvRmT2_T3_mT4_P12ihipStream_tbEUlmE_tEESB_NS0_8identityIvEEEESG_SJ_SK_mSL_SN_bEUlT_E_NS1_11comp_targetILNS1_3genE10ELNS1_11target_archE1201ELNS1_3gpuE5ELNS1_3repE0EEENS1_30default_config_static_selectorELNS0_4arch9wavefront6targetE0EEEvT1_,@function
_ZN7rocprim17ROCPRIM_400000_NS6detail17trampoline_kernelINS0_14default_configENS1_25transform_config_selectorItLb0EEEZNS1_14transform_implILb0ES3_S5_NS0_18transform_iteratorINS0_17counting_iteratorImlEEZNS1_24adjacent_difference_implIS3_Lb1ELb0EPtSB_N6thrust23THRUST_200600_302600_NS5minusItEEEE10hipError_tPvRmT2_T3_mT4_P12ihipStream_tbEUlmE_tEESB_NS0_8identityIvEEEESG_SJ_SK_mSL_SN_bEUlT_E_NS1_11comp_targetILNS1_3genE10ELNS1_11target_archE1201ELNS1_3gpuE5ELNS1_3repE0EEENS1_30default_config_static_selectorELNS0_4arch9wavefront6targetE0EEEvT1_: ; @_ZN7rocprim17ROCPRIM_400000_NS6detail17trampoline_kernelINS0_14default_configENS1_25transform_config_selectorItLb0EEEZNS1_14transform_implILb0ES3_S5_NS0_18transform_iteratorINS0_17counting_iteratorImlEEZNS1_24adjacent_difference_implIS3_Lb1ELb0EPtSB_N6thrust23THRUST_200600_302600_NS5minusItEEEE10hipError_tPvRmT2_T3_mT4_P12ihipStream_tbEUlmE_tEESB_NS0_8identityIvEEEESG_SJ_SK_mSL_SN_bEUlT_E_NS1_11comp_targetILNS1_3genE10ELNS1_11target_archE1201ELNS1_3gpuE5ELNS1_3repE0EEENS1_30default_config_static_selectorELNS0_4arch9wavefront6targetE0EEEvT1_
; %bb.0:
	.section	.rodata,"a",@progbits
	.p2align	6, 0x0
	.amdhsa_kernel _ZN7rocprim17ROCPRIM_400000_NS6detail17trampoline_kernelINS0_14default_configENS1_25transform_config_selectorItLb0EEEZNS1_14transform_implILb0ES3_S5_NS0_18transform_iteratorINS0_17counting_iteratorImlEEZNS1_24adjacent_difference_implIS3_Lb1ELb0EPtSB_N6thrust23THRUST_200600_302600_NS5minusItEEEE10hipError_tPvRmT2_T3_mT4_P12ihipStream_tbEUlmE_tEESB_NS0_8identityIvEEEESG_SJ_SK_mSL_SN_bEUlT_E_NS1_11comp_targetILNS1_3genE10ELNS1_11target_archE1201ELNS1_3gpuE5ELNS1_3repE0EEENS1_30default_config_static_selectorELNS0_4arch9wavefront6targetE0EEEvT1_
		.amdhsa_group_segment_fixed_size 0
		.amdhsa_private_segment_fixed_size 0
		.amdhsa_kernarg_size 56
		.amdhsa_user_sgpr_count 15
		.amdhsa_user_sgpr_dispatch_ptr 0
		.amdhsa_user_sgpr_queue_ptr 0
		.amdhsa_user_sgpr_kernarg_segment_ptr 1
		.amdhsa_user_sgpr_dispatch_id 0
		.amdhsa_user_sgpr_private_segment_size 0
		.amdhsa_wavefront_size32 1
		.amdhsa_uses_dynamic_stack 0
		.amdhsa_enable_private_segment 0
		.amdhsa_system_sgpr_workgroup_id_x 1
		.amdhsa_system_sgpr_workgroup_id_y 0
		.amdhsa_system_sgpr_workgroup_id_z 0
		.amdhsa_system_sgpr_workgroup_info 0
		.amdhsa_system_vgpr_workitem_id 0
		.amdhsa_next_free_vgpr 1
		.amdhsa_next_free_sgpr 1
		.amdhsa_reserve_vcc 0
		.amdhsa_float_round_mode_32 0
		.amdhsa_float_round_mode_16_64 0
		.amdhsa_float_denorm_mode_32 3
		.amdhsa_float_denorm_mode_16_64 3
		.amdhsa_dx10_clamp 1
		.amdhsa_ieee_mode 1
		.amdhsa_fp16_overflow 0
		.amdhsa_workgroup_processor_mode 1
		.amdhsa_memory_ordered 1
		.amdhsa_forward_progress 0
		.amdhsa_shared_vgpr_count 0
		.amdhsa_exception_fp_ieee_invalid_op 0
		.amdhsa_exception_fp_denorm_src 0
		.amdhsa_exception_fp_ieee_div_zero 0
		.amdhsa_exception_fp_ieee_overflow 0
		.amdhsa_exception_fp_ieee_underflow 0
		.amdhsa_exception_fp_ieee_inexact 0
		.amdhsa_exception_int_div_zero 0
	.end_amdhsa_kernel
	.section	.text._ZN7rocprim17ROCPRIM_400000_NS6detail17trampoline_kernelINS0_14default_configENS1_25transform_config_selectorItLb0EEEZNS1_14transform_implILb0ES3_S5_NS0_18transform_iteratorINS0_17counting_iteratorImlEEZNS1_24adjacent_difference_implIS3_Lb1ELb0EPtSB_N6thrust23THRUST_200600_302600_NS5minusItEEEE10hipError_tPvRmT2_T3_mT4_P12ihipStream_tbEUlmE_tEESB_NS0_8identityIvEEEESG_SJ_SK_mSL_SN_bEUlT_E_NS1_11comp_targetILNS1_3genE10ELNS1_11target_archE1201ELNS1_3gpuE5ELNS1_3repE0EEENS1_30default_config_static_selectorELNS0_4arch9wavefront6targetE0EEEvT1_,"axG",@progbits,_ZN7rocprim17ROCPRIM_400000_NS6detail17trampoline_kernelINS0_14default_configENS1_25transform_config_selectorItLb0EEEZNS1_14transform_implILb0ES3_S5_NS0_18transform_iteratorINS0_17counting_iteratorImlEEZNS1_24adjacent_difference_implIS3_Lb1ELb0EPtSB_N6thrust23THRUST_200600_302600_NS5minusItEEEE10hipError_tPvRmT2_T3_mT4_P12ihipStream_tbEUlmE_tEESB_NS0_8identityIvEEEESG_SJ_SK_mSL_SN_bEUlT_E_NS1_11comp_targetILNS1_3genE10ELNS1_11target_archE1201ELNS1_3gpuE5ELNS1_3repE0EEENS1_30default_config_static_selectorELNS0_4arch9wavefront6targetE0EEEvT1_,comdat
.Lfunc_end219:
	.size	_ZN7rocprim17ROCPRIM_400000_NS6detail17trampoline_kernelINS0_14default_configENS1_25transform_config_selectorItLb0EEEZNS1_14transform_implILb0ES3_S5_NS0_18transform_iteratorINS0_17counting_iteratorImlEEZNS1_24adjacent_difference_implIS3_Lb1ELb0EPtSB_N6thrust23THRUST_200600_302600_NS5minusItEEEE10hipError_tPvRmT2_T3_mT4_P12ihipStream_tbEUlmE_tEESB_NS0_8identityIvEEEESG_SJ_SK_mSL_SN_bEUlT_E_NS1_11comp_targetILNS1_3genE10ELNS1_11target_archE1201ELNS1_3gpuE5ELNS1_3repE0EEENS1_30default_config_static_selectorELNS0_4arch9wavefront6targetE0EEEvT1_, .Lfunc_end219-_ZN7rocprim17ROCPRIM_400000_NS6detail17trampoline_kernelINS0_14default_configENS1_25transform_config_selectorItLb0EEEZNS1_14transform_implILb0ES3_S5_NS0_18transform_iteratorINS0_17counting_iteratorImlEEZNS1_24adjacent_difference_implIS3_Lb1ELb0EPtSB_N6thrust23THRUST_200600_302600_NS5minusItEEEE10hipError_tPvRmT2_T3_mT4_P12ihipStream_tbEUlmE_tEESB_NS0_8identityIvEEEESG_SJ_SK_mSL_SN_bEUlT_E_NS1_11comp_targetILNS1_3genE10ELNS1_11target_archE1201ELNS1_3gpuE5ELNS1_3repE0EEENS1_30default_config_static_selectorELNS0_4arch9wavefront6targetE0EEEvT1_
                                        ; -- End function
	.section	.AMDGPU.csdata,"",@progbits
; Kernel info:
; codeLenInByte = 0
; NumSgprs: 0
; NumVgprs: 0
; ScratchSize: 0
; MemoryBound: 0
; FloatMode: 240
; IeeeMode: 1
; LDSByteSize: 0 bytes/workgroup (compile time only)
; SGPRBlocks: 0
; VGPRBlocks: 0
; NumSGPRsForWavesPerEU: 1
; NumVGPRsForWavesPerEU: 1
; Occupancy: 16
; WaveLimiterHint : 0
; COMPUTE_PGM_RSRC2:SCRATCH_EN: 0
; COMPUTE_PGM_RSRC2:USER_SGPR: 15
; COMPUTE_PGM_RSRC2:TRAP_HANDLER: 0
; COMPUTE_PGM_RSRC2:TGID_X_EN: 1
; COMPUTE_PGM_RSRC2:TGID_Y_EN: 0
; COMPUTE_PGM_RSRC2:TGID_Z_EN: 0
; COMPUTE_PGM_RSRC2:TIDIG_COMP_CNT: 0
	.section	.text._ZN7rocprim17ROCPRIM_400000_NS6detail17trampoline_kernelINS0_14default_configENS1_25transform_config_selectorItLb0EEEZNS1_14transform_implILb0ES3_S5_NS0_18transform_iteratorINS0_17counting_iteratorImlEEZNS1_24adjacent_difference_implIS3_Lb1ELb0EPtSB_N6thrust23THRUST_200600_302600_NS5minusItEEEE10hipError_tPvRmT2_T3_mT4_P12ihipStream_tbEUlmE_tEESB_NS0_8identityIvEEEESG_SJ_SK_mSL_SN_bEUlT_E_NS1_11comp_targetILNS1_3genE10ELNS1_11target_archE1200ELNS1_3gpuE4ELNS1_3repE0EEENS1_30default_config_static_selectorELNS0_4arch9wavefront6targetE0EEEvT1_,"axG",@progbits,_ZN7rocprim17ROCPRIM_400000_NS6detail17trampoline_kernelINS0_14default_configENS1_25transform_config_selectorItLb0EEEZNS1_14transform_implILb0ES3_S5_NS0_18transform_iteratorINS0_17counting_iteratorImlEEZNS1_24adjacent_difference_implIS3_Lb1ELb0EPtSB_N6thrust23THRUST_200600_302600_NS5minusItEEEE10hipError_tPvRmT2_T3_mT4_P12ihipStream_tbEUlmE_tEESB_NS0_8identityIvEEEESG_SJ_SK_mSL_SN_bEUlT_E_NS1_11comp_targetILNS1_3genE10ELNS1_11target_archE1200ELNS1_3gpuE4ELNS1_3repE0EEENS1_30default_config_static_selectorELNS0_4arch9wavefront6targetE0EEEvT1_,comdat
	.protected	_ZN7rocprim17ROCPRIM_400000_NS6detail17trampoline_kernelINS0_14default_configENS1_25transform_config_selectorItLb0EEEZNS1_14transform_implILb0ES3_S5_NS0_18transform_iteratorINS0_17counting_iteratorImlEEZNS1_24adjacent_difference_implIS3_Lb1ELb0EPtSB_N6thrust23THRUST_200600_302600_NS5minusItEEEE10hipError_tPvRmT2_T3_mT4_P12ihipStream_tbEUlmE_tEESB_NS0_8identityIvEEEESG_SJ_SK_mSL_SN_bEUlT_E_NS1_11comp_targetILNS1_3genE10ELNS1_11target_archE1200ELNS1_3gpuE4ELNS1_3repE0EEENS1_30default_config_static_selectorELNS0_4arch9wavefront6targetE0EEEvT1_ ; -- Begin function _ZN7rocprim17ROCPRIM_400000_NS6detail17trampoline_kernelINS0_14default_configENS1_25transform_config_selectorItLb0EEEZNS1_14transform_implILb0ES3_S5_NS0_18transform_iteratorINS0_17counting_iteratorImlEEZNS1_24adjacent_difference_implIS3_Lb1ELb0EPtSB_N6thrust23THRUST_200600_302600_NS5minusItEEEE10hipError_tPvRmT2_T3_mT4_P12ihipStream_tbEUlmE_tEESB_NS0_8identityIvEEEESG_SJ_SK_mSL_SN_bEUlT_E_NS1_11comp_targetILNS1_3genE10ELNS1_11target_archE1200ELNS1_3gpuE4ELNS1_3repE0EEENS1_30default_config_static_selectorELNS0_4arch9wavefront6targetE0EEEvT1_
	.globl	_ZN7rocprim17ROCPRIM_400000_NS6detail17trampoline_kernelINS0_14default_configENS1_25transform_config_selectorItLb0EEEZNS1_14transform_implILb0ES3_S5_NS0_18transform_iteratorINS0_17counting_iteratorImlEEZNS1_24adjacent_difference_implIS3_Lb1ELb0EPtSB_N6thrust23THRUST_200600_302600_NS5minusItEEEE10hipError_tPvRmT2_T3_mT4_P12ihipStream_tbEUlmE_tEESB_NS0_8identityIvEEEESG_SJ_SK_mSL_SN_bEUlT_E_NS1_11comp_targetILNS1_3genE10ELNS1_11target_archE1200ELNS1_3gpuE4ELNS1_3repE0EEENS1_30default_config_static_selectorELNS0_4arch9wavefront6targetE0EEEvT1_
	.p2align	8
	.type	_ZN7rocprim17ROCPRIM_400000_NS6detail17trampoline_kernelINS0_14default_configENS1_25transform_config_selectorItLb0EEEZNS1_14transform_implILb0ES3_S5_NS0_18transform_iteratorINS0_17counting_iteratorImlEEZNS1_24adjacent_difference_implIS3_Lb1ELb0EPtSB_N6thrust23THRUST_200600_302600_NS5minusItEEEE10hipError_tPvRmT2_T3_mT4_P12ihipStream_tbEUlmE_tEESB_NS0_8identityIvEEEESG_SJ_SK_mSL_SN_bEUlT_E_NS1_11comp_targetILNS1_3genE10ELNS1_11target_archE1200ELNS1_3gpuE4ELNS1_3repE0EEENS1_30default_config_static_selectorELNS0_4arch9wavefront6targetE0EEEvT1_,@function
_ZN7rocprim17ROCPRIM_400000_NS6detail17trampoline_kernelINS0_14default_configENS1_25transform_config_selectorItLb0EEEZNS1_14transform_implILb0ES3_S5_NS0_18transform_iteratorINS0_17counting_iteratorImlEEZNS1_24adjacent_difference_implIS3_Lb1ELb0EPtSB_N6thrust23THRUST_200600_302600_NS5minusItEEEE10hipError_tPvRmT2_T3_mT4_P12ihipStream_tbEUlmE_tEESB_NS0_8identityIvEEEESG_SJ_SK_mSL_SN_bEUlT_E_NS1_11comp_targetILNS1_3genE10ELNS1_11target_archE1200ELNS1_3gpuE4ELNS1_3repE0EEENS1_30default_config_static_selectorELNS0_4arch9wavefront6targetE0EEEvT1_: ; @_ZN7rocprim17ROCPRIM_400000_NS6detail17trampoline_kernelINS0_14default_configENS1_25transform_config_selectorItLb0EEEZNS1_14transform_implILb0ES3_S5_NS0_18transform_iteratorINS0_17counting_iteratorImlEEZNS1_24adjacent_difference_implIS3_Lb1ELb0EPtSB_N6thrust23THRUST_200600_302600_NS5minusItEEEE10hipError_tPvRmT2_T3_mT4_P12ihipStream_tbEUlmE_tEESB_NS0_8identityIvEEEESG_SJ_SK_mSL_SN_bEUlT_E_NS1_11comp_targetILNS1_3genE10ELNS1_11target_archE1200ELNS1_3gpuE4ELNS1_3repE0EEENS1_30default_config_static_selectorELNS0_4arch9wavefront6targetE0EEEvT1_
; %bb.0:
	.section	.rodata,"a",@progbits
	.p2align	6, 0x0
	.amdhsa_kernel _ZN7rocprim17ROCPRIM_400000_NS6detail17trampoline_kernelINS0_14default_configENS1_25transform_config_selectorItLb0EEEZNS1_14transform_implILb0ES3_S5_NS0_18transform_iteratorINS0_17counting_iteratorImlEEZNS1_24adjacent_difference_implIS3_Lb1ELb0EPtSB_N6thrust23THRUST_200600_302600_NS5minusItEEEE10hipError_tPvRmT2_T3_mT4_P12ihipStream_tbEUlmE_tEESB_NS0_8identityIvEEEESG_SJ_SK_mSL_SN_bEUlT_E_NS1_11comp_targetILNS1_3genE10ELNS1_11target_archE1200ELNS1_3gpuE4ELNS1_3repE0EEENS1_30default_config_static_selectorELNS0_4arch9wavefront6targetE0EEEvT1_
		.amdhsa_group_segment_fixed_size 0
		.amdhsa_private_segment_fixed_size 0
		.amdhsa_kernarg_size 56
		.amdhsa_user_sgpr_count 15
		.amdhsa_user_sgpr_dispatch_ptr 0
		.amdhsa_user_sgpr_queue_ptr 0
		.amdhsa_user_sgpr_kernarg_segment_ptr 1
		.amdhsa_user_sgpr_dispatch_id 0
		.amdhsa_user_sgpr_private_segment_size 0
		.amdhsa_wavefront_size32 1
		.amdhsa_uses_dynamic_stack 0
		.amdhsa_enable_private_segment 0
		.amdhsa_system_sgpr_workgroup_id_x 1
		.amdhsa_system_sgpr_workgroup_id_y 0
		.amdhsa_system_sgpr_workgroup_id_z 0
		.amdhsa_system_sgpr_workgroup_info 0
		.amdhsa_system_vgpr_workitem_id 0
		.amdhsa_next_free_vgpr 1
		.amdhsa_next_free_sgpr 1
		.amdhsa_reserve_vcc 0
		.amdhsa_float_round_mode_32 0
		.amdhsa_float_round_mode_16_64 0
		.amdhsa_float_denorm_mode_32 3
		.amdhsa_float_denorm_mode_16_64 3
		.amdhsa_dx10_clamp 1
		.amdhsa_ieee_mode 1
		.amdhsa_fp16_overflow 0
		.amdhsa_workgroup_processor_mode 1
		.amdhsa_memory_ordered 1
		.amdhsa_forward_progress 0
		.amdhsa_shared_vgpr_count 0
		.amdhsa_exception_fp_ieee_invalid_op 0
		.amdhsa_exception_fp_denorm_src 0
		.amdhsa_exception_fp_ieee_div_zero 0
		.amdhsa_exception_fp_ieee_overflow 0
		.amdhsa_exception_fp_ieee_underflow 0
		.amdhsa_exception_fp_ieee_inexact 0
		.amdhsa_exception_int_div_zero 0
	.end_amdhsa_kernel
	.section	.text._ZN7rocprim17ROCPRIM_400000_NS6detail17trampoline_kernelINS0_14default_configENS1_25transform_config_selectorItLb0EEEZNS1_14transform_implILb0ES3_S5_NS0_18transform_iteratorINS0_17counting_iteratorImlEEZNS1_24adjacent_difference_implIS3_Lb1ELb0EPtSB_N6thrust23THRUST_200600_302600_NS5minusItEEEE10hipError_tPvRmT2_T3_mT4_P12ihipStream_tbEUlmE_tEESB_NS0_8identityIvEEEESG_SJ_SK_mSL_SN_bEUlT_E_NS1_11comp_targetILNS1_3genE10ELNS1_11target_archE1200ELNS1_3gpuE4ELNS1_3repE0EEENS1_30default_config_static_selectorELNS0_4arch9wavefront6targetE0EEEvT1_,"axG",@progbits,_ZN7rocprim17ROCPRIM_400000_NS6detail17trampoline_kernelINS0_14default_configENS1_25transform_config_selectorItLb0EEEZNS1_14transform_implILb0ES3_S5_NS0_18transform_iteratorINS0_17counting_iteratorImlEEZNS1_24adjacent_difference_implIS3_Lb1ELb0EPtSB_N6thrust23THRUST_200600_302600_NS5minusItEEEE10hipError_tPvRmT2_T3_mT4_P12ihipStream_tbEUlmE_tEESB_NS0_8identityIvEEEESG_SJ_SK_mSL_SN_bEUlT_E_NS1_11comp_targetILNS1_3genE10ELNS1_11target_archE1200ELNS1_3gpuE4ELNS1_3repE0EEENS1_30default_config_static_selectorELNS0_4arch9wavefront6targetE0EEEvT1_,comdat
.Lfunc_end220:
	.size	_ZN7rocprim17ROCPRIM_400000_NS6detail17trampoline_kernelINS0_14default_configENS1_25transform_config_selectorItLb0EEEZNS1_14transform_implILb0ES3_S5_NS0_18transform_iteratorINS0_17counting_iteratorImlEEZNS1_24adjacent_difference_implIS3_Lb1ELb0EPtSB_N6thrust23THRUST_200600_302600_NS5minusItEEEE10hipError_tPvRmT2_T3_mT4_P12ihipStream_tbEUlmE_tEESB_NS0_8identityIvEEEESG_SJ_SK_mSL_SN_bEUlT_E_NS1_11comp_targetILNS1_3genE10ELNS1_11target_archE1200ELNS1_3gpuE4ELNS1_3repE0EEENS1_30default_config_static_selectorELNS0_4arch9wavefront6targetE0EEEvT1_, .Lfunc_end220-_ZN7rocprim17ROCPRIM_400000_NS6detail17trampoline_kernelINS0_14default_configENS1_25transform_config_selectorItLb0EEEZNS1_14transform_implILb0ES3_S5_NS0_18transform_iteratorINS0_17counting_iteratorImlEEZNS1_24adjacent_difference_implIS3_Lb1ELb0EPtSB_N6thrust23THRUST_200600_302600_NS5minusItEEEE10hipError_tPvRmT2_T3_mT4_P12ihipStream_tbEUlmE_tEESB_NS0_8identityIvEEEESG_SJ_SK_mSL_SN_bEUlT_E_NS1_11comp_targetILNS1_3genE10ELNS1_11target_archE1200ELNS1_3gpuE4ELNS1_3repE0EEENS1_30default_config_static_selectorELNS0_4arch9wavefront6targetE0EEEvT1_
                                        ; -- End function
	.section	.AMDGPU.csdata,"",@progbits
; Kernel info:
; codeLenInByte = 0
; NumSgprs: 0
; NumVgprs: 0
; ScratchSize: 0
; MemoryBound: 0
; FloatMode: 240
; IeeeMode: 1
; LDSByteSize: 0 bytes/workgroup (compile time only)
; SGPRBlocks: 0
; VGPRBlocks: 0
; NumSGPRsForWavesPerEU: 1
; NumVGPRsForWavesPerEU: 1
; Occupancy: 16
; WaveLimiterHint : 0
; COMPUTE_PGM_RSRC2:SCRATCH_EN: 0
; COMPUTE_PGM_RSRC2:USER_SGPR: 15
; COMPUTE_PGM_RSRC2:TRAP_HANDLER: 0
; COMPUTE_PGM_RSRC2:TGID_X_EN: 1
; COMPUTE_PGM_RSRC2:TGID_Y_EN: 0
; COMPUTE_PGM_RSRC2:TGID_Z_EN: 0
; COMPUTE_PGM_RSRC2:TIDIG_COMP_CNT: 0
	.section	.text._ZN7rocprim17ROCPRIM_400000_NS6detail17trampoline_kernelINS0_14default_configENS1_25transform_config_selectorItLb0EEEZNS1_14transform_implILb0ES3_S5_NS0_18transform_iteratorINS0_17counting_iteratorImlEEZNS1_24adjacent_difference_implIS3_Lb1ELb0EPtSB_N6thrust23THRUST_200600_302600_NS5minusItEEEE10hipError_tPvRmT2_T3_mT4_P12ihipStream_tbEUlmE_tEESB_NS0_8identityIvEEEESG_SJ_SK_mSL_SN_bEUlT_E_NS1_11comp_targetILNS1_3genE9ELNS1_11target_archE1100ELNS1_3gpuE3ELNS1_3repE0EEENS1_30default_config_static_selectorELNS0_4arch9wavefront6targetE0EEEvT1_,"axG",@progbits,_ZN7rocprim17ROCPRIM_400000_NS6detail17trampoline_kernelINS0_14default_configENS1_25transform_config_selectorItLb0EEEZNS1_14transform_implILb0ES3_S5_NS0_18transform_iteratorINS0_17counting_iteratorImlEEZNS1_24adjacent_difference_implIS3_Lb1ELb0EPtSB_N6thrust23THRUST_200600_302600_NS5minusItEEEE10hipError_tPvRmT2_T3_mT4_P12ihipStream_tbEUlmE_tEESB_NS0_8identityIvEEEESG_SJ_SK_mSL_SN_bEUlT_E_NS1_11comp_targetILNS1_3genE9ELNS1_11target_archE1100ELNS1_3gpuE3ELNS1_3repE0EEENS1_30default_config_static_selectorELNS0_4arch9wavefront6targetE0EEEvT1_,comdat
	.protected	_ZN7rocprim17ROCPRIM_400000_NS6detail17trampoline_kernelINS0_14default_configENS1_25transform_config_selectorItLb0EEEZNS1_14transform_implILb0ES3_S5_NS0_18transform_iteratorINS0_17counting_iteratorImlEEZNS1_24adjacent_difference_implIS3_Lb1ELb0EPtSB_N6thrust23THRUST_200600_302600_NS5minusItEEEE10hipError_tPvRmT2_T3_mT4_P12ihipStream_tbEUlmE_tEESB_NS0_8identityIvEEEESG_SJ_SK_mSL_SN_bEUlT_E_NS1_11comp_targetILNS1_3genE9ELNS1_11target_archE1100ELNS1_3gpuE3ELNS1_3repE0EEENS1_30default_config_static_selectorELNS0_4arch9wavefront6targetE0EEEvT1_ ; -- Begin function _ZN7rocprim17ROCPRIM_400000_NS6detail17trampoline_kernelINS0_14default_configENS1_25transform_config_selectorItLb0EEEZNS1_14transform_implILb0ES3_S5_NS0_18transform_iteratorINS0_17counting_iteratorImlEEZNS1_24adjacent_difference_implIS3_Lb1ELb0EPtSB_N6thrust23THRUST_200600_302600_NS5minusItEEEE10hipError_tPvRmT2_T3_mT4_P12ihipStream_tbEUlmE_tEESB_NS0_8identityIvEEEESG_SJ_SK_mSL_SN_bEUlT_E_NS1_11comp_targetILNS1_3genE9ELNS1_11target_archE1100ELNS1_3gpuE3ELNS1_3repE0EEENS1_30default_config_static_selectorELNS0_4arch9wavefront6targetE0EEEvT1_
	.globl	_ZN7rocprim17ROCPRIM_400000_NS6detail17trampoline_kernelINS0_14default_configENS1_25transform_config_selectorItLb0EEEZNS1_14transform_implILb0ES3_S5_NS0_18transform_iteratorINS0_17counting_iteratorImlEEZNS1_24adjacent_difference_implIS3_Lb1ELb0EPtSB_N6thrust23THRUST_200600_302600_NS5minusItEEEE10hipError_tPvRmT2_T3_mT4_P12ihipStream_tbEUlmE_tEESB_NS0_8identityIvEEEESG_SJ_SK_mSL_SN_bEUlT_E_NS1_11comp_targetILNS1_3genE9ELNS1_11target_archE1100ELNS1_3gpuE3ELNS1_3repE0EEENS1_30default_config_static_selectorELNS0_4arch9wavefront6targetE0EEEvT1_
	.p2align	8
	.type	_ZN7rocprim17ROCPRIM_400000_NS6detail17trampoline_kernelINS0_14default_configENS1_25transform_config_selectorItLb0EEEZNS1_14transform_implILb0ES3_S5_NS0_18transform_iteratorINS0_17counting_iteratorImlEEZNS1_24adjacent_difference_implIS3_Lb1ELb0EPtSB_N6thrust23THRUST_200600_302600_NS5minusItEEEE10hipError_tPvRmT2_T3_mT4_P12ihipStream_tbEUlmE_tEESB_NS0_8identityIvEEEESG_SJ_SK_mSL_SN_bEUlT_E_NS1_11comp_targetILNS1_3genE9ELNS1_11target_archE1100ELNS1_3gpuE3ELNS1_3repE0EEENS1_30default_config_static_selectorELNS0_4arch9wavefront6targetE0EEEvT1_,@function
_ZN7rocprim17ROCPRIM_400000_NS6detail17trampoline_kernelINS0_14default_configENS1_25transform_config_selectorItLb0EEEZNS1_14transform_implILb0ES3_S5_NS0_18transform_iteratorINS0_17counting_iteratorImlEEZNS1_24adjacent_difference_implIS3_Lb1ELb0EPtSB_N6thrust23THRUST_200600_302600_NS5minusItEEEE10hipError_tPvRmT2_T3_mT4_P12ihipStream_tbEUlmE_tEESB_NS0_8identityIvEEEESG_SJ_SK_mSL_SN_bEUlT_E_NS1_11comp_targetILNS1_3genE9ELNS1_11target_archE1100ELNS1_3gpuE3ELNS1_3repE0EEENS1_30default_config_static_selectorELNS0_4arch9wavefront6targetE0EEEvT1_: ; @_ZN7rocprim17ROCPRIM_400000_NS6detail17trampoline_kernelINS0_14default_configENS1_25transform_config_selectorItLb0EEEZNS1_14transform_implILb0ES3_S5_NS0_18transform_iteratorINS0_17counting_iteratorImlEEZNS1_24adjacent_difference_implIS3_Lb1ELb0EPtSB_N6thrust23THRUST_200600_302600_NS5minusItEEEE10hipError_tPvRmT2_T3_mT4_P12ihipStream_tbEUlmE_tEESB_NS0_8identityIvEEEESG_SJ_SK_mSL_SN_bEUlT_E_NS1_11comp_targetILNS1_3genE9ELNS1_11target_archE1100ELNS1_3gpuE3ELNS1_3repE0EEENS1_30default_config_static_selectorELNS0_4arch9wavefront6targetE0EEEvT1_
; %bb.0:
	s_clause 0x4
	s_load_b128 s[8:11], s[0:1], 0x18
	s_load_b64 s[16:17], s[0:1], 0x28
	s_load_b32 s13, s[0:1], 0x38
	s_load_b128 s[4:7], s[0:1], 0x0
	s_load_b32 s12, s[0:1], 0x10
	v_lshlrev_b32_e32 v3, 1, v0
	s_mov_b32 s3, 0
	s_waitcnt lgkmcnt(0)
	s_lshl_b64 s[0:1], s[8:9], 1
	s_delay_alu instid0(SALU_CYCLE_1)
	s_add_u32 s11, s16, s0
	s_addc_u32 s14, s17, s1
	s_lshl_b32 s2, s15, 11
	s_add_i32 s13, s13, -1
	s_add_u32 s0, s4, s2
	s_addc_u32 s4, s5, 0
	s_add_u32 s1, s0, s8
	s_addc_u32 s5, s4, s9
	s_cmp_lg_u32 s15, s13
	s_mov_b32 s13, -1
	s_cbranch_scc0 .LBB221_2
; %bb.1:
	v_add_co_u32 v4, s0, s1, v0
	s_delay_alu instid0(VALU_DEP_1) | instskip(SKIP_1) | instid1(VALU_DEP_2)
	v_add_co_ci_u32_e64 v6, null, s5, 0, s0
	s_mov_b32 s13, 0
	v_mad_u64_u32 v[1:2], null, v4, s12, 0
	s_lshl_b64 s[8:9], s[12:13], 11
	s_mov_b32 s4, -1
	s_delay_alu instid0(VALU_DEP_1) | instskip(NEXT) | instid1(VALU_DEP_1)
	v_mad_u64_u32 v[4:5], null, v6, s12, v[2:3]
	v_mov_b32_e32 v2, v4
	s_delay_alu instid0(VALU_DEP_1) | instskip(NEXT) | instid1(VALU_DEP_1)
	v_lshlrev_b64 v[1:2], 1, v[1:2]
	v_add_co_u32 v1, vcc_lo, s6, v1
	s_delay_alu instid0(VALU_DEP_2) | instskip(NEXT) | instid1(VALU_DEP_2)
	v_add_co_ci_u32_e32 v2, vcc_lo, s7, v2, vcc_lo
	v_add_co_u32 v4, vcc_lo, v1, s8
	s_delay_alu instid0(VALU_DEP_2)
	v_add_co_ci_u32_e32 v5, vcc_lo, s9, v2, vcc_lo
	s_lshl_b64 s[8:9], s[2:3], 1
	s_clause 0x1
	global_load_u16 v6, v[1:2], off
	global_load_u16 v4, v[4:5], off
	s_add_u32 s8, s11, s8
	s_addc_u32 s9, s14, s9
	v_add_co_u32 v1, s0, s8, v3
	s_delay_alu instid0(VALU_DEP_1)
	v_add_co_ci_u32_e64 v2, null, s9, 0, s0
	s_waitcnt vmcnt(1)
	global_store_b16 v3, v6, s[8:9]
	s_cbranch_execz .LBB221_3
	s_branch .LBB221_12
.LBB221_2:
	s_mov_b32 s4, s3
                                        ; implicit-def: $vgpr4
                                        ; implicit-def: $vgpr1_vgpr2
	s_and_not1_b32 vcc_lo, exec_lo, s13
	s_cbranch_vccnz .LBB221_12
.LBB221_3:
	s_sub_i32 s8, s10, s2
                                        ; implicit-def: $vgpr5
	s_delay_alu instid0(SALU_CYCLE_1)
	v_cmp_gt_u32_e32 vcc_lo, s8, v0
	s_and_saveexec_b32 s9, vcc_lo
	s_cbranch_execz .LBB221_5
; %bb.4:
	s_waitcnt vmcnt(0)
	v_add_co_u32 v4, s0, s1, v0
	s_delay_alu instid0(VALU_DEP_1) | instskip(NEXT) | instid1(VALU_DEP_2)
	v_add_co_ci_u32_e64 v6, null, s5, 0, s0
	v_mad_u64_u32 v[1:2], null, v4, s12, 0
	s_delay_alu instid0(VALU_DEP_1) | instskip(NEXT) | instid1(VALU_DEP_1)
	v_mad_u64_u32 v[4:5], null, v6, s12, v[2:3]
	v_mov_b32_e32 v2, v4
	s_delay_alu instid0(VALU_DEP_1) | instskip(NEXT) | instid1(VALU_DEP_1)
	v_lshlrev_b64 v[1:2], 1, v[1:2]
	v_add_co_u32 v1, s0, s6, v1
	s_delay_alu instid0(VALU_DEP_1)
	v_add_co_ci_u32_e64 v2, s0, s7, v2, s0
	global_load_d16_b16 v5, v[1:2], off
.LBB221_5:
	s_or_b32 exec_lo, exec_lo, s9
	v_or_b32_e32 v0, 0x400, v0
	s_delay_alu instid0(VALU_DEP_1) | instskip(NEXT) | instid1(VALU_DEP_1)
	v_cmp_gt_u32_e64 s0, s8, v0
	s_and_saveexec_b32 s8, s0
	s_cbranch_execz .LBB221_7
; %bb.6:
	v_add_co_u32 v2, s1, s1, v0
	s_waitcnt vmcnt(0)
	v_add_co_ci_u32_e64 v4, null, s5, 0, s1
	s_delay_alu instid0(VALU_DEP_2) | instskip(NEXT) | instid1(VALU_DEP_1)
	v_mad_u64_u32 v[0:1], null, v2, s12, 0
	v_mad_u64_u32 v[6:7], null, v4, s12, v[1:2]
	s_delay_alu instid0(VALU_DEP_1) | instskip(NEXT) | instid1(VALU_DEP_1)
	v_mov_b32_e32 v1, v6
	v_lshlrev_b64 v[0:1], 1, v[0:1]
	s_delay_alu instid0(VALU_DEP_1) | instskip(NEXT) | instid1(VALU_DEP_1)
	v_add_co_u32 v0, s1, s6, v0
	v_add_co_ci_u32_e64 v1, s1, s7, v1, s1
	global_load_d16_hi_b16 v5, v[0:1], off
.LBB221_7:
	s_or_b32 exec_lo, exec_lo, s8
	s_lshl_b64 s[2:3], s[2:3], 1
	s_delay_alu instid0(SALU_CYCLE_1) | instskip(SKIP_2) | instid1(VALU_DEP_1)
	s_add_u32 s1, s11, s2
	s_addc_u32 s2, s14, s3
	v_add_co_u32 v1, s1, s1, v3
	v_add_co_ci_u32_e64 v2, null, s2, 0, s1
	s_and_saveexec_b32 s1, vcc_lo
	s_cbranch_execz .LBB221_9
; %bb.8:
	s_waitcnt vmcnt(0)
	global_store_b16 v[1:2], v5, off
.LBB221_9:
	s_or_b32 exec_lo, exec_lo, s1
                                        ; implicit-def: $vgpr4
	s_and_saveexec_b32 s1, s0
	s_cbranch_execz .LBB221_11
; %bb.10:
	s_waitcnt vmcnt(0)
	v_lshrrev_b32_e32 v4, 16, v5
	s_or_b32 s4, s4, exec_lo
.LBB221_11:
	s_or_b32 exec_lo, exec_lo, s1
.LBB221_12:
	s_and_saveexec_b32 s0, s4
	s_cbranch_execnz .LBB221_14
; %bb.13:
	s_nop 0
	s_sendmsg sendmsg(MSG_DEALLOC_VGPRS)
	s_endpgm
.LBB221_14:
	s_waitcnt vmcnt(0)
	global_store_b16 v[1:2], v4, off offset:2048
	s_nop 0
	s_sendmsg sendmsg(MSG_DEALLOC_VGPRS)
	s_endpgm
	.section	.rodata,"a",@progbits
	.p2align	6, 0x0
	.amdhsa_kernel _ZN7rocprim17ROCPRIM_400000_NS6detail17trampoline_kernelINS0_14default_configENS1_25transform_config_selectorItLb0EEEZNS1_14transform_implILb0ES3_S5_NS0_18transform_iteratorINS0_17counting_iteratorImlEEZNS1_24adjacent_difference_implIS3_Lb1ELb0EPtSB_N6thrust23THRUST_200600_302600_NS5minusItEEEE10hipError_tPvRmT2_T3_mT4_P12ihipStream_tbEUlmE_tEESB_NS0_8identityIvEEEESG_SJ_SK_mSL_SN_bEUlT_E_NS1_11comp_targetILNS1_3genE9ELNS1_11target_archE1100ELNS1_3gpuE3ELNS1_3repE0EEENS1_30default_config_static_selectorELNS0_4arch9wavefront6targetE0EEEvT1_
		.amdhsa_group_segment_fixed_size 0
		.amdhsa_private_segment_fixed_size 0
		.amdhsa_kernarg_size 312
		.amdhsa_user_sgpr_count 15
		.amdhsa_user_sgpr_dispatch_ptr 0
		.amdhsa_user_sgpr_queue_ptr 0
		.amdhsa_user_sgpr_kernarg_segment_ptr 1
		.amdhsa_user_sgpr_dispatch_id 0
		.amdhsa_user_sgpr_private_segment_size 0
		.amdhsa_wavefront_size32 1
		.amdhsa_uses_dynamic_stack 0
		.amdhsa_enable_private_segment 0
		.amdhsa_system_sgpr_workgroup_id_x 1
		.amdhsa_system_sgpr_workgroup_id_y 0
		.amdhsa_system_sgpr_workgroup_id_z 0
		.amdhsa_system_sgpr_workgroup_info 0
		.amdhsa_system_vgpr_workitem_id 0
		.amdhsa_next_free_vgpr 8
		.amdhsa_next_free_sgpr 18
		.amdhsa_reserve_vcc 1
		.amdhsa_float_round_mode_32 0
		.amdhsa_float_round_mode_16_64 0
		.amdhsa_float_denorm_mode_32 3
		.amdhsa_float_denorm_mode_16_64 3
		.amdhsa_dx10_clamp 1
		.amdhsa_ieee_mode 1
		.amdhsa_fp16_overflow 0
		.amdhsa_workgroup_processor_mode 1
		.amdhsa_memory_ordered 1
		.amdhsa_forward_progress 0
		.amdhsa_shared_vgpr_count 0
		.amdhsa_exception_fp_ieee_invalid_op 0
		.amdhsa_exception_fp_denorm_src 0
		.amdhsa_exception_fp_ieee_div_zero 0
		.amdhsa_exception_fp_ieee_overflow 0
		.amdhsa_exception_fp_ieee_underflow 0
		.amdhsa_exception_fp_ieee_inexact 0
		.amdhsa_exception_int_div_zero 0
	.end_amdhsa_kernel
	.section	.text._ZN7rocprim17ROCPRIM_400000_NS6detail17trampoline_kernelINS0_14default_configENS1_25transform_config_selectorItLb0EEEZNS1_14transform_implILb0ES3_S5_NS0_18transform_iteratorINS0_17counting_iteratorImlEEZNS1_24adjacent_difference_implIS3_Lb1ELb0EPtSB_N6thrust23THRUST_200600_302600_NS5minusItEEEE10hipError_tPvRmT2_T3_mT4_P12ihipStream_tbEUlmE_tEESB_NS0_8identityIvEEEESG_SJ_SK_mSL_SN_bEUlT_E_NS1_11comp_targetILNS1_3genE9ELNS1_11target_archE1100ELNS1_3gpuE3ELNS1_3repE0EEENS1_30default_config_static_selectorELNS0_4arch9wavefront6targetE0EEEvT1_,"axG",@progbits,_ZN7rocprim17ROCPRIM_400000_NS6detail17trampoline_kernelINS0_14default_configENS1_25transform_config_selectorItLb0EEEZNS1_14transform_implILb0ES3_S5_NS0_18transform_iteratorINS0_17counting_iteratorImlEEZNS1_24adjacent_difference_implIS3_Lb1ELb0EPtSB_N6thrust23THRUST_200600_302600_NS5minusItEEEE10hipError_tPvRmT2_T3_mT4_P12ihipStream_tbEUlmE_tEESB_NS0_8identityIvEEEESG_SJ_SK_mSL_SN_bEUlT_E_NS1_11comp_targetILNS1_3genE9ELNS1_11target_archE1100ELNS1_3gpuE3ELNS1_3repE0EEENS1_30default_config_static_selectorELNS0_4arch9wavefront6targetE0EEEvT1_,comdat
.Lfunc_end221:
	.size	_ZN7rocprim17ROCPRIM_400000_NS6detail17trampoline_kernelINS0_14default_configENS1_25transform_config_selectorItLb0EEEZNS1_14transform_implILb0ES3_S5_NS0_18transform_iteratorINS0_17counting_iteratorImlEEZNS1_24adjacent_difference_implIS3_Lb1ELb0EPtSB_N6thrust23THRUST_200600_302600_NS5minusItEEEE10hipError_tPvRmT2_T3_mT4_P12ihipStream_tbEUlmE_tEESB_NS0_8identityIvEEEESG_SJ_SK_mSL_SN_bEUlT_E_NS1_11comp_targetILNS1_3genE9ELNS1_11target_archE1100ELNS1_3gpuE3ELNS1_3repE0EEENS1_30default_config_static_selectorELNS0_4arch9wavefront6targetE0EEEvT1_, .Lfunc_end221-_ZN7rocprim17ROCPRIM_400000_NS6detail17trampoline_kernelINS0_14default_configENS1_25transform_config_selectorItLb0EEEZNS1_14transform_implILb0ES3_S5_NS0_18transform_iteratorINS0_17counting_iteratorImlEEZNS1_24adjacent_difference_implIS3_Lb1ELb0EPtSB_N6thrust23THRUST_200600_302600_NS5minusItEEEE10hipError_tPvRmT2_T3_mT4_P12ihipStream_tbEUlmE_tEESB_NS0_8identityIvEEEESG_SJ_SK_mSL_SN_bEUlT_E_NS1_11comp_targetILNS1_3genE9ELNS1_11target_archE1100ELNS1_3gpuE3ELNS1_3repE0EEENS1_30default_config_static_selectorELNS0_4arch9wavefront6targetE0EEEvT1_
                                        ; -- End function
	.section	.AMDGPU.csdata,"",@progbits
; Kernel info:
; codeLenInByte = 644
; NumSgprs: 20
; NumVgprs: 8
; ScratchSize: 0
; MemoryBound: 0
; FloatMode: 240
; IeeeMode: 1
; LDSByteSize: 0 bytes/workgroup (compile time only)
; SGPRBlocks: 2
; VGPRBlocks: 0
; NumSGPRsForWavesPerEU: 20
; NumVGPRsForWavesPerEU: 8
; Occupancy: 16
; WaveLimiterHint : 0
; COMPUTE_PGM_RSRC2:SCRATCH_EN: 0
; COMPUTE_PGM_RSRC2:USER_SGPR: 15
; COMPUTE_PGM_RSRC2:TRAP_HANDLER: 0
; COMPUTE_PGM_RSRC2:TGID_X_EN: 1
; COMPUTE_PGM_RSRC2:TGID_Y_EN: 0
; COMPUTE_PGM_RSRC2:TGID_Z_EN: 0
; COMPUTE_PGM_RSRC2:TIDIG_COMP_CNT: 0
	.section	.text._ZN7rocprim17ROCPRIM_400000_NS6detail17trampoline_kernelINS0_14default_configENS1_25transform_config_selectorItLb0EEEZNS1_14transform_implILb0ES3_S5_NS0_18transform_iteratorINS0_17counting_iteratorImlEEZNS1_24adjacent_difference_implIS3_Lb1ELb0EPtSB_N6thrust23THRUST_200600_302600_NS5minusItEEEE10hipError_tPvRmT2_T3_mT4_P12ihipStream_tbEUlmE_tEESB_NS0_8identityIvEEEESG_SJ_SK_mSL_SN_bEUlT_E_NS1_11comp_targetILNS1_3genE8ELNS1_11target_archE1030ELNS1_3gpuE2ELNS1_3repE0EEENS1_30default_config_static_selectorELNS0_4arch9wavefront6targetE0EEEvT1_,"axG",@progbits,_ZN7rocprim17ROCPRIM_400000_NS6detail17trampoline_kernelINS0_14default_configENS1_25transform_config_selectorItLb0EEEZNS1_14transform_implILb0ES3_S5_NS0_18transform_iteratorINS0_17counting_iteratorImlEEZNS1_24adjacent_difference_implIS3_Lb1ELb0EPtSB_N6thrust23THRUST_200600_302600_NS5minusItEEEE10hipError_tPvRmT2_T3_mT4_P12ihipStream_tbEUlmE_tEESB_NS0_8identityIvEEEESG_SJ_SK_mSL_SN_bEUlT_E_NS1_11comp_targetILNS1_3genE8ELNS1_11target_archE1030ELNS1_3gpuE2ELNS1_3repE0EEENS1_30default_config_static_selectorELNS0_4arch9wavefront6targetE0EEEvT1_,comdat
	.protected	_ZN7rocprim17ROCPRIM_400000_NS6detail17trampoline_kernelINS0_14default_configENS1_25transform_config_selectorItLb0EEEZNS1_14transform_implILb0ES3_S5_NS0_18transform_iteratorINS0_17counting_iteratorImlEEZNS1_24adjacent_difference_implIS3_Lb1ELb0EPtSB_N6thrust23THRUST_200600_302600_NS5minusItEEEE10hipError_tPvRmT2_T3_mT4_P12ihipStream_tbEUlmE_tEESB_NS0_8identityIvEEEESG_SJ_SK_mSL_SN_bEUlT_E_NS1_11comp_targetILNS1_3genE8ELNS1_11target_archE1030ELNS1_3gpuE2ELNS1_3repE0EEENS1_30default_config_static_selectorELNS0_4arch9wavefront6targetE0EEEvT1_ ; -- Begin function _ZN7rocprim17ROCPRIM_400000_NS6detail17trampoline_kernelINS0_14default_configENS1_25transform_config_selectorItLb0EEEZNS1_14transform_implILb0ES3_S5_NS0_18transform_iteratorINS0_17counting_iteratorImlEEZNS1_24adjacent_difference_implIS3_Lb1ELb0EPtSB_N6thrust23THRUST_200600_302600_NS5minusItEEEE10hipError_tPvRmT2_T3_mT4_P12ihipStream_tbEUlmE_tEESB_NS0_8identityIvEEEESG_SJ_SK_mSL_SN_bEUlT_E_NS1_11comp_targetILNS1_3genE8ELNS1_11target_archE1030ELNS1_3gpuE2ELNS1_3repE0EEENS1_30default_config_static_selectorELNS0_4arch9wavefront6targetE0EEEvT1_
	.globl	_ZN7rocprim17ROCPRIM_400000_NS6detail17trampoline_kernelINS0_14default_configENS1_25transform_config_selectorItLb0EEEZNS1_14transform_implILb0ES3_S5_NS0_18transform_iteratorINS0_17counting_iteratorImlEEZNS1_24adjacent_difference_implIS3_Lb1ELb0EPtSB_N6thrust23THRUST_200600_302600_NS5minusItEEEE10hipError_tPvRmT2_T3_mT4_P12ihipStream_tbEUlmE_tEESB_NS0_8identityIvEEEESG_SJ_SK_mSL_SN_bEUlT_E_NS1_11comp_targetILNS1_3genE8ELNS1_11target_archE1030ELNS1_3gpuE2ELNS1_3repE0EEENS1_30default_config_static_selectorELNS0_4arch9wavefront6targetE0EEEvT1_
	.p2align	8
	.type	_ZN7rocprim17ROCPRIM_400000_NS6detail17trampoline_kernelINS0_14default_configENS1_25transform_config_selectorItLb0EEEZNS1_14transform_implILb0ES3_S5_NS0_18transform_iteratorINS0_17counting_iteratorImlEEZNS1_24adjacent_difference_implIS3_Lb1ELb0EPtSB_N6thrust23THRUST_200600_302600_NS5minusItEEEE10hipError_tPvRmT2_T3_mT4_P12ihipStream_tbEUlmE_tEESB_NS0_8identityIvEEEESG_SJ_SK_mSL_SN_bEUlT_E_NS1_11comp_targetILNS1_3genE8ELNS1_11target_archE1030ELNS1_3gpuE2ELNS1_3repE0EEENS1_30default_config_static_selectorELNS0_4arch9wavefront6targetE0EEEvT1_,@function
_ZN7rocprim17ROCPRIM_400000_NS6detail17trampoline_kernelINS0_14default_configENS1_25transform_config_selectorItLb0EEEZNS1_14transform_implILb0ES3_S5_NS0_18transform_iteratorINS0_17counting_iteratorImlEEZNS1_24adjacent_difference_implIS3_Lb1ELb0EPtSB_N6thrust23THRUST_200600_302600_NS5minusItEEEE10hipError_tPvRmT2_T3_mT4_P12ihipStream_tbEUlmE_tEESB_NS0_8identityIvEEEESG_SJ_SK_mSL_SN_bEUlT_E_NS1_11comp_targetILNS1_3genE8ELNS1_11target_archE1030ELNS1_3gpuE2ELNS1_3repE0EEENS1_30default_config_static_selectorELNS0_4arch9wavefront6targetE0EEEvT1_: ; @_ZN7rocprim17ROCPRIM_400000_NS6detail17trampoline_kernelINS0_14default_configENS1_25transform_config_selectorItLb0EEEZNS1_14transform_implILb0ES3_S5_NS0_18transform_iteratorINS0_17counting_iteratorImlEEZNS1_24adjacent_difference_implIS3_Lb1ELb0EPtSB_N6thrust23THRUST_200600_302600_NS5minusItEEEE10hipError_tPvRmT2_T3_mT4_P12ihipStream_tbEUlmE_tEESB_NS0_8identityIvEEEESG_SJ_SK_mSL_SN_bEUlT_E_NS1_11comp_targetILNS1_3genE8ELNS1_11target_archE1030ELNS1_3gpuE2ELNS1_3repE0EEENS1_30default_config_static_selectorELNS0_4arch9wavefront6targetE0EEEvT1_
; %bb.0:
	.section	.rodata,"a",@progbits
	.p2align	6, 0x0
	.amdhsa_kernel _ZN7rocprim17ROCPRIM_400000_NS6detail17trampoline_kernelINS0_14default_configENS1_25transform_config_selectorItLb0EEEZNS1_14transform_implILb0ES3_S5_NS0_18transform_iteratorINS0_17counting_iteratorImlEEZNS1_24adjacent_difference_implIS3_Lb1ELb0EPtSB_N6thrust23THRUST_200600_302600_NS5minusItEEEE10hipError_tPvRmT2_T3_mT4_P12ihipStream_tbEUlmE_tEESB_NS0_8identityIvEEEESG_SJ_SK_mSL_SN_bEUlT_E_NS1_11comp_targetILNS1_3genE8ELNS1_11target_archE1030ELNS1_3gpuE2ELNS1_3repE0EEENS1_30default_config_static_selectorELNS0_4arch9wavefront6targetE0EEEvT1_
		.amdhsa_group_segment_fixed_size 0
		.amdhsa_private_segment_fixed_size 0
		.amdhsa_kernarg_size 56
		.amdhsa_user_sgpr_count 15
		.amdhsa_user_sgpr_dispatch_ptr 0
		.amdhsa_user_sgpr_queue_ptr 0
		.amdhsa_user_sgpr_kernarg_segment_ptr 1
		.amdhsa_user_sgpr_dispatch_id 0
		.amdhsa_user_sgpr_private_segment_size 0
		.amdhsa_wavefront_size32 1
		.amdhsa_uses_dynamic_stack 0
		.amdhsa_enable_private_segment 0
		.amdhsa_system_sgpr_workgroup_id_x 1
		.amdhsa_system_sgpr_workgroup_id_y 0
		.amdhsa_system_sgpr_workgroup_id_z 0
		.amdhsa_system_sgpr_workgroup_info 0
		.amdhsa_system_vgpr_workitem_id 0
		.amdhsa_next_free_vgpr 1
		.amdhsa_next_free_sgpr 1
		.amdhsa_reserve_vcc 0
		.amdhsa_float_round_mode_32 0
		.amdhsa_float_round_mode_16_64 0
		.amdhsa_float_denorm_mode_32 3
		.amdhsa_float_denorm_mode_16_64 3
		.amdhsa_dx10_clamp 1
		.amdhsa_ieee_mode 1
		.amdhsa_fp16_overflow 0
		.amdhsa_workgroup_processor_mode 1
		.amdhsa_memory_ordered 1
		.amdhsa_forward_progress 0
		.amdhsa_shared_vgpr_count 0
		.amdhsa_exception_fp_ieee_invalid_op 0
		.amdhsa_exception_fp_denorm_src 0
		.amdhsa_exception_fp_ieee_div_zero 0
		.amdhsa_exception_fp_ieee_overflow 0
		.amdhsa_exception_fp_ieee_underflow 0
		.amdhsa_exception_fp_ieee_inexact 0
		.amdhsa_exception_int_div_zero 0
	.end_amdhsa_kernel
	.section	.text._ZN7rocprim17ROCPRIM_400000_NS6detail17trampoline_kernelINS0_14default_configENS1_25transform_config_selectorItLb0EEEZNS1_14transform_implILb0ES3_S5_NS0_18transform_iteratorINS0_17counting_iteratorImlEEZNS1_24adjacent_difference_implIS3_Lb1ELb0EPtSB_N6thrust23THRUST_200600_302600_NS5minusItEEEE10hipError_tPvRmT2_T3_mT4_P12ihipStream_tbEUlmE_tEESB_NS0_8identityIvEEEESG_SJ_SK_mSL_SN_bEUlT_E_NS1_11comp_targetILNS1_3genE8ELNS1_11target_archE1030ELNS1_3gpuE2ELNS1_3repE0EEENS1_30default_config_static_selectorELNS0_4arch9wavefront6targetE0EEEvT1_,"axG",@progbits,_ZN7rocprim17ROCPRIM_400000_NS6detail17trampoline_kernelINS0_14default_configENS1_25transform_config_selectorItLb0EEEZNS1_14transform_implILb0ES3_S5_NS0_18transform_iteratorINS0_17counting_iteratorImlEEZNS1_24adjacent_difference_implIS3_Lb1ELb0EPtSB_N6thrust23THRUST_200600_302600_NS5minusItEEEE10hipError_tPvRmT2_T3_mT4_P12ihipStream_tbEUlmE_tEESB_NS0_8identityIvEEEESG_SJ_SK_mSL_SN_bEUlT_E_NS1_11comp_targetILNS1_3genE8ELNS1_11target_archE1030ELNS1_3gpuE2ELNS1_3repE0EEENS1_30default_config_static_selectorELNS0_4arch9wavefront6targetE0EEEvT1_,comdat
.Lfunc_end222:
	.size	_ZN7rocprim17ROCPRIM_400000_NS6detail17trampoline_kernelINS0_14default_configENS1_25transform_config_selectorItLb0EEEZNS1_14transform_implILb0ES3_S5_NS0_18transform_iteratorINS0_17counting_iteratorImlEEZNS1_24adjacent_difference_implIS3_Lb1ELb0EPtSB_N6thrust23THRUST_200600_302600_NS5minusItEEEE10hipError_tPvRmT2_T3_mT4_P12ihipStream_tbEUlmE_tEESB_NS0_8identityIvEEEESG_SJ_SK_mSL_SN_bEUlT_E_NS1_11comp_targetILNS1_3genE8ELNS1_11target_archE1030ELNS1_3gpuE2ELNS1_3repE0EEENS1_30default_config_static_selectorELNS0_4arch9wavefront6targetE0EEEvT1_, .Lfunc_end222-_ZN7rocprim17ROCPRIM_400000_NS6detail17trampoline_kernelINS0_14default_configENS1_25transform_config_selectorItLb0EEEZNS1_14transform_implILb0ES3_S5_NS0_18transform_iteratorINS0_17counting_iteratorImlEEZNS1_24adjacent_difference_implIS3_Lb1ELb0EPtSB_N6thrust23THRUST_200600_302600_NS5minusItEEEE10hipError_tPvRmT2_T3_mT4_P12ihipStream_tbEUlmE_tEESB_NS0_8identityIvEEEESG_SJ_SK_mSL_SN_bEUlT_E_NS1_11comp_targetILNS1_3genE8ELNS1_11target_archE1030ELNS1_3gpuE2ELNS1_3repE0EEENS1_30default_config_static_selectorELNS0_4arch9wavefront6targetE0EEEvT1_
                                        ; -- End function
	.section	.AMDGPU.csdata,"",@progbits
; Kernel info:
; codeLenInByte = 0
; NumSgprs: 0
; NumVgprs: 0
; ScratchSize: 0
; MemoryBound: 0
; FloatMode: 240
; IeeeMode: 1
; LDSByteSize: 0 bytes/workgroup (compile time only)
; SGPRBlocks: 0
; VGPRBlocks: 0
; NumSGPRsForWavesPerEU: 1
; NumVGPRsForWavesPerEU: 1
; Occupancy: 16
; WaveLimiterHint : 0
; COMPUTE_PGM_RSRC2:SCRATCH_EN: 0
; COMPUTE_PGM_RSRC2:USER_SGPR: 15
; COMPUTE_PGM_RSRC2:TRAP_HANDLER: 0
; COMPUTE_PGM_RSRC2:TGID_X_EN: 1
; COMPUTE_PGM_RSRC2:TGID_Y_EN: 0
; COMPUTE_PGM_RSRC2:TGID_Z_EN: 0
; COMPUTE_PGM_RSRC2:TIDIG_COMP_CNT: 0
	.section	.text._ZN7rocprim17ROCPRIM_400000_NS6detail17trampoline_kernelINS0_14default_configENS1_35adjacent_difference_config_selectorILb1EtEEZNS1_24adjacent_difference_implIS3_Lb1ELb0EPtS7_N6thrust23THRUST_200600_302600_NS5minusItEEEE10hipError_tPvRmT2_T3_mT4_P12ihipStream_tbEUlT_E_NS1_11comp_targetILNS1_3genE0ELNS1_11target_archE4294967295ELNS1_3gpuE0ELNS1_3repE0EEENS1_30default_config_static_selectorELNS0_4arch9wavefront6targetE0EEEvT1_,"axG",@progbits,_ZN7rocprim17ROCPRIM_400000_NS6detail17trampoline_kernelINS0_14default_configENS1_35adjacent_difference_config_selectorILb1EtEEZNS1_24adjacent_difference_implIS3_Lb1ELb0EPtS7_N6thrust23THRUST_200600_302600_NS5minusItEEEE10hipError_tPvRmT2_T3_mT4_P12ihipStream_tbEUlT_E_NS1_11comp_targetILNS1_3genE0ELNS1_11target_archE4294967295ELNS1_3gpuE0ELNS1_3repE0EEENS1_30default_config_static_selectorELNS0_4arch9wavefront6targetE0EEEvT1_,comdat
	.protected	_ZN7rocprim17ROCPRIM_400000_NS6detail17trampoline_kernelINS0_14default_configENS1_35adjacent_difference_config_selectorILb1EtEEZNS1_24adjacent_difference_implIS3_Lb1ELb0EPtS7_N6thrust23THRUST_200600_302600_NS5minusItEEEE10hipError_tPvRmT2_T3_mT4_P12ihipStream_tbEUlT_E_NS1_11comp_targetILNS1_3genE0ELNS1_11target_archE4294967295ELNS1_3gpuE0ELNS1_3repE0EEENS1_30default_config_static_selectorELNS0_4arch9wavefront6targetE0EEEvT1_ ; -- Begin function _ZN7rocprim17ROCPRIM_400000_NS6detail17trampoline_kernelINS0_14default_configENS1_35adjacent_difference_config_selectorILb1EtEEZNS1_24adjacent_difference_implIS3_Lb1ELb0EPtS7_N6thrust23THRUST_200600_302600_NS5minusItEEEE10hipError_tPvRmT2_T3_mT4_P12ihipStream_tbEUlT_E_NS1_11comp_targetILNS1_3genE0ELNS1_11target_archE4294967295ELNS1_3gpuE0ELNS1_3repE0EEENS1_30default_config_static_selectorELNS0_4arch9wavefront6targetE0EEEvT1_
	.globl	_ZN7rocprim17ROCPRIM_400000_NS6detail17trampoline_kernelINS0_14default_configENS1_35adjacent_difference_config_selectorILb1EtEEZNS1_24adjacent_difference_implIS3_Lb1ELb0EPtS7_N6thrust23THRUST_200600_302600_NS5minusItEEEE10hipError_tPvRmT2_T3_mT4_P12ihipStream_tbEUlT_E_NS1_11comp_targetILNS1_3genE0ELNS1_11target_archE4294967295ELNS1_3gpuE0ELNS1_3repE0EEENS1_30default_config_static_selectorELNS0_4arch9wavefront6targetE0EEEvT1_
	.p2align	8
	.type	_ZN7rocprim17ROCPRIM_400000_NS6detail17trampoline_kernelINS0_14default_configENS1_35adjacent_difference_config_selectorILb1EtEEZNS1_24adjacent_difference_implIS3_Lb1ELb0EPtS7_N6thrust23THRUST_200600_302600_NS5minusItEEEE10hipError_tPvRmT2_T3_mT4_P12ihipStream_tbEUlT_E_NS1_11comp_targetILNS1_3genE0ELNS1_11target_archE4294967295ELNS1_3gpuE0ELNS1_3repE0EEENS1_30default_config_static_selectorELNS0_4arch9wavefront6targetE0EEEvT1_,@function
_ZN7rocprim17ROCPRIM_400000_NS6detail17trampoline_kernelINS0_14default_configENS1_35adjacent_difference_config_selectorILb1EtEEZNS1_24adjacent_difference_implIS3_Lb1ELb0EPtS7_N6thrust23THRUST_200600_302600_NS5minusItEEEE10hipError_tPvRmT2_T3_mT4_P12ihipStream_tbEUlT_E_NS1_11comp_targetILNS1_3genE0ELNS1_11target_archE4294967295ELNS1_3gpuE0ELNS1_3repE0EEENS1_30default_config_static_selectorELNS0_4arch9wavefront6targetE0EEEvT1_: ; @_ZN7rocprim17ROCPRIM_400000_NS6detail17trampoline_kernelINS0_14default_configENS1_35adjacent_difference_config_selectorILb1EtEEZNS1_24adjacent_difference_implIS3_Lb1ELb0EPtS7_N6thrust23THRUST_200600_302600_NS5minusItEEEE10hipError_tPvRmT2_T3_mT4_P12ihipStream_tbEUlT_E_NS1_11comp_targetILNS1_3genE0ELNS1_11target_archE4294967295ELNS1_3gpuE0ELNS1_3repE0EEENS1_30default_config_static_selectorELNS0_4arch9wavefront6targetE0EEEvT1_
; %bb.0:
	.section	.rodata,"a",@progbits
	.p2align	6, 0x0
	.amdhsa_kernel _ZN7rocprim17ROCPRIM_400000_NS6detail17trampoline_kernelINS0_14default_configENS1_35adjacent_difference_config_selectorILb1EtEEZNS1_24adjacent_difference_implIS3_Lb1ELb0EPtS7_N6thrust23THRUST_200600_302600_NS5minusItEEEE10hipError_tPvRmT2_T3_mT4_P12ihipStream_tbEUlT_E_NS1_11comp_targetILNS1_3genE0ELNS1_11target_archE4294967295ELNS1_3gpuE0ELNS1_3repE0EEENS1_30default_config_static_selectorELNS0_4arch9wavefront6targetE0EEEvT1_
		.amdhsa_group_segment_fixed_size 0
		.amdhsa_private_segment_fixed_size 0
		.amdhsa_kernarg_size 56
		.amdhsa_user_sgpr_count 15
		.amdhsa_user_sgpr_dispatch_ptr 0
		.amdhsa_user_sgpr_queue_ptr 0
		.amdhsa_user_sgpr_kernarg_segment_ptr 1
		.amdhsa_user_sgpr_dispatch_id 0
		.amdhsa_user_sgpr_private_segment_size 0
		.amdhsa_wavefront_size32 1
		.amdhsa_uses_dynamic_stack 0
		.amdhsa_enable_private_segment 0
		.amdhsa_system_sgpr_workgroup_id_x 1
		.amdhsa_system_sgpr_workgroup_id_y 0
		.amdhsa_system_sgpr_workgroup_id_z 0
		.amdhsa_system_sgpr_workgroup_info 0
		.amdhsa_system_vgpr_workitem_id 0
		.amdhsa_next_free_vgpr 1
		.amdhsa_next_free_sgpr 1
		.amdhsa_reserve_vcc 0
		.amdhsa_float_round_mode_32 0
		.amdhsa_float_round_mode_16_64 0
		.amdhsa_float_denorm_mode_32 3
		.amdhsa_float_denorm_mode_16_64 3
		.amdhsa_dx10_clamp 1
		.amdhsa_ieee_mode 1
		.amdhsa_fp16_overflow 0
		.amdhsa_workgroup_processor_mode 1
		.amdhsa_memory_ordered 1
		.amdhsa_forward_progress 0
		.amdhsa_shared_vgpr_count 0
		.amdhsa_exception_fp_ieee_invalid_op 0
		.amdhsa_exception_fp_denorm_src 0
		.amdhsa_exception_fp_ieee_div_zero 0
		.amdhsa_exception_fp_ieee_overflow 0
		.amdhsa_exception_fp_ieee_underflow 0
		.amdhsa_exception_fp_ieee_inexact 0
		.amdhsa_exception_int_div_zero 0
	.end_amdhsa_kernel
	.section	.text._ZN7rocprim17ROCPRIM_400000_NS6detail17trampoline_kernelINS0_14default_configENS1_35adjacent_difference_config_selectorILb1EtEEZNS1_24adjacent_difference_implIS3_Lb1ELb0EPtS7_N6thrust23THRUST_200600_302600_NS5minusItEEEE10hipError_tPvRmT2_T3_mT4_P12ihipStream_tbEUlT_E_NS1_11comp_targetILNS1_3genE0ELNS1_11target_archE4294967295ELNS1_3gpuE0ELNS1_3repE0EEENS1_30default_config_static_selectorELNS0_4arch9wavefront6targetE0EEEvT1_,"axG",@progbits,_ZN7rocprim17ROCPRIM_400000_NS6detail17trampoline_kernelINS0_14default_configENS1_35adjacent_difference_config_selectorILb1EtEEZNS1_24adjacent_difference_implIS3_Lb1ELb0EPtS7_N6thrust23THRUST_200600_302600_NS5minusItEEEE10hipError_tPvRmT2_T3_mT4_P12ihipStream_tbEUlT_E_NS1_11comp_targetILNS1_3genE0ELNS1_11target_archE4294967295ELNS1_3gpuE0ELNS1_3repE0EEENS1_30default_config_static_selectorELNS0_4arch9wavefront6targetE0EEEvT1_,comdat
.Lfunc_end223:
	.size	_ZN7rocprim17ROCPRIM_400000_NS6detail17trampoline_kernelINS0_14default_configENS1_35adjacent_difference_config_selectorILb1EtEEZNS1_24adjacent_difference_implIS3_Lb1ELb0EPtS7_N6thrust23THRUST_200600_302600_NS5minusItEEEE10hipError_tPvRmT2_T3_mT4_P12ihipStream_tbEUlT_E_NS1_11comp_targetILNS1_3genE0ELNS1_11target_archE4294967295ELNS1_3gpuE0ELNS1_3repE0EEENS1_30default_config_static_selectorELNS0_4arch9wavefront6targetE0EEEvT1_, .Lfunc_end223-_ZN7rocprim17ROCPRIM_400000_NS6detail17trampoline_kernelINS0_14default_configENS1_35adjacent_difference_config_selectorILb1EtEEZNS1_24adjacent_difference_implIS3_Lb1ELb0EPtS7_N6thrust23THRUST_200600_302600_NS5minusItEEEE10hipError_tPvRmT2_T3_mT4_P12ihipStream_tbEUlT_E_NS1_11comp_targetILNS1_3genE0ELNS1_11target_archE4294967295ELNS1_3gpuE0ELNS1_3repE0EEENS1_30default_config_static_selectorELNS0_4arch9wavefront6targetE0EEEvT1_
                                        ; -- End function
	.section	.AMDGPU.csdata,"",@progbits
; Kernel info:
; codeLenInByte = 0
; NumSgprs: 0
; NumVgprs: 0
; ScratchSize: 0
; MemoryBound: 0
; FloatMode: 240
; IeeeMode: 1
; LDSByteSize: 0 bytes/workgroup (compile time only)
; SGPRBlocks: 0
; VGPRBlocks: 0
; NumSGPRsForWavesPerEU: 1
; NumVGPRsForWavesPerEU: 1
; Occupancy: 16
; WaveLimiterHint : 0
; COMPUTE_PGM_RSRC2:SCRATCH_EN: 0
; COMPUTE_PGM_RSRC2:USER_SGPR: 15
; COMPUTE_PGM_RSRC2:TRAP_HANDLER: 0
; COMPUTE_PGM_RSRC2:TGID_X_EN: 1
; COMPUTE_PGM_RSRC2:TGID_Y_EN: 0
; COMPUTE_PGM_RSRC2:TGID_Z_EN: 0
; COMPUTE_PGM_RSRC2:TIDIG_COMP_CNT: 0
	.section	.text._ZN7rocprim17ROCPRIM_400000_NS6detail17trampoline_kernelINS0_14default_configENS1_35adjacent_difference_config_selectorILb1EtEEZNS1_24adjacent_difference_implIS3_Lb1ELb0EPtS7_N6thrust23THRUST_200600_302600_NS5minusItEEEE10hipError_tPvRmT2_T3_mT4_P12ihipStream_tbEUlT_E_NS1_11comp_targetILNS1_3genE10ELNS1_11target_archE1201ELNS1_3gpuE5ELNS1_3repE0EEENS1_30default_config_static_selectorELNS0_4arch9wavefront6targetE0EEEvT1_,"axG",@progbits,_ZN7rocprim17ROCPRIM_400000_NS6detail17trampoline_kernelINS0_14default_configENS1_35adjacent_difference_config_selectorILb1EtEEZNS1_24adjacent_difference_implIS3_Lb1ELb0EPtS7_N6thrust23THRUST_200600_302600_NS5minusItEEEE10hipError_tPvRmT2_T3_mT4_P12ihipStream_tbEUlT_E_NS1_11comp_targetILNS1_3genE10ELNS1_11target_archE1201ELNS1_3gpuE5ELNS1_3repE0EEENS1_30default_config_static_selectorELNS0_4arch9wavefront6targetE0EEEvT1_,comdat
	.protected	_ZN7rocprim17ROCPRIM_400000_NS6detail17trampoline_kernelINS0_14default_configENS1_35adjacent_difference_config_selectorILb1EtEEZNS1_24adjacent_difference_implIS3_Lb1ELb0EPtS7_N6thrust23THRUST_200600_302600_NS5minusItEEEE10hipError_tPvRmT2_T3_mT4_P12ihipStream_tbEUlT_E_NS1_11comp_targetILNS1_3genE10ELNS1_11target_archE1201ELNS1_3gpuE5ELNS1_3repE0EEENS1_30default_config_static_selectorELNS0_4arch9wavefront6targetE0EEEvT1_ ; -- Begin function _ZN7rocprim17ROCPRIM_400000_NS6detail17trampoline_kernelINS0_14default_configENS1_35adjacent_difference_config_selectorILb1EtEEZNS1_24adjacent_difference_implIS3_Lb1ELb0EPtS7_N6thrust23THRUST_200600_302600_NS5minusItEEEE10hipError_tPvRmT2_T3_mT4_P12ihipStream_tbEUlT_E_NS1_11comp_targetILNS1_3genE10ELNS1_11target_archE1201ELNS1_3gpuE5ELNS1_3repE0EEENS1_30default_config_static_selectorELNS0_4arch9wavefront6targetE0EEEvT1_
	.globl	_ZN7rocprim17ROCPRIM_400000_NS6detail17trampoline_kernelINS0_14default_configENS1_35adjacent_difference_config_selectorILb1EtEEZNS1_24adjacent_difference_implIS3_Lb1ELb0EPtS7_N6thrust23THRUST_200600_302600_NS5minusItEEEE10hipError_tPvRmT2_T3_mT4_P12ihipStream_tbEUlT_E_NS1_11comp_targetILNS1_3genE10ELNS1_11target_archE1201ELNS1_3gpuE5ELNS1_3repE0EEENS1_30default_config_static_selectorELNS0_4arch9wavefront6targetE0EEEvT1_
	.p2align	8
	.type	_ZN7rocprim17ROCPRIM_400000_NS6detail17trampoline_kernelINS0_14default_configENS1_35adjacent_difference_config_selectorILb1EtEEZNS1_24adjacent_difference_implIS3_Lb1ELb0EPtS7_N6thrust23THRUST_200600_302600_NS5minusItEEEE10hipError_tPvRmT2_T3_mT4_P12ihipStream_tbEUlT_E_NS1_11comp_targetILNS1_3genE10ELNS1_11target_archE1201ELNS1_3gpuE5ELNS1_3repE0EEENS1_30default_config_static_selectorELNS0_4arch9wavefront6targetE0EEEvT1_,@function
_ZN7rocprim17ROCPRIM_400000_NS6detail17trampoline_kernelINS0_14default_configENS1_35adjacent_difference_config_selectorILb1EtEEZNS1_24adjacent_difference_implIS3_Lb1ELb0EPtS7_N6thrust23THRUST_200600_302600_NS5minusItEEEE10hipError_tPvRmT2_T3_mT4_P12ihipStream_tbEUlT_E_NS1_11comp_targetILNS1_3genE10ELNS1_11target_archE1201ELNS1_3gpuE5ELNS1_3repE0EEENS1_30default_config_static_selectorELNS0_4arch9wavefront6targetE0EEEvT1_: ; @_ZN7rocprim17ROCPRIM_400000_NS6detail17trampoline_kernelINS0_14default_configENS1_35adjacent_difference_config_selectorILb1EtEEZNS1_24adjacent_difference_implIS3_Lb1ELb0EPtS7_N6thrust23THRUST_200600_302600_NS5minusItEEEE10hipError_tPvRmT2_T3_mT4_P12ihipStream_tbEUlT_E_NS1_11comp_targetILNS1_3genE10ELNS1_11target_archE1201ELNS1_3gpuE5ELNS1_3repE0EEENS1_30default_config_static_selectorELNS0_4arch9wavefront6targetE0EEEvT1_
; %bb.0:
	.section	.rodata,"a",@progbits
	.p2align	6, 0x0
	.amdhsa_kernel _ZN7rocprim17ROCPRIM_400000_NS6detail17trampoline_kernelINS0_14default_configENS1_35adjacent_difference_config_selectorILb1EtEEZNS1_24adjacent_difference_implIS3_Lb1ELb0EPtS7_N6thrust23THRUST_200600_302600_NS5minusItEEEE10hipError_tPvRmT2_T3_mT4_P12ihipStream_tbEUlT_E_NS1_11comp_targetILNS1_3genE10ELNS1_11target_archE1201ELNS1_3gpuE5ELNS1_3repE0EEENS1_30default_config_static_selectorELNS0_4arch9wavefront6targetE0EEEvT1_
		.amdhsa_group_segment_fixed_size 0
		.amdhsa_private_segment_fixed_size 0
		.amdhsa_kernarg_size 56
		.amdhsa_user_sgpr_count 15
		.amdhsa_user_sgpr_dispatch_ptr 0
		.amdhsa_user_sgpr_queue_ptr 0
		.amdhsa_user_sgpr_kernarg_segment_ptr 1
		.amdhsa_user_sgpr_dispatch_id 0
		.amdhsa_user_sgpr_private_segment_size 0
		.amdhsa_wavefront_size32 1
		.amdhsa_uses_dynamic_stack 0
		.amdhsa_enable_private_segment 0
		.amdhsa_system_sgpr_workgroup_id_x 1
		.amdhsa_system_sgpr_workgroup_id_y 0
		.amdhsa_system_sgpr_workgroup_id_z 0
		.amdhsa_system_sgpr_workgroup_info 0
		.amdhsa_system_vgpr_workitem_id 0
		.amdhsa_next_free_vgpr 1
		.amdhsa_next_free_sgpr 1
		.amdhsa_reserve_vcc 0
		.amdhsa_float_round_mode_32 0
		.amdhsa_float_round_mode_16_64 0
		.amdhsa_float_denorm_mode_32 3
		.amdhsa_float_denorm_mode_16_64 3
		.amdhsa_dx10_clamp 1
		.amdhsa_ieee_mode 1
		.amdhsa_fp16_overflow 0
		.amdhsa_workgroup_processor_mode 1
		.amdhsa_memory_ordered 1
		.amdhsa_forward_progress 0
		.amdhsa_shared_vgpr_count 0
		.amdhsa_exception_fp_ieee_invalid_op 0
		.amdhsa_exception_fp_denorm_src 0
		.amdhsa_exception_fp_ieee_div_zero 0
		.amdhsa_exception_fp_ieee_overflow 0
		.amdhsa_exception_fp_ieee_underflow 0
		.amdhsa_exception_fp_ieee_inexact 0
		.amdhsa_exception_int_div_zero 0
	.end_amdhsa_kernel
	.section	.text._ZN7rocprim17ROCPRIM_400000_NS6detail17trampoline_kernelINS0_14default_configENS1_35adjacent_difference_config_selectorILb1EtEEZNS1_24adjacent_difference_implIS3_Lb1ELb0EPtS7_N6thrust23THRUST_200600_302600_NS5minusItEEEE10hipError_tPvRmT2_T3_mT4_P12ihipStream_tbEUlT_E_NS1_11comp_targetILNS1_3genE10ELNS1_11target_archE1201ELNS1_3gpuE5ELNS1_3repE0EEENS1_30default_config_static_selectorELNS0_4arch9wavefront6targetE0EEEvT1_,"axG",@progbits,_ZN7rocprim17ROCPRIM_400000_NS6detail17trampoline_kernelINS0_14default_configENS1_35adjacent_difference_config_selectorILb1EtEEZNS1_24adjacent_difference_implIS3_Lb1ELb0EPtS7_N6thrust23THRUST_200600_302600_NS5minusItEEEE10hipError_tPvRmT2_T3_mT4_P12ihipStream_tbEUlT_E_NS1_11comp_targetILNS1_3genE10ELNS1_11target_archE1201ELNS1_3gpuE5ELNS1_3repE0EEENS1_30default_config_static_selectorELNS0_4arch9wavefront6targetE0EEEvT1_,comdat
.Lfunc_end224:
	.size	_ZN7rocprim17ROCPRIM_400000_NS6detail17trampoline_kernelINS0_14default_configENS1_35adjacent_difference_config_selectorILb1EtEEZNS1_24adjacent_difference_implIS3_Lb1ELb0EPtS7_N6thrust23THRUST_200600_302600_NS5minusItEEEE10hipError_tPvRmT2_T3_mT4_P12ihipStream_tbEUlT_E_NS1_11comp_targetILNS1_3genE10ELNS1_11target_archE1201ELNS1_3gpuE5ELNS1_3repE0EEENS1_30default_config_static_selectorELNS0_4arch9wavefront6targetE0EEEvT1_, .Lfunc_end224-_ZN7rocprim17ROCPRIM_400000_NS6detail17trampoline_kernelINS0_14default_configENS1_35adjacent_difference_config_selectorILb1EtEEZNS1_24adjacent_difference_implIS3_Lb1ELb0EPtS7_N6thrust23THRUST_200600_302600_NS5minusItEEEE10hipError_tPvRmT2_T3_mT4_P12ihipStream_tbEUlT_E_NS1_11comp_targetILNS1_3genE10ELNS1_11target_archE1201ELNS1_3gpuE5ELNS1_3repE0EEENS1_30default_config_static_selectorELNS0_4arch9wavefront6targetE0EEEvT1_
                                        ; -- End function
	.section	.AMDGPU.csdata,"",@progbits
; Kernel info:
; codeLenInByte = 0
; NumSgprs: 0
; NumVgprs: 0
; ScratchSize: 0
; MemoryBound: 0
; FloatMode: 240
; IeeeMode: 1
; LDSByteSize: 0 bytes/workgroup (compile time only)
; SGPRBlocks: 0
; VGPRBlocks: 0
; NumSGPRsForWavesPerEU: 1
; NumVGPRsForWavesPerEU: 1
; Occupancy: 16
; WaveLimiterHint : 0
; COMPUTE_PGM_RSRC2:SCRATCH_EN: 0
; COMPUTE_PGM_RSRC2:USER_SGPR: 15
; COMPUTE_PGM_RSRC2:TRAP_HANDLER: 0
; COMPUTE_PGM_RSRC2:TGID_X_EN: 1
; COMPUTE_PGM_RSRC2:TGID_Y_EN: 0
; COMPUTE_PGM_RSRC2:TGID_Z_EN: 0
; COMPUTE_PGM_RSRC2:TIDIG_COMP_CNT: 0
	.section	.text._ZN7rocprim17ROCPRIM_400000_NS6detail17trampoline_kernelINS0_14default_configENS1_35adjacent_difference_config_selectorILb1EtEEZNS1_24adjacent_difference_implIS3_Lb1ELb0EPtS7_N6thrust23THRUST_200600_302600_NS5minusItEEEE10hipError_tPvRmT2_T3_mT4_P12ihipStream_tbEUlT_E_NS1_11comp_targetILNS1_3genE5ELNS1_11target_archE942ELNS1_3gpuE9ELNS1_3repE0EEENS1_30default_config_static_selectorELNS0_4arch9wavefront6targetE0EEEvT1_,"axG",@progbits,_ZN7rocprim17ROCPRIM_400000_NS6detail17trampoline_kernelINS0_14default_configENS1_35adjacent_difference_config_selectorILb1EtEEZNS1_24adjacent_difference_implIS3_Lb1ELb0EPtS7_N6thrust23THRUST_200600_302600_NS5minusItEEEE10hipError_tPvRmT2_T3_mT4_P12ihipStream_tbEUlT_E_NS1_11comp_targetILNS1_3genE5ELNS1_11target_archE942ELNS1_3gpuE9ELNS1_3repE0EEENS1_30default_config_static_selectorELNS0_4arch9wavefront6targetE0EEEvT1_,comdat
	.protected	_ZN7rocprim17ROCPRIM_400000_NS6detail17trampoline_kernelINS0_14default_configENS1_35adjacent_difference_config_selectorILb1EtEEZNS1_24adjacent_difference_implIS3_Lb1ELb0EPtS7_N6thrust23THRUST_200600_302600_NS5minusItEEEE10hipError_tPvRmT2_T3_mT4_P12ihipStream_tbEUlT_E_NS1_11comp_targetILNS1_3genE5ELNS1_11target_archE942ELNS1_3gpuE9ELNS1_3repE0EEENS1_30default_config_static_selectorELNS0_4arch9wavefront6targetE0EEEvT1_ ; -- Begin function _ZN7rocprim17ROCPRIM_400000_NS6detail17trampoline_kernelINS0_14default_configENS1_35adjacent_difference_config_selectorILb1EtEEZNS1_24adjacent_difference_implIS3_Lb1ELb0EPtS7_N6thrust23THRUST_200600_302600_NS5minusItEEEE10hipError_tPvRmT2_T3_mT4_P12ihipStream_tbEUlT_E_NS1_11comp_targetILNS1_3genE5ELNS1_11target_archE942ELNS1_3gpuE9ELNS1_3repE0EEENS1_30default_config_static_selectorELNS0_4arch9wavefront6targetE0EEEvT1_
	.globl	_ZN7rocprim17ROCPRIM_400000_NS6detail17trampoline_kernelINS0_14default_configENS1_35adjacent_difference_config_selectorILb1EtEEZNS1_24adjacent_difference_implIS3_Lb1ELb0EPtS7_N6thrust23THRUST_200600_302600_NS5minusItEEEE10hipError_tPvRmT2_T3_mT4_P12ihipStream_tbEUlT_E_NS1_11comp_targetILNS1_3genE5ELNS1_11target_archE942ELNS1_3gpuE9ELNS1_3repE0EEENS1_30default_config_static_selectorELNS0_4arch9wavefront6targetE0EEEvT1_
	.p2align	8
	.type	_ZN7rocprim17ROCPRIM_400000_NS6detail17trampoline_kernelINS0_14default_configENS1_35adjacent_difference_config_selectorILb1EtEEZNS1_24adjacent_difference_implIS3_Lb1ELb0EPtS7_N6thrust23THRUST_200600_302600_NS5minusItEEEE10hipError_tPvRmT2_T3_mT4_P12ihipStream_tbEUlT_E_NS1_11comp_targetILNS1_3genE5ELNS1_11target_archE942ELNS1_3gpuE9ELNS1_3repE0EEENS1_30default_config_static_selectorELNS0_4arch9wavefront6targetE0EEEvT1_,@function
_ZN7rocprim17ROCPRIM_400000_NS6detail17trampoline_kernelINS0_14default_configENS1_35adjacent_difference_config_selectorILb1EtEEZNS1_24adjacent_difference_implIS3_Lb1ELb0EPtS7_N6thrust23THRUST_200600_302600_NS5minusItEEEE10hipError_tPvRmT2_T3_mT4_P12ihipStream_tbEUlT_E_NS1_11comp_targetILNS1_3genE5ELNS1_11target_archE942ELNS1_3gpuE9ELNS1_3repE0EEENS1_30default_config_static_selectorELNS0_4arch9wavefront6targetE0EEEvT1_: ; @_ZN7rocprim17ROCPRIM_400000_NS6detail17trampoline_kernelINS0_14default_configENS1_35adjacent_difference_config_selectorILb1EtEEZNS1_24adjacent_difference_implIS3_Lb1ELb0EPtS7_N6thrust23THRUST_200600_302600_NS5minusItEEEE10hipError_tPvRmT2_T3_mT4_P12ihipStream_tbEUlT_E_NS1_11comp_targetILNS1_3genE5ELNS1_11target_archE942ELNS1_3gpuE9ELNS1_3repE0EEENS1_30default_config_static_selectorELNS0_4arch9wavefront6targetE0EEEvT1_
; %bb.0:
	.section	.rodata,"a",@progbits
	.p2align	6, 0x0
	.amdhsa_kernel _ZN7rocprim17ROCPRIM_400000_NS6detail17trampoline_kernelINS0_14default_configENS1_35adjacent_difference_config_selectorILb1EtEEZNS1_24adjacent_difference_implIS3_Lb1ELb0EPtS7_N6thrust23THRUST_200600_302600_NS5minusItEEEE10hipError_tPvRmT2_T3_mT4_P12ihipStream_tbEUlT_E_NS1_11comp_targetILNS1_3genE5ELNS1_11target_archE942ELNS1_3gpuE9ELNS1_3repE0EEENS1_30default_config_static_selectorELNS0_4arch9wavefront6targetE0EEEvT1_
		.amdhsa_group_segment_fixed_size 0
		.amdhsa_private_segment_fixed_size 0
		.amdhsa_kernarg_size 56
		.amdhsa_user_sgpr_count 15
		.amdhsa_user_sgpr_dispatch_ptr 0
		.amdhsa_user_sgpr_queue_ptr 0
		.amdhsa_user_sgpr_kernarg_segment_ptr 1
		.amdhsa_user_sgpr_dispatch_id 0
		.amdhsa_user_sgpr_private_segment_size 0
		.amdhsa_wavefront_size32 1
		.amdhsa_uses_dynamic_stack 0
		.amdhsa_enable_private_segment 0
		.amdhsa_system_sgpr_workgroup_id_x 1
		.amdhsa_system_sgpr_workgroup_id_y 0
		.amdhsa_system_sgpr_workgroup_id_z 0
		.amdhsa_system_sgpr_workgroup_info 0
		.amdhsa_system_vgpr_workitem_id 0
		.amdhsa_next_free_vgpr 1
		.amdhsa_next_free_sgpr 1
		.amdhsa_reserve_vcc 0
		.amdhsa_float_round_mode_32 0
		.amdhsa_float_round_mode_16_64 0
		.amdhsa_float_denorm_mode_32 3
		.amdhsa_float_denorm_mode_16_64 3
		.amdhsa_dx10_clamp 1
		.amdhsa_ieee_mode 1
		.amdhsa_fp16_overflow 0
		.amdhsa_workgroup_processor_mode 1
		.amdhsa_memory_ordered 1
		.amdhsa_forward_progress 0
		.amdhsa_shared_vgpr_count 0
		.amdhsa_exception_fp_ieee_invalid_op 0
		.amdhsa_exception_fp_denorm_src 0
		.amdhsa_exception_fp_ieee_div_zero 0
		.amdhsa_exception_fp_ieee_overflow 0
		.amdhsa_exception_fp_ieee_underflow 0
		.amdhsa_exception_fp_ieee_inexact 0
		.amdhsa_exception_int_div_zero 0
	.end_amdhsa_kernel
	.section	.text._ZN7rocprim17ROCPRIM_400000_NS6detail17trampoline_kernelINS0_14default_configENS1_35adjacent_difference_config_selectorILb1EtEEZNS1_24adjacent_difference_implIS3_Lb1ELb0EPtS7_N6thrust23THRUST_200600_302600_NS5minusItEEEE10hipError_tPvRmT2_T3_mT4_P12ihipStream_tbEUlT_E_NS1_11comp_targetILNS1_3genE5ELNS1_11target_archE942ELNS1_3gpuE9ELNS1_3repE0EEENS1_30default_config_static_selectorELNS0_4arch9wavefront6targetE0EEEvT1_,"axG",@progbits,_ZN7rocprim17ROCPRIM_400000_NS6detail17trampoline_kernelINS0_14default_configENS1_35adjacent_difference_config_selectorILb1EtEEZNS1_24adjacent_difference_implIS3_Lb1ELb0EPtS7_N6thrust23THRUST_200600_302600_NS5minusItEEEE10hipError_tPvRmT2_T3_mT4_P12ihipStream_tbEUlT_E_NS1_11comp_targetILNS1_3genE5ELNS1_11target_archE942ELNS1_3gpuE9ELNS1_3repE0EEENS1_30default_config_static_selectorELNS0_4arch9wavefront6targetE0EEEvT1_,comdat
.Lfunc_end225:
	.size	_ZN7rocprim17ROCPRIM_400000_NS6detail17trampoline_kernelINS0_14default_configENS1_35adjacent_difference_config_selectorILb1EtEEZNS1_24adjacent_difference_implIS3_Lb1ELb0EPtS7_N6thrust23THRUST_200600_302600_NS5minusItEEEE10hipError_tPvRmT2_T3_mT4_P12ihipStream_tbEUlT_E_NS1_11comp_targetILNS1_3genE5ELNS1_11target_archE942ELNS1_3gpuE9ELNS1_3repE0EEENS1_30default_config_static_selectorELNS0_4arch9wavefront6targetE0EEEvT1_, .Lfunc_end225-_ZN7rocprim17ROCPRIM_400000_NS6detail17trampoline_kernelINS0_14default_configENS1_35adjacent_difference_config_selectorILb1EtEEZNS1_24adjacent_difference_implIS3_Lb1ELb0EPtS7_N6thrust23THRUST_200600_302600_NS5minusItEEEE10hipError_tPvRmT2_T3_mT4_P12ihipStream_tbEUlT_E_NS1_11comp_targetILNS1_3genE5ELNS1_11target_archE942ELNS1_3gpuE9ELNS1_3repE0EEENS1_30default_config_static_selectorELNS0_4arch9wavefront6targetE0EEEvT1_
                                        ; -- End function
	.section	.AMDGPU.csdata,"",@progbits
; Kernel info:
; codeLenInByte = 0
; NumSgprs: 0
; NumVgprs: 0
; ScratchSize: 0
; MemoryBound: 0
; FloatMode: 240
; IeeeMode: 1
; LDSByteSize: 0 bytes/workgroup (compile time only)
; SGPRBlocks: 0
; VGPRBlocks: 0
; NumSGPRsForWavesPerEU: 1
; NumVGPRsForWavesPerEU: 1
; Occupancy: 16
; WaveLimiterHint : 0
; COMPUTE_PGM_RSRC2:SCRATCH_EN: 0
; COMPUTE_PGM_RSRC2:USER_SGPR: 15
; COMPUTE_PGM_RSRC2:TRAP_HANDLER: 0
; COMPUTE_PGM_RSRC2:TGID_X_EN: 1
; COMPUTE_PGM_RSRC2:TGID_Y_EN: 0
; COMPUTE_PGM_RSRC2:TGID_Z_EN: 0
; COMPUTE_PGM_RSRC2:TIDIG_COMP_CNT: 0
	.section	.text._ZN7rocprim17ROCPRIM_400000_NS6detail17trampoline_kernelINS0_14default_configENS1_35adjacent_difference_config_selectorILb1EtEEZNS1_24adjacent_difference_implIS3_Lb1ELb0EPtS7_N6thrust23THRUST_200600_302600_NS5minusItEEEE10hipError_tPvRmT2_T3_mT4_P12ihipStream_tbEUlT_E_NS1_11comp_targetILNS1_3genE4ELNS1_11target_archE910ELNS1_3gpuE8ELNS1_3repE0EEENS1_30default_config_static_selectorELNS0_4arch9wavefront6targetE0EEEvT1_,"axG",@progbits,_ZN7rocprim17ROCPRIM_400000_NS6detail17trampoline_kernelINS0_14default_configENS1_35adjacent_difference_config_selectorILb1EtEEZNS1_24adjacent_difference_implIS3_Lb1ELb0EPtS7_N6thrust23THRUST_200600_302600_NS5minusItEEEE10hipError_tPvRmT2_T3_mT4_P12ihipStream_tbEUlT_E_NS1_11comp_targetILNS1_3genE4ELNS1_11target_archE910ELNS1_3gpuE8ELNS1_3repE0EEENS1_30default_config_static_selectorELNS0_4arch9wavefront6targetE0EEEvT1_,comdat
	.protected	_ZN7rocprim17ROCPRIM_400000_NS6detail17trampoline_kernelINS0_14default_configENS1_35adjacent_difference_config_selectorILb1EtEEZNS1_24adjacent_difference_implIS3_Lb1ELb0EPtS7_N6thrust23THRUST_200600_302600_NS5minusItEEEE10hipError_tPvRmT2_T3_mT4_P12ihipStream_tbEUlT_E_NS1_11comp_targetILNS1_3genE4ELNS1_11target_archE910ELNS1_3gpuE8ELNS1_3repE0EEENS1_30default_config_static_selectorELNS0_4arch9wavefront6targetE0EEEvT1_ ; -- Begin function _ZN7rocprim17ROCPRIM_400000_NS6detail17trampoline_kernelINS0_14default_configENS1_35adjacent_difference_config_selectorILb1EtEEZNS1_24adjacent_difference_implIS3_Lb1ELb0EPtS7_N6thrust23THRUST_200600_302600_NS5minusItEEEE10hipError_tPvRmT2_T3_mT4_P12ihipStream_tbEUlT_E_NS1_11comp_targetILNS1_3genE4ELNS1_11target_archE910ELNS1_3gpuE8ELNS1_3repE0EEENS1_30default_config_static_selectorELNS0_4arch9wavefront6targetE0EEEvT1_
	.globl	_ZN7rocprim17ROCPRIM_400000_NS6detail17trampoline_kernelINS0_14default_configENS1_35adjacent_difference_config_selectorILb1EtEEZNS1_24adjacent_difference_implIS3_Lb1ELb0EPtS7_N6thrust23THRUST_200600_302600_NS5minusItEEEE10hipError_tPvRmT2_T3_mT4_P12ihipStream_tbEUlT_E_NS1_11comp_targetILNS1_3genE4ELNS1_11target_archE910ELNS1_3gpuE8ELNS1_3repE0EEENS1_30default_config_static_selectorELNS0_4arch9wavefront6targetE0EEEvT1_
	.p2align	8
	.type	_ZN7rocprim17ROCPRIM_400000_NS6detail17trampoline_kernelINS0_14default_configENS1_35adjacent_difference_config_selectorILb1EtEEZNS1_24adjacent_difference_implIS3_Lb1ELb0EPtS7_N6thrust23THRUST_200600_302600_NS5minusItEEEE10hipError_tPvRmT2_T3_mT4_P12ihipStream_tbEUlT_E_NS1_11comp_targetILNS1_3genE4ELNS1_11target_archE910ELNS1_3gpuE8ELNS1_3repE0EEENS1_30default_config_static_selectorELNS0_4arch9wavefront6targetE0EEEvT1_,@function
_ZN7rocprim17ROCPRIM_400000_NS6detail17trampoline_kernelINS0_14default_configENS1_35adjacent_difference_config_selectorILb1EtEEZNS1_24adjacent_difference_implIS3_Lb1ELb0EPtS7_N6thrust23THRUST_200600_302600_NS5minusItEEEE10hipError_tPvRmT2_T3_mT4_P12ihipStream_tbEUlT_E_NS1_11comp_targetILNS1_3genE4ELNS1_11target_archE910ELNS1_3gpuE8ELNS1_3repE0EEENS1_30default_config_static_selectorELNS0_4arch9wavefront6targetE0EEEvT1_: ; @_ZN7rocprim17ROCPRIM_400000_NS6detail17trampoline_kernelINS0_14default_configENS1_35adjacent_difference_config_selectorILb1EtEEZNS1_24adjacent_difference_implIS3_Lb1ELb0EPtS7_N6thrust23THRUST_200600_302600_NS5minusItEEEE10hipError_tPvRmT2_T3_mT4_P12ihipStream_tbEUlT_E_NS1_11comp_targetILNS1_3genE4ELNS1_11target_archE910ELNS1_3gpuE8ELNS1_3repE0EEENS1_30default_config_static_selectorELNS0_4arch9wavefront6targetE0EEEvT1_
; %bb.0:
	.section	.rodata,"a",@progbits
	.p2align	6, 0x0
	.amdhsa_kernel _ZN7rocprim17ROCPRIM_400000_NS6detail17trampoline_kernelINS0_14default_configENS1_35adjacent_difference_config_selectorILb1EtEEZNS1_24adjacent_difference_implIS3_Lb1ELb0EPtS7_N6thrust23THRUST_200600_302600_NS5minusItEEEE10hipError_tPvRmT2_T3_mT4_P12ihipStream_tbEUlT_E_NS1_11comp_targetILNS1_3genE4ELNS1_11target_archE910ELNS1_3gpuE8ELNS1_3repE0EEENS1_30default_config_static_selectorELNS0_4arch9wavefront6targetE0EEEvT1_
		.amdhsa_group_segment_fixed_size 0
		.amdhsa_private_segment_fixed_size 0
		.amdhsa_kernarg_size 56
		.amdhsa_user_sgpr_count 15
		.amdhsa_user_sgpr_dispatch_ptr 0
		.amdhsa_user_sgpr_queue_ptr 0
		.amdhsa_user_sgpr_kernarg_segment_ptr 1
		.amdhsa_user_sgpr_dispatch_id 0
		.amdhsa_user_sgpr_private_segment_size 0
		.amdhsa_wavefront_size32 1
		.amdhsa_uses_dynamic_stack 0
		.amdhsa_enable_private_segment 0
		.amdhsa_system_sgpr_workgroup_id_x 1
		.amdhsa_system_sgpr_workgroup_id_y 0
		.amdhsa_system_sgpr_workgroup_id_z 0
		.amdhsa_system_sgpr_workgroup_info 0
		.amdhsa_system_vgpr_workitem_id 0
		.amdhsa_next_free_vgpr 1
		.amdhsa_next_free_sgpr 1
		.amdhsa_reserve_vcc 0
		.amdhsa_float_round_mode_32 0
		.amdhsa_float_round_mode_16_64 0
		.amdhsa_float_denorm_mode_32 3
		.amdhsa_float_denorm_mode_16_64 3
		.amdhsa_dx10_clamp 1
		.amdhsa_ieee_mode 1
		.amdhsa_fp16_overflow 0
		.amdhsa_workgroup_processor_mode 1
		.amdhsa_memory_ordered 1
		.amdhsa_forward_progress 0
		.amdhsa_shared_vgpr_count 0
		.amdhsa_exception_fp_ieee_invalid_op 0
		.amdhsa_exception_fp_denorm_src 0
		.amdhsa_exception_fp_ieee_div_zero 0
		.amdhsa_exception_fp_ieee_overflow 0
		.amdhsa_exception_fp_ieee_underflow 0
		.amdhsa_exception_fp_ieee_inexact 0
		.amdhsa_exception_int_div_zero 0
	.end_amdhsa_kernel
	.section	.text._ZN7rocprim17ROCPRIM_400000_NS6detail17trampoline_kernelINS0_14default_configENS1_35adjacent_difference_config_selectorILb1EtEEZNS1_24adjacent_difference_implIS3_Lb1ELb0EPtS7_N6thrust23THRUST_200600_302600_NS5minusItEEEE10hipError_tPvRmT2_T3_mT4_P12ihipStream_tbEUlT_E_NS1_11comp_targetILNS1_3genE4ELNS1_11target_archE910ELNS1_3gpuE8ELNS1_3repE0EEENS1_30default_config_static_selectorELNS0_4arch9wavefront6targetE0EEEvT1_,"axG",@progbits,_ZN7rocprim17ROCPRIM_400000_NS6detail17trampoline_kernelINS0_14default_configENS1_35adjacent_difference_config_selectorILb1EtEEZNS1_24adjacent_difference_implIS3_Lb1ELb0EPtS7_N6thrust23THRUST_200600_302600_NS5minusItEEEE10hipError_tPvRmT2_T3_mT4_P12ihipStream_tbEUlT_E_NS1_11comp_targetILNS1_3genE4ELNS1_11target_archE910ELNS1_3gpuE8ELNS1_3repE0EEENS1_30default_config_static_selectorELNS0_4arch9wavefront6targetE0EEEvT1_,comdat
.Lfunc_end226:
	.size	_ZN7rocprim17ROCPRIM_400000_NS6detail17trampoline_kernelINS0_14default_configENS1_35adjacent_difference_config_selectorILb1EtEEZNS1_24adjacent_difference_implIS3_Lb1ELb0EPtS7_N6thrust23THRUST_200600_302600_NS5minusItEEEE10hipError_tPvRmT2_T3_mT4_P12ihipStream_tbEUlT_E_NS1_11comp_targetILNS1_3genE4ELNS1_11target_archE910ELNS1_3gpuE8ELNS1_3repE0EEENS1_30default_config_static_selectorELNS0_4arch9wavefront6targetE0EEEvT1_, .Lfunc_end226-_ZN7rocprim17ROCPRIM_400000_NS6detail17trampoline_kernelINS0_14default_configENS1_35adjacent_difference_config_selectorILb1EtEEZNS1_24adjacent_difference_implIS3_Lb1ELb0EPtS7_N6thrust23THRUST_200600_302600_NS5minusItEEEE10hipError_tPvRmT2_T3_mT4_P12ihipStream_tbEUlT_E_NS1_11comp_targetILNS1_3genE4ELNS1_11target_archE910ELNS1_3gpuE8ELNS1_3repE0EEENS1_30default_config_static_selectorELNS0_4arch9wavefront6targetE0EEEvT1_
                                        ; -- End function
	.section	.AMDGPU.csdata,"",@progbits
; Kernel info:
; codeLenInByte = 0
; NumSgprs: 0
; NumVgprs: 0
; ScratchSize: 0
; MemoryBound: 0
; FloatMode: 240
; IeeeMode: 1
; LDSByteSize: 0 bytes/workgroup (compile time only)
; SGPRBlocks: 0
; VGPRBlocks: 0
; NumSGPRsForWavesPerEU: 1
; NumVGPRsForWavesPerEU: 1
; Occupancy: 16
; WaveLimiterHint : 0
; COMPUTE_PGM_RSRC2:SCRATCH_EN: 0
; COMPUTE_PGM_RSRC2:USER_SGPR: 15
; COMPUTE_PGM_RSRC2:TRAP_HANDLER: 0
; COMPUTE_PGM_RSRC2:TGID_X_EN: 1
; COMPUTE_PGM_RSRC2:TGID_Y_EN: 0
; COMPUTE_PGM_RSRC2:TGID_Z_EN: 0
; COMPUTE_PGM_RSRC2:TIDIG_COMP_CNT: 0
	.section	.text._ZN7rocprim17ROCPRIM_400000_NS6detail17trampoline_kernelINS0_14default_configENS1_35adjacent_difference_config_selectorILb1EtEEZNS1_24adjacent_difference_implIS3_Lb1ELb0EPtS7_N6thrust23THRUST_200600_302600_NS5minusItEEEE10hipError_tPvRmT2_T3_mT4_P12ihipStream_tbEUlT_E_NS1_11comp_targetILNS1_3genE3ELNS1_11target_archE908ELNS1_3gpuE7ELNS1_3repE0EEENS1_30default_config_static_selectorELNS0_4arch9wavefront6targetE0EEEvT1_,"axG",@progbits,_ZN7rocprim17ROCPRIM_400000_NS6detail17trampoline_kernelINS0_14default_configENS1_35adjacent_difference_config_selectorILb1EtEEZNS1_24adjacent_difference_implIS3_Lb1ELb0EPtS7_N6thrust23THRUST_200600_302600_NS5minusItEEEE10hipError_tPvRmT2_T3_mT4_P12ihipStream_tbEUlT_E_NS1_11comp_targetILNS1_3genE3ELNS1_11target_archE908ELNS1_3gpuE7ELNS1_3repE0EEENS1_30default_config_static_selectorELNS0_4arch9wavefront6targetE0EEEvT1_,comdat
	.protected	_ZN7rocprim17ROCPRIM_400000_NS6detail17trampoline_kernelINS0_14default_configENS1_35adjacent_difference_config_selectorILb1EtEEZNS1_24adjacent_difference_implIS3_Lb1ELb0EPtS7_N6thrust23THRUST_200600_302600_NS5minusItEEEE10hipError_tPvRmT2_T3_mT4_P12ihipStream_tbEUlT_E_NS1_11comp_targetILNS1_3genE3ELNS1_11target_archE908ELNS1_3gpuE7ELNS1_3repE0EEENS1_30default_config_static_selectorELNS0_4arch9wavefront6targetE0EEEvT1_ ; -- Begin function _ZN7rocprim17ROCPRIM_400000_NS6detail17trampoline_kernelINS0_14default_configENS1_35adjacent_difference_config_selectorILb1EtEEZNS1_24adjacent_difference_implIS3_Lb1ELb0EPtS7_N6thrust23THRUST_200600_302600_NS5minusItEEEE10hipError_tPvRmT2_T3_mT4_P12ihipStream_tbEUlT_E_NS1_11comp_targetILNS1_3genE3ELNS1_11target_archE908ELNS1_3gpuE7ELNS1_3repE0EEENS1_30default_config_static_selectorELNS0_4arch9wavefront6targetE0EEEvT1_
	.globl	_ZN7rocprim17ROCPRIM_400000_NS6detail17trampoline_kernelINS0_14default_configENS1_35adjacent_difference_config_selectorILb1EtEEZNS1_24adjacent_difference_implIS3_Lb1ELb0EPtS7_N6thrust23THRUST_200600_302600_NS5minusItEEEE10hipError_tPvRmT2_T3_mT4_P12ihipStream_tbEUlT_E_NS1_11comp_targetILNS1_3genE3ELNS1_11target_archE908ELNS1_3gpuE7ELNS1_3repE0EEENS1_30default_config_static_selectorELNS0_4arch9wavefront6targetE0EEEvT1_
	.p2align	8
	.type	_ZN7rocprim17ROCPRIM_400000_NS6detail17trampoline_kernelINS0_14default_configENS1_35adjacent_difference_config_selectorILb1EtEEZNS1_24adjacent_difference_implIS3_Lb1ELb0EPtS7_N6thrust23THRUST_200600_302600_NS5minusItEEEE10hipError_tPvRmT2_T3_mT4_P12ihipStream_tbEUlT_E_NS1_11comp_targetILNS1_3genE3ELNS1_11target_archE908ELNS1_3gpuE7ELNS1_3repE0EEENS1_30default_config_static_selectorELNS0_4arch9wavefront6targetE0EEEvT1_,@function
_ZN7rocprim17ROCPRIM_400000_NS6detail17trampoline_kernelINS0_14default_configENS1_35adjacent_difference_config_selectorILb1EtEEZNS1_24adjacent_difference_implIS3_Lb1ELb0EPtS7_N6thrust23THRUST_200600_302600_NS5minusItEEEE10hipError_tPvRmT2_T3_mT4_P12ihipStream_tbEUlT_E_NS1_11comp_targetILNS1_3genE3ELNS1_11target_archE908ELNS1_3gpuE7ELNS1_3repE0EEENS1_30default_config_static_selectorELNS0_4arch9wavefront6targetE0EEEvT1_: ; @_ZN7rocprim17ROCPRIM_400000_NS6detail17trampoline_kernelINS0_14default_configENS1_35adjacent_difference_config_selectorILb1EtEEZNS1_24adjacent_difference_implIS3_Lb1ELb0EPtS7_N6thrust23THRUST_200600_302600_NS5minusItEEEE10hipError_tPvRmT2_T3_mT4_P12ihipStream_tbEUlT_E_NS1_11comp_targetILNS1_3genE3ELNS1_11target_archE908ELNS1_3gpuE7ELNS1_3repE0EEENS1_30default_config_static_selectorELNS0_4arch9wavefront6targetE0EEEvT1_
; %bb.0:
	.section	.rodata,"a",@progbits
	.p2align	6, 0x0
	.amdhsa_kernel _ZN7rocprim17ROCPRIM_400000_NS6detail17trampoline_kernelINS0_14default_configENS1_35adjacent_difference_config_selectorILb1EtEEZNS1_24adjacent_difference_implIS3_Lb1ELb0EPtS7_N6thrust23THRUST_200600_302600_NS5minusItEEEE10hipError_tPvRmT2_T3_mT4_P12ihipStream_tbEUlT_E_NS1_11comp_targetILNS1_3genE3ELNS1_11target_archE908ELNS1_3gpuE7ELNS1_3repE0EEENS1_30default_config_static_selectorELNS0_4arch9wavefront6targetE0EEEvT1_
		.amdhsa_group_segment_fixed_size 0
		.amdhsa_private_segment_fixed_size 0
		.amdhsa_kernarg_size 56
		.amdhsa_user_sgpr_count 15
		.amdhsa_user_sgpr_dispatch_ptr 0
		.amdhsa_user_sgpr_queue_ptr 0
		.amdhsa_user_sgpr_kernarg_segment_ptr 1
		.amdhsa_user_sgpr_dispatch_id 0
		.amdhsa_user_sgpr_private_segment_size 0
		.amdhsa_wavefront_size32 1
		.amdhsa_uses_dynamic_stack 0
		.amdhsa_enable_private_segment 0
		.amdhsa_system_sgpr_workgroup_id_x 1
		.amdhsa_system_sgpr_workgroup_id_y 0
		.amdhsa_system_sgpr_workgroup_id_z 0
		.amdhsa_system_sgpr_workgroup_info 0
		.amdhsa_system_vgpr_workitem_id 0
		.amdhsa_next_free_vgpr 1
		.amdhsa_next_free_sgpr 1
		.amdhsa_reserve_vcc 0
		.amdhsa_float_round_mode_32 0
		.amdhsa_float_round_mode_16_64 0
		.amdhsa_float_denorm_mode_32 3
		.amdhsa_float_denorm_mode_16_64 3
		.amdhsa_dx10_clamp 1
		.amdhsa_ieee_mode 1
		.amdhsa_fp16_overflow 0
		.amdhsa_workgroup_processor_mode 1
		.amdhsa_memory_ordered 1
		.amdhsa_forward_progress 0
		.amdhsa_shared_vgpr_count 0
		.amdhsa_exception_fp_ieee_invalid_op 0
		.amdhsa_exception_fp_denorm_src 0
		.amdhsa_exception_fp_ieee_div_zero 0
		.amdhsa_exception_fp_ieee_overflow 0
		.amdhsa_exception_fp_ieee_underflow 0
		.amdhsa_exception_fp_ieee_inexact 0
		.amdhsa_exception_int_div_zero 0
	.end_amdhsa_kernel
	.section	.text._ZN7rocprim17ROCPRIM_400000_NS6detail17trampoline_kernelINS0_14default_configENS1_35adjacent_difference_config_selectorILb1EtEEZNS1_24adjacent_difference_implIS3_Lb1ELb0EPtS7_N6thrust23THRUST_200600_302600_NS5minusItEEEE10hipError_tPvRmT2_T3_mT4_P12ihipStream_tbEUlT_E_NS1_11comp_targetILNS1_3genE3ELNS1_11target_archE908ELNS1_3gpuE7ELNS1_3repE0EEENS1_30default_config_static_selectorELNS0_4arch9wavefront6targetE0EEEvT1_,"axG",@progbits,_ZN7rocprim17ROCPRIM_400000_NS6detail17trampoline_kernelINS0_14default_configENS1_35adjacent_difference_config_selectorILb1EtEEZNS1_24adjacent_difference_implIS3_Lb1ELb0EPtS7_N6thrust23THRUST_200600_302600_NS5minusItEEEE10hipError_tPvRmT2_T3_mT4_P12ihipStream_tbEUlT_E_NS1_11comp_targetILNS1_3genE3ELNS1_11target_archE908ELNS1_3gpuE7ELNS1_3repE0EEENS1_30default_config_static_selectorELNS0_4arch9wavefront6targetE0EEEvT1_,comdat
.Lfunc_end227:
	.size	_ZN7rocprim17ROCPRIM_400000_NS6detail17trampoline_kernelINS0_14default_configENS1_35adjacent_difference_config_selectorILb1EtEEZNS1_24adjacent_difference_implIS3_Lb1ELb0EPtS7_N6thrust23THRUST_200600_302600_NS5minusItEEEE10hipError_tPvRmT2_T3_mT4_P12ihipStream_tbEUlT_E_NS1_11comp_targetILNS1_3genE3ELNS1_11target_archE908ELNS1_3gpuE7ELNS1_3repE0EEENS1_30default_config_static_selectorELNS0_4arch9wavefront6targetE0EEEvT1_, .Lfunc_end227-_ZN7rocprim17ROCPRIM_400000_NS6detail17trampoline_kernelINS0_14default_configENS1_35adjacent_difference_config_selectorILb1EtEEZNS1_24adjacent_difference_implIS3_Lb1ELb0EPtS7_N6thrust23THRUST_200600_302600_NS5minusItEEEE10hipError_tPvRmT2_T3_mT4_P12ihipStream_tbEUlT_E_NS1_11comp_targetILNS1_3genE3ELNS1_11target_archE908ELNS1_3gpuE7ELNS1_3repE0EEENS1_30default_config_static_selectorELNS0_4arch9wavefront6targetE0EEEvT1_
                                        ; -- End function
	.section	.AMDGPU.csdata,"",@progbits
; Kernel info:
; codeLenInByte = 0
; NumSgprs: 0
; NumVgprs: 0
; ScratchSize: 0
; MemoryBound: 0
; FloatMode: 240
; IeeeMode: 1
; LDSByteSize: 0 bytes/workgroup (compile time only)
; SGPRBlocks: 0
; VGPRBlocks: 0
; NumSGPRsForWavesPerEU: 1
; NumVGPRsForWavesPerEU: 1
; Occupancy: 16
; WaveLimiterHint : 0
; COMPUTE_PGM_RSRC2:SCRATCH_EN: 0
; COMPUTE_PGM_RSRC2:USER_SGPR: 15
; COMPUTE_PGM_RSRC2:TRAP_HANDLER: 0
; COMPUTE_PGM_RSRC2:TGID_X_EN: 1
; COMPUTE_PGM_RSRC2:TGID_Y_EN: 0
; COMPUTE_PGM_RSRC2:TGID_Z_EN: 0
; COMPUTE_PGM_RSRC2:TIDIG_COMP_CNT: 0
	.section	.text._ZN7rocprim17ROCPRIM_400000_NS6detail17trampoline_kernelINS0_14default_configENS1_35adjacent_difference_config_selectorILb1EtEEZNS1_24adjacent_difference_implIS3_Lb1ELb0EPtS7_N6thrust23THRUST_200600_302600_NS5minusItEEEE10hipError_tPvRmT2_T3_mT4_P12ihipStream_tbEUlT_E_NS1_11comp_targetILNS1_3genE2ELNS1_11target_archE906ELNS1_3gpuE6ELNS1_3repE0EEENS1_30default_config_static_selectorELNS0_4arch9wavefront6targetE0EEEvT1_,"axG",@progbits,_ZN7rocprim17ROCPRIM_400000_NS6detail17trampoline_kernelINS0_14default_configENS1_35adjacent_difference_config_selectorILb1EtEEZNS1_24adjacent_difference_implIS3_Lb1ELb0EPtS7_N6thrust23THRUST_200600_302600_NS5minusItEEEE10hipError_tPvRmT2_T3_mT4_P12ihipStream_tbEUlT_E_NS1_11comp_targetILNS1_3genE2ELNS1_11target_archE906ELNS1_3gpuE6ELNS1_3repE0EEENS1_30default_config_static_selectorELNS0_4arch9wavefront6targetE0EEEvT1_,comdat
	.protected	_ZN7rocprim17ROCPRIM_400000_NS6detail17trampoline_kernelINS0_14default_configENS1_35adjacent_difference_config_selectorILb1EtEEZNS1_24adjacent_difference_implIS3_Lb1ELb0EPtS7_N6thrust23THRUST_200600_302600_NS5minusItEEEE10hipError_tPvRmT2_T3_mT4_P12ihipStream_tbEUlT_E_NS1_11comp_targetILNS1_3genE2ELNS1_11target_archE906ELNS1_3gpuE6ELNS1_3repE0EEENS1_30default_config_static_selectorELNS0_4arch9wavefront6targetE0EEEvT1_ ; -- Begin function _ZN7rocprim17ROCPRIM_400000_NS6detail17trampoline_kernelINS0_14default_configENS1_35adjacent_difference_config_selectorILb1EtEEZNS1_24adjacent_difference_implIS3_Lb1ELb0EPtS7_N6thrust23THRUST_200600_302600_NS5minusItEEEE10hipError_tPvRmT2_T3_mT4_P12ihipStream_tbEUlT_E_NS1_11comp_targetILNS1_3genE2ELNS1_11target_archE906ELNS1_3gpuE6ELNS1_3repE0EEENS1_30default_config_static_selectorELNS0_4arch9wavefront6targetE0EEEvT1_
	.globl	_ZN7rocprim17ROCPRIM_400000_NS6detail17trampoline_kernelINS0_14default_configENS1_35adjacent_difference_config_selectorILb1EtEEZNS1_24adjacent_difference_implIS3_Lb1ELb0EPtS7_N6thrust23THRUST_200600_302600_NS5minusItEEEE10hipError_tPvRmT2_T3_mT4_P12ihipStream_tbEUlT_E_NS1_11comp_targetILNS1_3genE2ELNS1_11target_archE906ELNS1_3gpuE6ELNS1_3repE0EEENS1_30default_config_static_selectorELNS0_4arch9wavefront6targetE0EEEvT1_
	.p2align	8
	.type	_ZN7rocprim17ROCPRIM_400000_NS6detail17trampoline_kernelINS0_14default_configENS1_35adjacent_difference_config_selectorILb1EtEEZNS1_24adjacent_difference_implIS3_Lb1ELb0EPtS7_N6thrust23THRUST_200600_302600_NS5minusItEEEE10hipError_tPvRmT2_T3_mT4_P12ihipStream_tbEUlT_E_NS1_11comp_targetILNS1_3genE2ELNS1_11target_archE906ELNS1_3gpuE6ELNS1_3repE0EEENS1_30default_config_static_selectorELNS0_4arch9wavefront6targetE0EEEvT1_,@function
_ZN7rocprim17ROCPRIM_400000_NS6detail17trampoline_kernelINS0_14default_configENS1_35adjacent_difference_config_selectorILb1EtEEZNS1_24adjacent_difference_implIS3_Lb1ELb0EPtS7_N6thrust23THRUST_200600_302600_NS5minusItEEEE10hipError_tPvRmT2_T3_mT4_P12ihipStream_tbEUlT_E_NS1_11comp_targetILNS1_3genE2ELNS1_11target_archE906ELNS1_3gpuE6ELNS1_3repE0EEENS1_30default_config_static_selectorELNS0_4arch9wavefront6targetE0EEEvT1_: ; @_ZN7rocprim17ROCPRIM_400000_NS6detail17trampoline_kernelINS0_14default_configENS1_35adjacent_difference_config_selectorILb1EtEEZNS1_24adjacent_difference_implIS3_Lb1ELb0EPtS7_N6thrust23THRUST_200600_302600_NS5minusItEEEE10hipError_tPvRmT2_T3_mT4_P12ihipStream_tbEUlT_E_NS1_11comp_targetILNS1_3genE2ELNS1_11target_archE906ELNS1_3gpuE6ELNS1_3repE0EEENS1_30default_config_static_selectorELNS0_4arch9wavefront6targetE0EEEvT1_
; %bb.0:
	.section	.rodata,"a",@progbits
	.p2align	6, 0x0
	.amdhsa_kernel _ZN7rocprim17ROCPRIM_400000_NS6detail17trampoline_kernelINS0_14default_configENS1_35adjacent_difference_config_selectorILb1EtEEZNS1_24adjacent_difference_implIS3_Lb1ELb0EPtS7_N6thrust23THRUST_200600_302600_NS5minusItEEEE10hipError_tPvRmT2_T3_mT4_P12ihipStream_tbEUlT_E_NS1_11comp_targetILNS1_3genE2ELNS1_11target_archE906ELNS1_3gpuE6ELNS1_3repE0EEENS1_30default_config_static_selectorELNS0_4arch9wavefront6targetE0EEEvT1_
		.amdhsa_group_segment_fixed_size 0
		.amdhsa_private_segment_fixed_size 0
		.amdhsa_kernarg_size 56
		.amdhsa_user_sgpr_count 15
		.amdhsa_user_sgpr_dispatch_ptr 0
		.amdhsa_user_sgpr_queue_ptr 0
		.amdhsa_user_sgpr_kernarg_segment_ptr 1
		.amdhsa_user_sgpr_dispatch_id 0
		.amdhsa_user_sgpr_private_segment_size 0
		.amdhsa_wavefront_size32 1
		.amdhsa_uses_dynamic_stack 0
		.amdhsa_enable_private_segment 0
		.amdhsa_system_sgpr_workgroup_id_x 1
		.amdhsa_system_sgpr_workgroup_id_y 0
		.amdhsa_system_sgpr_workgroup_id_z 0
		.amdhsa_system_sgpr_workgroup_info 0
		.amdhsa_system_vgpr_workitem_id 0
		.amdhsa_next_free_vgpr 1
		.amdhsa_next_free_sgpr 1
		.amdhsa_reserve_vcc 0
		.amdhsa_float_round_mode_32 0
		.amdhsa_float_round_mode_16_64 0
		.amdhsa_float_denorm_mode_32 3
		.amdhsa_float_denorm_mode_16_64 3
		.amdhsa_dx10_clamp 1
		.amdhsa_ieee_mode 1
		.amdhsa_fp16_overflow 0
		.amdhsa_workgroup_processor_mode 1
		.amdhsa_memory_ordered 1
		.amdhsa_forward_progress 0
		.amdhsa_shared_vgpr_count 0
		.amdhsa_exception_fp_ieee_invalid_op 0
		.amdhsa_exception_fp_denorm_src 0
		.amdhsa_exception_fp_ieee_div_zero 0
		.amdhsa_exception_fp_ieee_overflow 0
		.amdhsa_exception_fp_ieee_underflow 0
		.amdhsa_exception_fp_ieee_inexact 0
		.amdhsa_exception_int_div_zero 0
	.end_amdhsa_kernel
	.section	.text._ZN7rocprim17ROCPRIM_400000_NS6detail17trampoline_kernelINS0_14default_configENS1_35adjacent_difference_config_selectorILb1EtEEZNS1_24adjacent_difference_implIS3_Lb1ELb0EPtS7_N6thrust23THRUST_200600_302600_NS5minusItEEEE10hipError_tPvRmT2_T3_mT4_P12ihipStream_tbEUlT_E_NS1_11comp_targetILNS1_3genE2ELNS1_11target_archE906ELNS1_3gpuE6ELNS1_3repE0EEENS1_30default_config_static_selectorELNS0_4arch9wavefront6targetE0EEEvT1_,"axG",@progbits,_ZN7rocprim17ROCPRIM_400000_NS6detail17trampoline_kernelINS0_14default_configENS1_35adjacent_difference_config_selectorILb1EtEEZNS1_24adjacent_difference_implIS3_Lb1ELb0EPtS7_N6thrust23THRUST_200600_302600_NS5minusItEEEE10hipError_tPvRmT2_T3_mT4_P12ihipStream_tbEUlT_E_NS1_11comp_targetILNS1_3genE2ELNS1_11target_archE906ELNS1_3gpuE6ELNS1_3repE0EEENS1_30default_config_static_selectorELNS0_4arch9wavefront6targetE0EEEvT1_,comdat
.Lfunc_end228:
	.size	_ZN7rocprim17ROCPRIM_400000_NS6detail17trampoline_kernelINS0_14default_configENS1_35adjacent_difference_config_selectorILb1EtEEZNS1_24adjacent_difference_implIS3_Lb1ELb0EPtS7_N6thrust23THRUST_200600_302600_NS5minusItEEEE10hipError_tPvRmT2_T3_mT4_P12ihipStream_tbEUlT_E_NS1_11comp_targetILNS1_3genE2ELNS1_11target_archE906ELNS1_3gpuE6ELNS1_3repE0EEENS1_30default_config_static_selectorELNS0_4arch9wavefront6targetE0EEEvT1_, .Lfunc_end228-_ZN7rocprim17ROCPRIM_400000_NS6detail17trampoline_kernelINS0_14default_configENS1_35adjacent_difference_config_selectorILb1EtEEZNS1_24adjacent_difference_implIS3_Lb1ELb0EPtS7_N6thrust23THRUST_200600_302600_NS5minusItEEEE10hipError_tPvRmT2_T3_mT4_P12ihipStream_tbEUlT_E_NS1_11comp_targetILNS1_3genE2ELNS1_11target_archE906ELNS1_3gpuE6ELNS1_3repE0EEENS1_30default_config_static_selectorELNS0_4arch9wavefront6targetE0EEEvT1_
                                        ; -- End function
	.section	.AMDGPU.csdata,"",@progbits
; Kernel info:
; codeLenInByte = 0
; NumSgprs: 0
; NumVgprs: 0
; ScratchSize: 0
; MemoryBound: 0
; FloatMode: 240
; IeeeMode: 1
; LDSByteSize: 0 bytes/workgroup (compile time only)
; SGPRBlocks: 0
; VGPRBlocks: 0
; NumSGPRsForWavesPerEU: 1
; NumVGPRsForWavesPerEU: 1
; Occupancy: 16
; WaveLimiterHint : 0
; COMPUTE_PGM_RSRC2:SCRATCH_EN: 0
; COMPUTE_PGM_RSRC2:USER_SGPR: 15
; COMPUTE_PGM_RSRC2:TRAP_HANDLER: 0
; COMPUTE_PGM_RSRC2:TGID_X_EN: 1
; COMPUTE_PGM_RSRC2:TGID_Y_EN: 0
; COMPUTE_PGM_RSRC2:TGID_Z_EN: 0
; COMPUTE_PGM_RSRC2:TIDIG_COMP_CNT: 0
	.section	.text._ZN7rocprim17ROCPRIM_400000_NS6detail17trampoline_kernelINS0_14default_configENS1_35adjacent_difference_config_selectorILb1EtEEZNS1_24adjacent_difference_implIS3_Lb1ELb0EPtS7_N6thrust23THRUST_200600_302600_NS5minusItEEEE10hipError_tPvRmT2_T3_mT4_P12ihipStream_tbEUlT_E_NS1_11comp_targetILNS1_3genE9ELNS1_11target_archE1100ELNS1_3gpuE3ELNS1_3repE0EEENS1_30default_config_static_selectorELNS0_4arch9wavefront6targetE0EEEvT1_,"axG",@progbits,_ZN7rocprim17ROCPRIM_400000_NS6detail17trampoline_kernelINS0_14default_configENS1_35adjacent_difference_config_selectorILb1EtEEZNS1_24adjacent_difference_implIS3_Lb1ELb0EPtS7_N6thrust23THRUST_200600_302600_NS5minusItEEEE10hipError_tPvRmT2_T3_mT4_P12ihipStream_tbEUlT_E_NS1_11comp_targetILNS1_3genE9ELNS1_11target_archE1100ELNS1_3gpuE3ELNS1_3repE0EEENS1_30default_config_static_selectorELNS0_4arch9wavefront6targetE0EEEvT1_,comdat
	.protected	_ZN7rocprim17ROCPRIM_400000_NS6detail17trampoline_kernelINS0_14default_configENS1_35adjacent_difference_config_selectorILb1EtEEZNS1_24adjacent_difference_implIS3_Lb1ELb0EPtS7_N6thrust23THRUST_200600_302600_NS5minusItEEEE10hipError_tPvRmT2_T3_mT4_P12ihipStream_tbEUlT_E_NS1_11comp_targetILNS1_3genE9ELNS1_11target_archE1100ELNS1_3gpuE3ELNS1_3repE0EEENS1_30default_config_static_selectorELNS0_4arch9wavefront6targetE0EEEvT1_ ; -- Begin function _ZN7rocprim17ROCPRIM_400000_NS6detail17trampoline_kernelINS0_14default_configENS1_35adjacent_difference_config_selectorILb1EtEEZNS1_24adjacent_difference_implIS3_Lb1ELb0EPtS7_N6thrust23THRUST_200600_302600_NS5minusItEEEE10hipError_tPvRmT2_T3_mT4_P12ihipStream_tbEUlT_E_NS1_11comp_targetILNS1_3genE9ELNS1_11target_archE1100ELNS1_3gpuE3ELNS1_3repE0EEENS1_30default_config_static_selectorELNS0_4arch9wavefront6targetE0EEEvT1_
	.globl	_ZN7rocprim17ROCPRIM_400000_NS6detail17trampoline_kernelINS0_14default_configENS1_35adjacent_difference_config_selectorILb1EtEEZNS1_24adjacent_difference_implIS3_Lb1ELb0EPtS7_N6thrust23THRUST_200600_302600_NS5minusItEEEE10hipError_tPvRmT2_T3_mT4_P12ihipStream_tbEUlT_E_NS1_11comp_targetILNS1_3genE9ELNS1_11target_archE1100ELNS1_3gpuE3ELNS1_3repE0EEENS1_30default_config_static_selectorELNS0_4arch9wavefront6targetE0EEEvT1_
	.p2align	8
	.type	_ZN7rocprim17ROCPRIM_400000_NS6detail17trampoline_kernelINS0_14default_configENS1_35adjacent_difference_config_selectorILb1EtEEZNS1_24adjacent_difference_implIS3_Lb1ELb0EPtS7_N6thrust23THRUST_200600_302600_NS5minusItEEEE10hipError_tPvRmT2_T3_mT4_P12ihipStream_tbEUlT_E_NS1_11comp_targetILNS1_3genE9ELNS1_11target_archE1100ELNS1_3gpuE3ELNS1_3repE0EEENS1_30default_config_static_selectorELNS0_4arch9wavefront6targetE0EEEvT1_,@function
_ZN7rocprim17ROCPRIM_400000_NS6detail17trampoline_kernelINS0_14default_configENS1_35adjacent_difference_config_selectorILb1EtEEZNS1_24adjacent_difference_implIS3_Lb1ELb0EPtS7_N6thrust23THRUST_200600_302600_NS5minusItEEEE10hipError_tPvRmT2_T3_mT4_P12ihipStream_tbEUlT_E_NS1_11comp_targetILNS1_3genE9ELNS1_11target_archE1100ELNS1_3gpuE3ELNS1_3repE0EEENS1_30default_config_static_selectorELNS0_4arch9wavefront6targetE0EEEvT1_: ; @_ZN7rocprim17ROCPRIM_400000_NS6detail17trampoline_kernelINS0_14default_configENS1_35adjacent_difference_config_selectorILb1EtEEZNS1_24adjacent_difference_implIS3_Lb1ELb0EPtS7_N6thrust23THRUST_200600_302600_NS5minusItEEEE10hipError_tPvRmT2_T3_mT4_P12ihipStream_tbEUlT_E_NS1_11comp_targetILNS1_3genE9ELNS1_11target_archE1100ELNS1_3gpuE3ELNS1_3repE0EEENS1_30default_config_static_selectorELNS0_4arch9wavefront6targetE0EEEvT1_
; %bb.0:
	s_load_b256 s[16:23], s[0:1], 0x0
	s_mov_b32 s8, s15
	s_delay_alu instid0(SALU_CYCLE_1) | instskip(SKIP_2) | instid1(SALU_CYCLE_1)
	s_mul_i32 s24, s8, 0xb80
	s_waitcnt lgkmcnt(0)
	s_lshl_b64 s[26:27], s[18:19], 1
	s_add_u32 s14, s16, s26
	s_addc_u32 s15, s17, s27
	s_add_u32 s2, 0, 0x590b2000
	s_addc_u32 s3, 0, 0
	s_mul_hi_u32 s5, s2, 0xfffff480
	s_add_i32 s3, s3, 0x1642c8
	s_sub_i32 s5, s5, s2
	s_mul_i32 s7, s3, 0xfffff480
	s_mul_i32 s4, s2, 0xfffff480
	s_add_i32 s5, s5, s7
	s_mul_hi_u32 s6, s2, s4
	s_mul_i32 s10, s2, s5
	s_mul_hi_u32 s7, s2, s5
	s_mul_hi_u32 s9, s3, s4
	s_mul_i32 s4, s3, s4
	s_add_u32 s6, s6, s10
	s_addc_u32 s7, 0, s7
	s_mul_hi_u32 s11, s3, s5
	s_add_u32 s4, s6, s4
	s_mul_i32 s5, s3, s5
	s_addc_u32 s4, s7, s9
	s_addc_u32 s6, s11, 0
	s_add_u32 s4, s4, s5
	s_delay_alu instid0(SALU_CYCLE_1) | instskip(SKIP_3) | instid1(VALU_DEP_1)
	v_add_co_u32 v1, s2, s2, s4
	s_addc_u32 s4, 0, s6
	s_cmp_lg_u32 s2, 0
	s_addc_u32 s2, s3, s4
	v_readfirstlane_b32 s3, v1
	s_mul_i32 s5, s22, s2
	s_mul_hi_u32 s4, s22, s2
	s_mul_hi_u32 s6, s23, s2
	s_mul_i32 s2, s23, s2
	s_mul_hi_u32 s7, s22, s3
	s_mul_hi_u32 s9, s23, s3
	s_mul_i32 s3, s23, s3
	s_add_u32 s5, s7, s5
	s_addc_u32 s4, 0, s4
	s_add_u32 s3, s5, s3
	s_addc_u32 s3, s4, s9
	s_addc_u32 s4, s6, 0
	s_add_u32 s5, s3, s2
	s_addc_u32 s4, 0, s4
	s_mul_i32 s3, s5, 0xb80
	s_add_u32 s2, s5, 1
	v_sub_co_u32 v1, s3, s22, s3
	s_mul_hi_u32 s6, s5, 0xb80
	s_addc_u32 s7, s4, 0
	s_mul_i32 s9, s4, 0xb80
	s_delay_alu instid0(VALU_DEP_1)
	v_subrev_co_u32 v2, s10, 0xb80, v1
	s_add_u32 s11, s5, 2
	s_addc_u32 s12, s4, 0
	s_add_i32 s6, s6, s9
	s_cmp_lg_u32 s3, 0
	v_readfirstlane_b32 s3, v2
	s_subb_u32 s6, s23, s6
	s_cmp_lg_u32 s10, 0
	s_subb_u32 s9, s6, 0
	s_delay_alu instid0(VALU_DEP_1) | instskip(SKIP_4) | instid1(SALU_CYCLE_1)
	s_cmpk_gt_u32 s3, 0xb7f
	s_cselect_b32 s3, -1, 0
	s_cmp_eq_u32 s9, 0
	v_readfirstlane_b32 s9, v1
	s_cselect_b32 s3, s3, -1
	s_cmp_lg_u32 s3, 0
	s_cselect_b32 s10, s11, s2
	s_cselect_b32 s7, s12, s7
	s_cmpk_gt_u32 s9, 0xb7f
	s_mov_b32 s12, -1
	s_cselect_b32 s2, -1, 0
	s_cmp_eq_u32 s6, 0
	s_cselect_b32 s2, s2, -1
	s_delay_alu instid0(SALU_CYCLE_1)
	s_cmp_lg_u32 s2, 0
	s_load_b128 s[0:3], s[0:1], 0x28
	s_cselect_b32 s6, s7, s4
	s_cselect_b32 s7, s10, s5
	s_mul_i32 s4, s6, 0xb80
	s_mul_hi_u32 s5, s7, 0xb80
	s_mul_i32 s9, s7, 0xb80
	s_add_i32 s5, s5, s4
	s_sub_u32 s4, s22, s9
	s_subb_u32 s5, s23, s5
	s_mov_b32 s9, 0
	s_cmp_lg_u64 s[4:5], 0
	s_cselect_b32 s4, -1, 0
	s_delay_alu instid0(SALU_CYCLE_1) | instskip(NEXT) | instid1(VALU_DEP_1)
	v_cndmask_b32_e64 v1, 0, 1, s4
	v_readfirstlane_b32 s4, v1
	s_delay_alu instid0(VALU_DEP_1)
	s_add_u32 s4, s7, s4
	s_addc_u32 s5, s6, 0
	s_waitcnt lgkmcnt(0)
	s_add_u32 s6, s2, s8
	s_addc_u32 s7, s3, 0
	s_add_u32 s10, s4, -1
	s_addc_u32 s11, s5, -1
	s_mul_i32 s23, s10, 0xfffff480
	v_cmp_ge_u64_e64 s28, s[6:7], s[10:11]
	s_delay_alu instid0(VALU_DEP_1)
	s_and_b32 vcc_lo, exec_lo, s28
	s_cbranch_vccz .LBB229_48
; %bb.1:
	s_mov_b32 s25, s9
	s_add_i32 s16, s23, s22
	s_lshl_b64 s[12:13], s[24:25], 1
	s_mov_b32 s17, exec_lo
	s_add_u32 s12, s14, s12
	s_addc_u32 s13, s15, s13
                                        ; implicit-def: $vgpr1
	v_cmpx_gt_u32_e64 s16, v0
	s_cbranch_execz .LBB229_3
; %bb.2:
	v_lshlrev_b32_e32 v1, 1, v0
	global_load_u16 v1, v1, s[12:13]
.LBB229_3:
	s_or_b32 exec_lo, exec_lo, s17
	v_or_b32_e32 v2, 0x80, v0
	s_delay_alu instid0(VALU_DEP_1)
	v_cmp_gt_u32_e32 vcc_lo, s16, v2
                                        ; implicit-def: $vgpr2
	s_and_saveexec_b32 s17, vcc_lo
	s_cbranch_execz .LBB229_5
; %bb.4:
	v_lshlrev_b32_e32 v2, 1, v0
	global_load_u16 v2, v2, s[12:13] offset:256
.LBB229_5:
	s_or_b32 exec_lo, exec_lo, s17
	v_or_b32_e32 v3, 0x100, v0
	s_delay_alu instid0(VALU_DEP_1)
	v_cmp_gt_u32_e32 vcc_lo, s16, v3
                                        ; implicit-def: $vgpr3
	s_and_saveexec_b32 s17, vcc_lo
	s_cbranch_execz .LBB229_7
; %bb.6:
	v_lshlrev_b32_e32 v3, 1, v0
	global_load_u16 v3, v3, s[12:13] offset:512
.LBB229_7:
	s_or_b32 exec_lo, exec_lo, s17
	v_or_b32_e32 v4, 0x180, v0
	s_delay_alu instid0(VALU_DEP_1)
	v_cmp_gt_u32_e32 vcc_lo, s16, v4
                                        ; implicit-def: $vgpr4
	s_and_saveexec_b32 s17, vcc_lo
	s_cbranch_execz .LBB229_9
; %bb.8:
	v_lshlrev_b32_e32 v4, 1, v0
	global_load_u16 v4, v4, s[12:13] offset:768
.LBB229_9:
	s_or_b32 exec_lo, exec_lo, s17
	v_or_b32_e32 v5, 0x200, v0
	s_delay_alu instid0(VALU_DEP_1)
	v_cmp_gt_u32_e32 vcc_lo, s16, v5
                                        ; implicit-def: $vgpr5
	s_and_saveexec_b32 s17, vcc_lo
	s_cbranch_execz .LBB229_11
; %bb.10:
	v_lshlrev_b32_e32 v5, 1, v0
	global_load_u16 v5, v5, s[12:13] offset:1024
.LBB229_11:
	s_or_b32 exec_lo, exec_lo, s17
	v_or_b32_e32 v6, 0x280, v0
	s_delay_alu instid0(VALU_DEP_1)
	v_cmp_gt_u32_e32 vcc_lo, s16, v6
                                        ; implicit-def: $vgpr6
	s_and_saveexec_b32 s17, vcc_lo
	s_cbranch_execz .LBB229_13
; %bb.12:
	v_lshlrev_b32_e32 v6, 1, v0
	global_load_u16 v6, v6, s[12:13] offset:1280
.LBB229_13:
	s_or_b32 exec_lo, exec_lo, s17
	v_or_b32_e32 v7, 0x300, v0
	s_delay_alu instid0(VALU_DEP_1)
	v_cmp_gt_u32_e32 vcc_lo, s16, v7
                                        ; implicit-def: $vgpr7
	s_and_saveexec_b32 s17, vcc_lo
	s_cbranch_execz .LBB229_15
; %bb.14:
	v_lshlrev_b32_e32 v7, 1, v0
	global_load_u16 v7, v7, s[12:13] offset:1536
.LBB229_15:
	s_or_b32 exec_lo, exec_lo, s17
	v_or_b32_e32 v8, 0x380, v0
	s_delay_alu instid0(VALU_DEP_1)
	v_cmp_gt_u32_e32 vcc_lo, s16, v8
                                        ; implicit-def: $vgpr8
	s_and_saveexec_b32 s17, vcc_lo
	s_cbranch_execz .LBB229_17
; %bb.16:
	v_lshlrev_b32_e32 v8, 1, v0
	global_load_u16 v8, v8, s[12:13] offset:1792
.LBB229_17:
	s_or_b32 exec_lo, exec_lo, s17
	v_or_b32_e32 v9, 0x400, v0
	s_delay_alu instid0(VALU_DEP_1)
	v_cmp_gt_u32_e32 vcc_lo, s16, v9
                                        ; implicit-def: $vgpr9
	s_and_saveexec_b32 s17, vcc_lo
	s_cbranch_execz .LBB229_19
; %bb.18:
	v_lshlrev_b32_e32 v9, 1, v0
	global_load_u16 v9, v9, s[12:13] offset:2048
.LBB229_19:
	s_or_b32 exec_lo, exec_lo, s17
	v_or_b32_e32 v10, 0x480, v0
	s_delay_alu instid0(VALU_DEP_1)
	v_cmp_gt_u32_e32 vcc_lo, s16, v10
                                        ; implicit-def: $vgpr10
	s_and_saveexec_b32 s17, vcc_lo
	s_cbranch_execz .LBB229_21
; %bb.20:
	v_lshlrev_b32_e32 v10, 1, v0
	global_load_u16 v10, v10, s[12:13] offset:2304
.LBB229_21:
	s_or_b32 exec_lo, exec_lo, s17
	v_or_b32_e32 v11, 0x500, v0
	s_delay_alu instid0(VALU_DEP_1)
	v_cmp_gt_u32_e32 vcc_lo, s16, v11
                                        ; implicit-def: $vgpr11
	s_and_saveexec_b32 s17, vcc_lo
	s_cbranch_execz .LBB229_23
; %bb.22:
	v_lshlrev_b32_e32 v11, 1, v0
	global_load_u16 v11, v11, s[12:13] offset:2560
.LBB229_23:
	s_or_b32 exec_lo, exec_lo, s17
	v_or_b32_e32 v12, 0x580, v0
	s_delay_alu instid0(VALU_DEP_1)
	v_cmp_gt_u32_e32 vcc_lo, s16, v12
                                        ; implicit-def: $vgpr12
	s_and_saveexec_b32 s17, vcc_lo
	s_cbranch_execz .LBB229_25
; %bb.24:
	v_lshlrev_b32_e32 v12, 1, v0
	global_load_u16 v12, v12, s[12:13] offset:2816
.LBB229_25:
	s_or_b32 exec_lo, exec_lo, s17
	v_or_b32_e32 v13, 0x600, v0
	s_delay_alu instid0(VALU_DEP_1)
	v_cmp_gt_u32_e32 vcc_lo, s16, v13
                                        ; implicit-def: $vgpr13
	s_and_saveexec_b32 s17, vcc_lo
	s_cbranch_execz .LBB229_27
; %bb.26:
	v_lshlrev_b32_e32 v13, 1, v0
	global_load_u16 v13, v13, s[12:13] offset:3072
.LBB229_27:
	s_or_b32 exec_lo, exec_lo, s17
	v_or_b32_e32 v14, 0x680, v0
	s_delay_alu instid0(VALU_DEP_1)
	v_cmp_gt_u32_e32 vcc_lo, s16, v14
                                        ; implicit-def: $vgpr14
	s_and_saveexec_b32 s17, vcc_lo
	s_cbranch_execz .LBB229_29
; %bb.28:
	v_lshlrev_b32_e32 v14, 1, v0
	global_load_u16 v14, v14, s[12:13] offset:3328
.LBB229_29:
	s_or_b32 exec_lo, exec_lo, s17
	v_or_b32_e32 v15, 0x700, v0
	s_delay_alu instid0(VALU_DEP_1)
	v_cmp_gt_u32_e32 vcc_lo, s16, v15
                                        ; implicit-def: $vgpr15
	s_and_saveexec_b32 s17, vcc_lo
	s_cbranch_execz .LBB229_31
; %bb.30:
	v_lshlrev_b32_e32 v15, 1, v0
	global_load_u16 v15, v15, s[12:13] offset:3584
.LBB229_31:
	s_or_b32 exec_lo, exec_lo, s17
	v_or_b32_e32 v16, 0x780, v0
	s_delay_alu instid0(VALU_DEP_1)
	v_cmp_gt_u32_e32 vcc_lo, s16, v16
                                        ; implicit-def: $vgpr16
	s_and_saveexec_b32 s17, vcc_lo
	s_cbranch_execz .LBB229_33
; %bb.32:
	v_lshlrev_b32_e32 v16, 1, v0
	global_load_u16 v16, v16, s[12:13] offset:3840
.LBB229_33:
	s_or_b32 exec_lo, exec_lo, s17
	v_or_b32_e32 v18, 0x800, v0
	s_mov_b32 s17, exec_lo
                                        ; implicit-def: $vgpr17
	s_delay_alu instid0(VALU_DEP_1)
	v_cmpx_gt_u32_e64 s16, v18
	s_cbranch_execz .LBB229_35
; %bb.34:
	v_lshlrev_b32_e32 v17, 1, v18
	global_load_u16 v17, v17, s[12:13]
.LBB229_35:
	s_or_b32 exec_lo, exec_lo, s17
	v_or_b32_e32 v19, 0x880, v0
	s_mov_b32 s17, exec_lo
                                        ; implicit-def: $vgpr18
	s_delay_alu instid0(VALU_DEP_1)
	v_cmpx_gt_u32_e64 s16, v19
	s_cbranch_execz .LBB229_37
; %bb.36:
	v_lshlrev_b32_e32 v18, 1, v19
	global_load_u16 v18, v18, s[12:13]
.LBB229_37:
	s_or_b32 exec_lo, exec_lo, s17
	v_or_b32_e32 v20, 0x900, v0
	s_mov_b32 s17, exec_lo
                                        ; implicit-def: $vgpr19
	s_delay_alu instid0(VALU_DEP_1)
	v_cmpx_gt_u32_e64 s16, v20
	s_cbranch_execz .LBB229_39
; %bb.38:
	v_lshlrev_b32_e32 v19, 1, v20
	global_load_u16 v19, v19, s[12:13]
.LBB229_39:
	s_or_b32 exec_lo, exec_lo, s17
	v_or_b32_e32 v21, 0x980, v0
	s_mov_b32 s17, exec_lo
                                        ; implicit-def: $vgpr20
	s_delay_alu instid0(VALU_DEP_1)
	v_cmpx_gt_u32_e64 s16, v21
	s_cbranch_execz .LBB229_41
; %bb.40:
	v_lshlrev_b32_e32 v20, 1, v21
	global_load_u16 v20, v20, s[12:13]
.LBB229_41:
	s_or_b32 exec_lo, exec_lo, s17
	v_or_b32_e32 v22, 0xa00, v0
	s_mov_b32 s17, exec_lo
                                        ; implicit-def: $vgpr21
	s_delay_alu instid0(VALU_DEP_1)
	v_cmpx_gt_u32_e64 s16, v22
	s_cbranch_execz .LBB229_43
; %bb.42:
	v_lshlrev_b32_e32 v21, 1, v22
	global_load_u16 v21, v21, s[12:13]
.LBB229_43:
	s_or_b32 exec_lo, exec_lo, s17
	v_or_b32_e32 v23, 0xa80, v0
	s_mov_b32 s17, exec_lo
                                        ; implicit-def: $vgpr22
	s_delay_alu instid0(VALU_DEP_1)
	v_cmpx_gt_u32_e64 s16, v23
	s_cbranch_execz .LBB229_45
; %bb.44:
	v_lshlrev_b32_e32 v22, 1, v23
	global_load_u16 v22, v22, s[12:13]
.LBB229_45:
	s_or_b32 exec_lo, exec_lo, s17
	v_or_b32_e32 v24, 0xb00, v0
                                        ; implicit-def: $vgpr23
	s_delay_alu instid0(VALU_DEP_1)
	v_cmp_gt_u32_e32 vcc_lo, s16, v24
	s_and_saveexec_b32 s16, vcc_lo
	s_cbranch_execz .LBB229_47
; %bb.46:
	v_lshlrev_b32_e32 v23, 1, v24
	global_load_u16 v23, v23, s[12:13]
.LBB229_47:
	s_or_b32 exec_lo, exec_lo, s16
	v_lshlrev_b32_e32 v24, 1, v0
	s_mov_b32 s12, 0
	s_waitcnt vmcnt(0)
	ds_store_b16 v24, v1
	ds_store_b16 v24, v2 offset:256
	ds_store_b16 v24, v3 offset:512
	;; [unrolled: 1-line block ×22, first 2 shown]
	s_waitcnt lgkmcnt(0)
	s_barrier
.LBB229_48:
	v_lshlrev_b32_e32 v14, 1, v0
	s_and_b32 vcc_lo, exec_lo, s12
	s_cbranch_vccz .LBB229_50
; %bb.49:
	s_mov_b32 s25, 0
	s_delay_alu instid0(SALU_CYCLE_1) | instskip(NEXT) | instid1(SALU_CYCLE_1)
	s_lshl_b64 s[12:13], s[24:25], 1
	s_add_u32 s12, s14, s12
	s_addc_u32 s13, s15, s13
	v_add_co_u32 v1, s14, s12, v14
	s_delay_alu instid0(VALU_DEP_1)
	v_add_co_ci_u32_e64 v2, null, s13, 0, s14
	s_clause 0x8
	global_load_u16 v3, v14, s[12:13]
	global_load_u16 v4, v14, s[12:13] offset:256
	global_load_u16 v5, v14, s[12:13] offset:512
	;; [unrolled: 1-line block ×8, first 2 shown]
	v_add_co_u32 v1, vcc_lo, 0x1000, v1
	v_add_co_ci_u32_e32 v2, vcc_lo, 0, v2, vcc_lo
	s_clause 0xd
	global_load_u16 v12, v14, s[12:13] offset:2304
	global_load_u16 v13, v14, s[12:13] offset:2560
	global_load_u16 v15, v14, s[12:13] offset:2816
	global_load_u16 v16, v14, s[12:13] offset:3072
	global_load_u16 v17, v14, s[12:13] offset:3328
	global_load_u16 v18, v14, s[12:13] offset:3584
	global_load_u16 v19, v14, s[12:13] offset:3840
	global_load_u16 v20, v[1:2], off
	global_load_u16 v21, v[1:2], off offset:256
	global_load_u16 v22, v[1:2], off offset:512
	;; [unrolled: 1-line block ×6, first 2 shown]
	s_waitcnt vmcnt(22)
	ds_store_b16 v14, v3
	s_waitcnt vmcnt(21)
	ds_store_b16 v14, v4 offset:256
	s_waitcnt vmcnt(20)
	ds_store_b16 v14, v5 offset:512
	;; [unrolled: 2-line block ×22, first 2 shown]
	s_waitcnt lgkmcnt(0)
	s_barrier
.LBB229_50:
	v_mul_u32_u24_e32 v1, 23, v0
	buffer_gl0_inv
	s_cmp_eq_u64 s[6:7], 0
	v_lshlrev_b32_e32 v12, 1, v1
	ds_load_b96 v[9:11], v12 offset:32
	ds_load_b128 v[5:8], v12
	ds_load_b128 v[1:4], v12 offset:16
	ds_load_u16 v12, v12 offset:44
	s_waitcnt lgkmcnt(0)
	s_barrier
	buffer_gl0_inv
	v_lshrrev_b32_e32 v13, 16, v9
	v_lshrrev_b32_e32 v15, 16, v10
	;; [unrolled: 1-line block ×3, first 2 shown]
	v_alignbit_b32 v17, v7, v6, 16
	v_alignbit_b32 v6, v6, v5, 16
	v_lshrrev_b32_e32 v7, 16, v7
	v_lshrrev_b32_e32 v18, 16, v8
	;; [unrolled: 1-line block ×6, first 2 shown]
	s_cbranch_scc1 .LBB229_55
; %bb.51:
	s_lshl_b64 s[2:3], s[2:3], 1
	v_mov_b32_e32 v23, 0
	s_add_u32 s2, s0, s2
	s_addc_u32 s3, s1, s3
	s_lshl_b64 s[0:1], s[8:9], 1
	s_delay_alu instid0(SALU_CYCLE_1)
	s_add_u32 s0, s2, s0
	s_addc_u32 s1, s3, s1
	s_cmp_eq_u64 s[6:7], s[10:11]
	global_load_u16 v44, v23, s[0:1] offset:-2
	s_cbranch_scc1 .LBB229_56
; %bb.52:
	s_waitcnt vmcnt(0)
	v_mov_b32_e32 v23, v44
	s_mov_b32 s0, 0
	s_mov_b32 s1, exec_lo
	ds_store_b16 v14, v12
	s_waitcnt lgkmcnt(0)
	s_barrier
	buffer_gl0_inv
	v_cmpx_ne_u32_e32 0, v0
	s_cbranch_execz .LBB229_54
; %bb.53:
	v_add_nc_u32_e32 v23, -2, v14
	ds_load_u16 v23, v23
.LBB229_54:
	s_or_b32 exec_lo, exec_lo, s1
	s_waitcnt lgkmcnt(0)
	v_sub_nc_u16 v23, v5, v23
	v_perm_b32 v24, v6, v5, 0x5040100
	v_alignbit_b32 v25, v17, v6, 16
	v_lshrrev_b32_e32 v26, 16, v17
	s_branch .LBB229_57
.LBB229_55:
                                        ; implicit-def: $vgpr25
                                        ; implicit-def: $vgpr24
                                        ; implicit-def: $vgpr23
                                        ; implicit-def: $vgpr26
                                        ; implicit-def: $vgpr43
                                        ; implicit-def: $vgpr42
                                        ; implicit-def: $vgpr41
                                        ; implicit-def: $vgpr40
                                        ; implicit-def: $vgpr39
                                        ; implicit-def: $vgpr38
                                        ; implicit-def: $vgpr37
                                        ; implicit-def: $vgpr36
                                        ; implicit-def: $vgpr35
                                        ; implicit-def: $vgpr34
                                        ; implicit-def: $vgpr33
                                        ; implicit-def: $vgpr32
                                        ; implicit-def: $vgpr31
                                        ; implicit-def: $vgpr30
                                        ; implicit-def: $vgpr29
                                        ; implicit-def: $vgpr28
                                        ; implicit-def: $vgpr27
	s_branch .LBB229_62
.LBB229_56:
	s_mov_b32 s0, -1
                                        ; implicit-def: $vgpr25
                                        ; implicit-def: $vgpr24
                                        ; implicit-def: $vgpr23
                                        ; implicit-def: $vgpr26
.LBB229_57:
	v_dual_mov_b32 v43, v7 :: v_dual_mov_b32 v42, v8
	v_dual_mov_b32 v41, v18 :: v_dual_mov_b32 v40, v1
	;; [unrolled: 1-line block ×7, first 2 shown]
	v_mov_b32_e32 v29, v15
	v_dual_mov_b32 v28, v11 :: v_dual_mov_b32 v27, v16
	s_and_b32 vcc_lo, exec_lo, s0
	s_cbranch_vccz .LBB229_61
; %bb.58:
	v_mul_u32_u24_e32 v23, 23, v0
	s_mov_b32 s0, exec_lo
	ds_store_b16 v14, v12
	s_waitcnt vmcnt(0) lgkmcnt(0)
	s_barrier
	buffer_gl0_inv
	v_cmpx_ne_u32_e32 0, v0
	s_cbranch_execz .LBB229_60
; %bb.59:
	v_add_nc_u32_e32 v24, -2, v14
	ds_load_u16 v44, v24
.LBB229_60:
	s_or_b32 exec_lo, exec_lo, s0
	v_add_nc_u32_e32 v24, 22, v23
	s_mul_i32 s0, s6, 0xfffff480
	v_add_nc_u32_e32 v25, 21, v23
	s_add_i32 s0, s0, s22
	v_add_nc_u32_e32 v26, 19, v23
	v_cmp_gt_u32_e32 vcc_lo, s0, v24
	v_add_nc_u32_e32 v24, 20, v23
	v_lshrrev_b32_e32 v45, 16, v6
	v_add_nc_u32_e32 v46, 1, v23
	v_dual_cndmask_b32 v27, 0, v16 :: v_dual_add_nc_u32 v48, 2, v23
	v_cmp_gt_u32_e32 vcc_lo, s0, v25
	v_add_nc_u32_e32 v25, 18, v23
	v_cndmask_b32_e32 v28, 0, v11, vcc_lo
	v_cmp_gt_u32_e32 vcc_lo, s0, v24
	v_add_nc_u32_e32 v24, 17, v23
	v_cndmask_b32_e32 v29, 0, v15, vcc_lo
	;; [unrolled: 3-line block ×7, first 2 shown]
	v_cmp_gt_u32_e32 vcc_lo, s0, v24
	v_dual_cndmask_b32 v35, 0, v21 :: v_dual_add_nc_u32 v24, 12, v23
	v_cmp_gt_u32_e32 vcc_lo, s0, v25
	v_add_nc_u32_e32 v25, 10, v23
	v_cndmask_b32_e32 v36, 0, v3, vcc_lo
	s_delay_alu instid0(VALU_DEP_4)
	v_cmp_gt_u32_e32 vcc_lo, s0, v24
	v_dual_cndmask_b32 v37, 0, v20 :: v_dual_add_nc_u32 v24, 9, v23
	v_cmp_gt_u32_e32 vcc_lo, s0, v26
	v_add_nc_u32_e32 v26, 7, v23
	v_cndmask_b32_e32 v38, 0, v2, vcc_lo
	v_cmp_gt_u32_e32 vcc_lo, s0, v25
	v_add_nc_u32_e32 v25, 8, v23
	v_cndmask_b32_e32 v39, 0, v19, vcc_lo
	;; [unrolled: 3-line block ×3, first 2 shown]
	v_cmp_gt_u32_e32 vcc_lo, s0, v25
	v_lshrrev_b32_e32 v25, 16, v17
	v_add_nc_u32_e32 v47, 4, v23
	v_cndmask_b32_e32 v41, 0, v18, vcc_lo
	v_cmp_gt_u32_e32 vcc_lo, s0, v26
	v_add_nc_u32_e32 v26, 3, v23
	v_cndmask_b32_e32 v42, 0, v8, vcc_lo
	v_cmp_gt_u32_e32 vcc_lo, s0, v24
	;; [unrolled: 3-line block ×3, first 2 shown]
	v_cndmask_b32_e32 v45, 0, v45, vcc_lo
	v_cmp_gt_u32_e32 vcc_lo, s0, v46
	v_cndmask_b32_e32 v46, 0, v5, vcc_lo
	v_cmp_gt_u32_e32 vcc_lo, s0, v48
	;; [unrolled: 2-line block ×3, first 2 shown]
	s_waitcnt lgkmcnt(0)
	v_cndmask_b32_e32 v23, 0, v44, vcc_lo
	v_cmp_gt_u32_e32 vcc_lo, s0, v47
	s_delay_alu instid0(VALU_DEP_2) | instskip(SKIP_4) | instid1(VALU_DEP_4)
	v_sub_nc_u16 v23, v5, v23
	v_cndmask_b32_e32 v44, 0, v17, vcc_lo
	v_cmp_gt_u32_e32 vcc_lo, s0, v24
	v_perm_b32 v24, v48, v46, 0x5040100
	v_cndmask_b32_e32 v26, 0, v25, vcc_lo
	v_perm_b32 v25, v44, v45, 0x5040100
.LBB229_61:
	s_cbranch_execnz .LBB229_71
.LBB229_62:
	v_cmp_ne_u32_e32 vcc_lo, 0, v0
	s_cmp_eq_u64 s[4:5], 1
	s_cbranch_scc1 .LBB229_66
; %bb.63:
	v_mov_b32_e32 v23, v5
	s_mov_b32 s0, 0
	ds_store_b16 v14, v12
	s_waitcnt vmcnt(0) lgkmcnt(0)
	s_barrier
	buffer_gl0_inv
	s_and_saveexec_b32 s1, vcc_lo
	s_cbranch_execz .LBB229_65
; %bb.64:
	v_add_nc_u32_e32 v23, -2, v14
	ds_load_u16 v23, v23
	s_waitcnt lgkmcnt(0)
	v_sub_nc_u16 v23, v5, v23
.LBB229_65:
	s_or_b32 exec_lo, exec_lo, s1
	v_perm_b32 v24, v6, v5, 0x5040100
	v_alignbit_b32 v25, v17, v6, 16
	v_lshrrev_b32_e32 v26, 16, v17
	s_branch .LBB229_67
.LBB229_66:
	s_mov_b32 s0, -1
                                        ; implicit-def: $vgpr25
                                        ; implicit-def: $vgpr24
                                        ; implicit-def: $vgpr23
                                        ; implicit-def: $vgpr26
.LBB229_67:
	v_dual_mov_b32 v43, v7 :: v_dual_mov_b32 v42, v8
	v_dual_mov_b32 v41, v18 :: v_dual_mov_b32 v40, v1
	v_dual_mov_b32 v39, v19 :: v_dual_mov_b32 v38, v2
	v_dual_mov_b32 v37, v20 :: v_dual_mov_b32 v36, v3
	v_dual_mov_b32 v35, v21 :: v_dual_mov_b32 v34, v4
	v_dual_mov_b32 v33, v22 :: v_dual_mov_b32 v32, v9
	v_dual_mov_b32 v31, v13 :: v_dual_mov_b32 v30, v10
	v_mov_b32_e32 v29, v15
	v_dual_mov_b32 v28, v11 :: v_dual_mov_b32 v27, v16
	s_and_not1_b32 vcc_lo, exec_lo, s0
	s_cbranch_vccnz .LBB229_71
; %bb.68:
	v_mad_u32_u24 v24, v0, 23, 21
	v_mad_u32_u24 v25, v0, 23, 20
	;; [unrolled: 1-line block ×5, first 2 shown]
	v_cmp_gt_u32_e64 s0, s22, v24
	v_mad_u32_u24 v24, v0, 23, 18
	v_cmp_gt_u32_e64 s1, s22, v25
	v_mad_u32_u24 v25, v0, 23, 17
	;; [unrolled: 2-line block ×4, first 2 shown]
	v_cmp_gt_u32_e64 s4, s22, v25
	v_cmp_gt_u32_e64 s6, s22, v28
	v_mad_u32_u24 v25, v0, 23, 12
	v_mad_u32_u24 v28, v0, 23, 10
	v_cmp_gt_u32_e64 s8, s22, v24
	v_mad_u32_u24 v24, v0, 23, 8
	v_cmp_gt_u32_e64 s10, s22, v27
	;; [unrolled: 2-line block ×3, first 2 shown]
	v_cmp_gt_u32_e64 s11, s22, v28
	v_cmp_gt_u32_e64 s13, s22, v24
	v_mad_u32_u24 v24, v0, 23, 4
	v_mad_u32_u24 v25, v0, 23, 7
	;; [unrolled: 1-line block ×3, first 2 shown]
	v_cmp_gt_u32_e64 s15, s22, v27
	v_mad_u32_u24 v27, v0, 23, 3
	v_cmp_gt_u32_e64 s17, s22, v24
	v_cmp_gt_u32_e32 vcc_lo, s22, v23
	v_mad_u32_u24 v23, v0, 23, 19
	v_cmp_gt_u32_e64 s14, s22, v25
	v_cmp_gt_u32_e64 s16, s22, v28
	v_mad_u32_u24 v28, v0, 23, 1
	v_lshrrev_b32_e32 v29, 16, v6
	v_cndmask_b32_e64 v25, 0, v17, s17
	v_cmp_gt_u32_e64 s17, s22, v27
	v_cmp_gt_u32_e64 s2, s22, v23
	v_mad_u32_u24 v23, v0, 23, 14
	v_mad_u32_u24 v30, v0, 23, 2
	v_mul_u32_u24_e32 v26, 23, v0
	s_waitcnt vmcnt(0)
	v_cndmask_b32_e64 v44, 0, v29, s17
	v_cmp_gt_u32_e64 s17, s22, v28
	v_cmp_gt_u32_e64 s7, s22, v23
	v_mad_u32_u24 v23, v0, 23, 9
	v_cmp_gt_u32_e64 s19, s22, v30
	v_cmp_gt_u32_e64 s18, s22, v26
	v_cndmask_b32_e64 v24, 0, v5, s17
	v_cmp_ne_u32_e64 s17, 0, v0
	v_cmp_gt_u32_e64 s12, s22, v23
	v_lshrrev_b32_e32 v23, 16, v17
	v_cndmask_b32_e64 v45, 0, v6, s19
	ds_store_b16 v14, v12
	s_and_b32 s18, s17, s18
	s_waitcnt lgkmcnt(0)
	s_barrier
	buffer_gl0_inv
	s_and_saveexec_b32 s17, s18
	s_cbranch_execz .LBB229_70
; %bb.69:
	v_add_nc_u32_e32 v26, -2, v14
	ds_load_u16 v26, v26
	s_waitcnt lgkmcnt(0)
	v_sub_nc_u16 v5, v5, v26
.LBB229_70:
	s_or_b32 exec_lo, exec_lo, s17
	v_cndmask_b32_e32 v27, 0, v16, vcc_lo
	v_cndmask_b32_e64 v28, 0, v11, s0
	v_cndmask_b32_e64 v29, 0, v15, s1
	v_cndmask_b32_e64 v30, 0, v10, s2
	v_cndmask_b32_e64 v31, 0, v13, s3
	v_cndmask_b32_e64 v32, 0, v9, s4
	v_cndmask_b32_e64 v33, 0, v22, s5
	v_cndmask_b32_e64 v34, 0, v4, s6
	v_cndmask_b32_e64 v35, 0, v21, s7
	v_cndmask_b32_e64 v36, 0, v3, s8
	v_cndmask_b32_e64 v37, 0, v20, s9
	v_cndmask_b32_e64 v38, 0, v2, s10
	v_cndmask_b32_e64 v39, 0, v19, s11
	v_cndmask_b32_e64 v40, 0, v1, s12
	v_cndmask_b32_e64 v41, 0, v18, s13
	v_cndmask_b32_e64 v42, 0, v8, s14
	v_cndmask_b32_e64 v43, 0, v7, s15
	v_cndmask_b32_e64 v26, 0, v23, s16
	v_perm_b32 v24, v45, v24, 0x5040100
	v_perm_b32 v25, v25, v44, 0x5040100
	v_mov_b32_e32 v23, v5
.LBB229_71:
	s_delay_alu instid0(VALU_DEP_1) | instskip(NEXT) | instid1(VALU_DEP_4)
	v_pk_sub_i16 v17, v17, v25
	v_pk_sub_i16 v6, v6, v24
	v_sub_nc_u16 v7, v7, v26
	v_sub_nc_u16 v5, v8, v43
	;; [unrolled: 1-line block ×18, first 2 shown]
	v_mul_u32_u24_e32 v16, 46, v0
	v_perm_b32 v8, v8, v5, 0x5040100
	v_perm_b32 v5, v6, v23, 0x5040100
	v_alignbit_b32 v7, v7, v17, 16
	v_alignbit_b32 v6, v17, v6, 16
	v_perm_b32 v4, v21, v4, 0x5040100
	v_perm_b32 v3, v20, v3, 0x5040100
	;; [unrolled: 1-line block ×7, first 2 shown]
	v_mul_i32_i24_e32 v17, 0xffffffd4, v0
	s_add_u32 s0, s20, s26
	s_addc_u32 s1, s21, s27
	s_and_b32 vcc_lo, exec_lo, s28
	s_waitcnt vmcnt(0)
	s_barrier
	buffer_gl0_inv
	s_cbranch_vccz .LBB229_117
; %bb.72:
	v_mad_u32_u24 v12, v0, 46, v17
	ds_store_b128 v16, v[5:8]
	ds_store_b128 v16, v[1:4] offset:16
	ds_store_b96 v16, v[9:11] offset:32
	ds_store_b16 v16, v15 offset:44
	s_waitcnt lgkmcnt(0)
	s_barrier
	buffer_gl0_inv
	ds_load_u16 v39, v12 offset:256
	ds_load_u16 v38, v12 offset:512
	;; [unrolled: 1-line block ×22, first 2 shown]
	s_mov_b32 s25, 0
	s_add_i32 s23, s23, s22
	s_lshl_b64 s[2:3], s[24:25], 1
	s_delay_alu instid0(SALU_CYCLE_1) | instskip(SKIP_2) | instid1(VALU_DEP_1)
	s_add_u32 s2, s0, s2
	s_addc_u32 s3, s1, s3
	v_add_co_u32 v12, s2, s2, v14
	v_add_co_ci_u32_e64 v13, null, s3, 0, s2
	s_mov_b32 s2, exec_lo
	v_cmpx_gt_u32_e64 s23, v0
	s_cbranch_execz .LBB229_74
; %bb.73:
	v_add_nc_u32_e32 v40, v16, v17
	ds_load_u16 v40, v40
	s_waitcnt lgkmcnt(0)
	global_store_b16 v[12:13], v40, off
.LBB229_74:
	s_or_b32 exec_lo, exec_lo, s2
	v_or_b32_e32 v40, 0x80, v0
	s_mov_b32 s2, exec_lo
	s_delay_alu instid0(VALU_DEP_1)
	v_cmpx_gt_u32_e64 s23, v40
	s_cbranch_execz .LBB229_76
; %bb.75:
	s_waitcnt lgkmcnt(21)
	global_store_b16 v[12:13], v39, off offset:256
.LBB229_76:
	s_or_b32 exec_lo, exec_lo, s2
	s_waitcnt lgkmcnt(21)
	v_or_b32_e32 v39, 0x100, v0
	s_mov_b32 s2, exec_lo
	s_delay_alu instid0(VALU_DEP_1)
	v_cmpx_gt_u32_e64 s23, v39
	s_cbranch_execz .LBB229_78
; %bb.77:
	s_waitcnt lgkmcnt(20)
	global_store_b16 v[12:13], v38, off offset:512
.LBB229_78:
	s_or_b32 exec_lo, exec_lo, s2
	s_waitcnt lgkmcnt(20)
	;; [unrolled: 11-line block ×15, first 2 shown]
	v_or_b32_e32 v25, 0x800, v0
	s_mov_b32 s2, exec_lo
	s_delay_alu instid0(VALU_DEP_1)
	v_cmpx_gt_u32_e64 s23, v25
	s_cbranch_execz .LBB229_106
; %bb.105:
	v_add_co_u32 v25, vcc_lo, 0x1000, v12
	v_add_co_ci_u32_e32 v26, vcc_lo, 0, v13, vcc_lo
	s_waitcnt lgkmcnt(6)
	global_store_b16 v[25:26], v24, off
.LBB229_106:
	s_or_b32 exec_lo, exec_lo, s2
	s_waitcnt lgkmcnt(6)
	v_or_b32_e32 v24, 0x880, v0
	s_mov_b32 s2, exec_lo
	s_delay_alu instid0(VALU_DEP_1)
	v_cmpx_gt_u32_e64 s23, v24
	s_cbranch_execz .LBB229_108
; %bb.107:
	v_add_co_u32 v24, vcc_lo, 0x1000, v12
	v_add_co_ci_u32_e32 v25, vcc_lo, 0, v13, vcc_lo
	s_waitcnt lgkmcnt(5)
	global_store_b16 v[24:25], v23, off offset:256
.LBB229_108:
	s_or_b32 exec_lo, exec_lo, s2
	s_waitcnt lgkmcnt(5)
	v_or_b32_e32 v23, 0x900, v0
	s_mov_b32 s2, exec_lo
	s_delay_alu instid0(VALU_DEP_1)
	v_cmpx_gt_u32_e64 s23, v23
	s_cbranch_execz .LBB229_110
; %bb.109:
	v_add_co_u32 v23, vcc_lo, 0x1000, v12
	v_add_co_ci_u32_e32 v24, vcc_lo, 0, v13, vcc_lo
	s_waitcnt lgkmcnt(4)
	global_store_b16 v[23:24], v22, off offset:512
.LBB229_110:
	;; [unrolled: 13-line block ×5, first 2 shown]
	s_or_b32 exec_lo, exec_lo, s2
	s_waitcnt lgkmcnt(1)
	v_or_b32_e32 v19, 0xb00, v0
	s_delay_alu instid0(VALU_DEP_1)
	v_cmp_gt_u32_e64 s2, s23, v19
	s_branch .LBB229_119
.LBB229_117:
	s_mov_b32 s2, 0
                                        ; implicit-def: $vgpr18
                                        ; implicit-def: $vgpr12_vgpr13
	s_cbranch_execz .LBB229_119
; %bb.118:
	v_mad_u32_u24 v0, v0, 46, v17
	ds_store_b128 v16, v[5:8]
	ds_store_b128 v16, v[1:4] offset:16
	ds_store_b96 v16, v[9:11] offset:32
	ds_store_b16 v16, v15 offset:44
	s_waitcnt lgkmcnt(0)
	s_waitcnt_vscnt null, 0x0
	s_barrier
	buffer_gl0_inv
	ds_load_u16 v2, v0
	ds_load_u16 v1, v0 offset:256
	ds_load_u16 v3, v0 offset:512
	;; [unrolled: 1-line block ×22, first 2 shown]
	s_mov_b32 s25, 0
	s_delay_alu instid0(SALU_CYCLE_1) | instskip(NEXT) | instid1(SALU_CYCLE_1)
	s_lshl_b64 s[4:5], s[24:25], 1
	s_add_u32 s0, s0, s4
	s_addc_u32 s1, s1, s5
	v_add_co_u32 v12, s3, s0, v14
	s_delay_alu instid0(VALU_DEP_1)
	v_add_co_ci_u32_e64 v13, null, s1, 0, s3
	s_waitcnt lgkmcnt(21)
	global_store_b16 v14, v1, s[0:1] offset:256
	s_waitcnt lgkmcnt(20)
	global_store_b16 v14, v3, s[0:1] offset:512
	s_waitcnt lgkmcnt(19)
	global_store_b16 v14, v4, s[0:1] offset:768
	s_waitcnt lgkmcnt(18)
	global_store_b16 v14, v5, s[0:1] offset:1024
	s_waitcnt lgkmcnt(17)
	global_store_b16 v14, v6, s[0:1] offset:1280
	s_waitcnt lgkmcnt(16)
	global_store_b16 v14, v7, s[0:1] offset:1536
	s_waitcnt lgkmcnt(15)
	global_store_b16 v14, v8, s[0:1] offset:1792
	s_waitcnt lgkmcnt(14)
	global_store_b16 v14, v9, s[0:1] offset:2048
	s_waitcnt lgkmcnt(13)
	global_store_b16 v14, v10, s[0:1] offset:2304
	v_add_co_u32 v0, vcc_lo, 0x1000, v12
	v_add_co_ci_u32_e32 v1, vcc_lo, 0, v13, vcc_lo
	s_or_b32 s2, s2, exec_lo
	s_waitcnt lgkmcnt(12)
	global_store_b16 v14, v11, s[0:1] offset:2560
	s_waitcnt lgkmcnt(11)
	global_store_b16 v14, v15, s[0:1] offset:2816
	s_waitcnt lgkmcnt(10)
	global_store_b16 v14, v16, s[0:1] offset:3072
	s_waitcnt lgkmcnt(9)
	global_store_b16 v14, v17, s[0:1] offset:3328
	s_waitcnt lgkmcnt(8)
	global_store_b16 v14, v19, s[0:1] offset:3584
	s_waitcnt lgkmcnt(7)
	global_store_b16 v14, v20, s[0:1] offset:3840
	s_waitcnt lgkmcnt(6)
	global_store_b16 v[0:1], v21, off
	s_waitcnt lgkmcnt(5)
	global_store_b16 v[0:1], v22, off offset:256
	s_waitcnt lgkmcnt(4)
	global_store_b16 v[0:1], v23, off offset:512
	;; [unrolled: 2-line block ×3, first 2 shown]
	s_waitcnt lgkmcnt(2)
	s_clause 0x1
	global_store_b16 v[0:1], v25, off offset:1024
	global_store_b16 v14, v2, s[0:1]
	s_waitcnt lgkmcnt(1)
	global_store_b16 v[0:1], v26, off offset:1280
.LBB229_119:
	s_delay_alu instid0(VALU_DEP_1)
	s_and_saveexec_b32 s0, s2
	s_cbranch_execnz .LBB229_121
; %bb.120:
	s_nop 0
	s_sendmsg sendmsg(MSG_DEALLOC_VGPRS)
	s_endpgm
.LBB229_121:
	v_add_co_u32 v0, vcc_lo, 0x1000, v12
	v_add_co_ci_u32_e32 v1, vcc_lo, 0, v13, vcc_lo
	s_waitcnt lgkmcnt(0)
	global_store_b16 v[0:1], v18, off offset:1536
	s_nop 0
	s_sendmsg sendmsg(MSG_DEALLOC_VGPRS)
	s_endpgm
	.section	.rodata,"a",@progbits
	.p2align	6, 0x0
	.amdhsa_kernel _ZN7rocprim17ROCPRIM_400000_NS6detail17trampoline_kernelINS0_14default_configENS1_35adjacent_difference_config_selectorILb1EtEEZNS1_24adjacent_difference_implIS3_Lb1ELb0EPtS7_N6thrust23THRUST_200600_302600_NS5minusItEEEE10hipError_tPvRmT2_T3_mT4_P12ihipStream_tbEUlT_E_NS1_11comp_targetILNS1_3genE9ELNS1_11target_archE1100ELNS1_3gpuE3ELNS1_3repE0EEENS1_30default_config_static_selectorELNS0_4arch9wavefront6targetE0EEEvT1_
		.amdhsa_group_segment_fixed_size 5888
		.amdhsa_private_segment_fixed_size 0
		.amdhsa_kernarg_size 56
		.amdhsa_user_sgpr_count 15
		.amdhsa_user_sgpr_dispatch_ptr 0
		.amdhsa_user_sgpr_queue_ptr 0
		.amdhsa_user_sgpr_kernarg_segment_ptr 1
		.amdhsa_user_sgpr_dispatch_id 0
		.amdhsa_user_sgpr_private_segment_size 0
		.amdhsa_wavefront_size32 1
		.amdhsa_uses_dynamic_stack 0
		.amdhsa_enable_private_segment 0
		.amdhsa_system_sgpr_workgroup_id_x 1
		.amdhsa_system_sgpr_workgroup_id_y 0
		.amdhsa_system_sgpr_workgroup_id_z 0
		.amdhsa_system_sgpr_workgroup_info 0
		.amdhsa_system_vgpr_workitem_id 0
		.amdhsa_next_free_vgpr 49
		.amdhsa_next_free_sgpr 29
		.amdhsa_reserve_vcc 1
		.amdhsa_float_round_mode_32 0
		.amdhsa_float_round_mode_16_64 0
		.amdhsa_float_denorm_mode_32 3
		.amdhsa_float_denorm_mode_16_64 3
		.amdhsa_dx10_clamp 1
		.amdhsa_ieee_mode 1
		.amdhsa_fp16_overflow 0
		.amdhsa_workgroup_processor_mode 1
		.amdhsa_memory_ordered 1
		.amdhsa_forward_progress 0
		.amdhsa_shared_vgpr_count 0
		.amdhsa_exception_fp_ieee_invalid_op 0
		.amdhsa_exception_fp_denorm_src 0
		.amdhsa_exception_fp_ieee_div_zero 0
		.amdhsa_exception_fp_ieee_overflow 0
		.amdhsa_exception_fp_ieee_underflow 0
		.amdhsa_exception_fp_ieee_inexact 0
		.amdhsa_exception_int_div_zero 0
	.end_amdhsa_kernel
	.section	.text._ZN7rocprim17ROCPRIM_400000_NS6detail17trampoline_kernelINS0_14default_configENS1_35adjacent_difference_config_selectorILb1EtEEZNS1_24adjacent_difference_implIS3_Lb1ELb0EPtS7_N6thrust23THRUST_200600_302600_NS5minusItEEEE10hipError_tPvRmT2_T3_mT4_P12ihipStream_tbEUlT_E_NS1_11comp_targetILNS1_3genE9ELNS1_11target_archE1100ELNS1_3gpuE3ELNS1_3repE0EEENS1_30default_config_static_selectorELNS0_4arch9wavefront6targetE0EEEvT1_,"axG",@progbits,_ZN7rocprim17ROCPRIM_400000_NS6detail17trampoline_kernelINS0_14default_configENS1_35adjacent_difference_config_selectorILb1EtEEZNS1_24adjacent_difference_implIS3_Lb1ELb0EPtS7_N6thrust23THRUST_200600_302600_NS5minusItEEEE10hipError_tPvRmT2_T3_mT4_P12ihipStream_tbEUlT_E_NS1_11comp_targetILNS1_3genE9ELNS1_11target_archE1100ELNS1_3gpuE3ELNS1_3repE0EEENS1_30default_config_static_selectorELNS0_4arch9wavefront6targetE0EEEvT1_,comdat
.Lfunc_end229:
	.size	_ZN7rocprim17ROCPRIM_400000_NS6detail17trampoline_kernelINS0_14default_configENS1_35adjacent_difference_config_selectorILb1EtEEZNS1_24adjacent_difference_implIS3_Lb1ELb0EPtS7_N6thrust23THRUST_200600_302600_NS5minusItEEEE10hipError_tPvRmT2_T3_mT4_P12ihipStream_tbEUlT_E_NS1_11comp_targetILNS1_3genE9ELNS1_11target_archE1100ELNS1_3gpuE3ELNS1_3repE0EEENS1_30default_config_static_selectorELNS0_4arch9wavefront6targetE0EEEvT1_, .Lfunc_end229-_ZN7rocprim17ROCPRIM_400000_NS6detail17trampoline_kernelINS0_14default_configENS1_35adjacent_difference_config_selectorILb1EtEEZNS1_24adjacent_difference_implIS3_Lb1ELb0EPtS7_N6thrust23THRUST_200600_302600_NS5minusItEEEE10hipError_tPvRmT2_T3_mT4_P12ihipStream_tbEUlT_E_NS1_11comp_targetILNS1_3genE9ELNS1_11target_archE1100ELNS1_3gpuE3ELNS1_3repE0EEENS1_30default_config_static_selectorELNS0_4arch9wavefront6targetE0EEEvT1_
                                        ; -- End function
	.section	.AMDGPU.csdata,"",@progbits
; Kernel info:
; codeLenInByte = 6228
; NumSgprs: 31
; NumVgprs: 49
; ScratchSize: 0
; MemoryBound: 0
; FloatMode: 240
; IeeeMode: 1
; LDSByteSize: 5888 bytes/workgroup (compile time only)
; SGPRBlocks: 3
; VGPRBlocks: 6
; NumSGPRsForWavesPerEU: 31
; NumVGPRsForWavesPerEU: 49
; Occupancy: 16
; WaveLimiterHint : 1
; COMPUTE_PGM_RSRC2:SCRATCH_EN: 0
; COMPUTE_PGM_RSRC2:USER_SGPR: 15
; COMPUTE_PGM_RSRC2:TRAP_HANDLER: 0
; COMPUTE_PGM_RSRC2:TGID_X_EN: 1
; COMPUTE_PGM_RSRC2:TGID_Y_EN: 0
; COMPUTE_PGM_RSRC2:TGID_Z_EN: 0
; COMPUTE_PGM_RSRC2:TIDIG_COMP_CNT: 0
	.section	.text._ZN7rocprim17ROCPRIM_400000_NS6detail17trampoline_kernelINS0_14default_configENS1_35adjacent_difference_config_selectorILb1EtEEZNS1_24adjacent_difference_implIS3_Lb1ELb0EPtS7_N6thrust23THRUST_200600_302600_NS5minusItEEEE10hipError_tPvRmT2_T3_mT4_P12ihipStream_tbEUlT_E_NS1_11comp_targetILNS1_3genE8ELNS1_11target_archE1030ELNS1_3gpuE2ELNS1_3repE0EEENS1_30default_config_static_selectorELNS0_4arch9wavefront6targetE0EEEvT1_,"axG",@progbits,_ZN7rocprim17ROCPRIM_400000_NS6detail17trampoline_kernelINS0_14default_configENS1_35adjacent_difference_config_selectorILb1EtEEZNS1_24adjacent_difference_implIS3_Lb1ELb0EPtS7_N6thrust23THRUST_200600_302600_NS5minusItEEEE10hipError_tPvRmT2_T3_mT4_P12ihipStream_tbEUlT_E_NS1_11comp_targetILNS1_3genE8ELNS1_11target_archE1030ELNS1_3gpuE2ELNS1_3repE0EEENS1_30default_config_static_selectorELNS0_4arch9wavefront6targetE0EEEvT1_,comdat
	.protected	_ZN7rocprim17ROCPRIM_400000_NS6detail17trampoline_kernelINS0_14default_configENS1_35adjacent_difference_config_selectorILb1EtEEZNS1_24adjacent_difference_implIS3_Lb1ELb0EPtS7_N6thrust23THRUST_200600_302600_NS5minusItEEEE10hipError_tPvRmT2_T3_mT4_P12ihipStream_tbEUlT_E_NS1_11comp_targetILNS1_3genE8ELNS1_11target_archE1030ELNS1_3gpuE2ELNS1_3repE0EEENS1_30default_config_static_selectorELNS0_4arch9wavefront6targetE0EEEvT1_ ; -- Begin function _ZN7rocprim17ROCPRIM_400000_NS6detail17trampoline_kernelINS0_14default_configENS1_35adjacent_difference_config_selectorILb1EtEEZNS1_24adjacent_difference_implIS3_Lb1ELb0EPtS7_N6thrust23THRUST_200600_302600_NS5minusItEEEE10hipError_tPvRmT2_T3_mT4_P12ihipStream_tbEUlT_E_NS1_11comp_targetILNS1_3genE8ELNS1_11target_archE1030ELNS1_3gpuE2ELNS1_3repE0EEENS1_30default_config_static_selectorELNS0_4arch9wavefront6targetE0EEEvT1_
	.globl	_ZN7rocprim17ROCPRIM_400000_NS6detail17trampoline_kernelINS0_14default_configENS1_35adjacent_difference_config_selectorILb1EtEEZNS1_24adjacent_difference_implIS3_Lb1ELb0EPtS7_N6thrust23THRUST_200600_302600_NS5minusItEEEE10hipError_tPvRmT2_T3_mT4_P12ihipStream_tbEUlT_E_NS1_11comp_targetILNS1_3genE8ELNS1_11target_archE1030ELNS1_3gpuE2ELNS1_3repE0EEENS1_30default_config_static_selectorELNS0_4arch9wavefront6targetE0EEEvT1_
	.p2align	8
	.type	_ZN7rocprim17ROCPRIM_400000_NS6detail17trampoline_kernelINS0_14default_configENS1_35adjacent_difference_config_selectorILb1EtEEZNS1_24adjacent_difference_implIS3_Lb1ELb0EPtS7_N6thrust23THRUST_200600_302600_NS5minusItEEEE10hipError_tPvRmT2_T3_mT4_P12ihipStream_tbEUlT_E_NS1_11comp_targetILNS1_3genE8ELNS1_11target_archE1030ELNS1_3gpuE2ELNS1_3repE0EEENS1_30default_config_static_selectorELNS0_4arch9wavefront6targetE0EEEvT1_,@function
_ZN7rocprim17ROCPRIM_400000_NS6detail17trampoline_kernelINS0_14default_configENS1_35adjacent_difference_config_selectorILb1EtEEZNS1_24adjacent_difference_implIS3_Lb1ELb0EPtS7_N6thrust23THRUST_200600_302600_NS5minusItEEEE10hipError_tPvRmT2_T3_mT4_P12ihipStream_tbEUlT_E_NS1_11comp_targetILNS1_3genE8ELNS1_11target_archE1030ELNS1_3gpuE2ELNS1_3repE0EEENS1_30default_config_static_selectorELNS0_4arch9wavefront6targetE0EEEvT1_: ; @_ZN7rocprim17ROCPRIM_400000_NS6detail17trampoline_kernelINS0_14default_configENS1_35adjacent_difference_config_selectorILb1EtEEZNS1_24adjacent_difference_implIS3_Lb1ELb0EPtS7_N6thrust23THRUST_200600_302600_NS5minusItEEEE10hipError_tPvRmT2_T3_mT4_P12ihipStream_tbEUlT_E_NS1_11comp_targetILNS1_3genE8ELNS1_11target_archE1030ELNS1_3gpuE2ELNS1_3repE0EEENS1_30default_config_static_selectorELNS0_4arch9wavefront6targetE0EEEvT1_
; %bb.0:
	.section	.rodata,"a",@progbits
	.p2align	6, 0x0
	.amdhsa_kernel _ZN7rocprim17ROCPRIM_400000_NS6detail17trampoline_kernelINS0_14default_configENS1_35adjacent_difference_config_selectorILb1EtEEZNS1_24adjacent_difference_implIS3_Lb1ELb0EPtS7_N6thrust23THRUST_200600_302600_NS5minusItEEEE10hipError_tPvRmT2_T3_mT4_P12ihipStream_tbEUlT_E_NS1_11comp_targetILNS1_3genE8ELNS1_11target_archE1030ELNS1_3gpuE2ELNS1_3repE0EEENS1_30default_config_static_selectorELNS0_4arch9wavefront6targetE0EEEvT1_
		.amdhsa_group_segment_fixed_size 0
		.amdhsa_private_segment_fixed_size 0
		.amdhsa_kernarg_size 56
		.amdhsa_user_sgpr_count 15
		.amdhsa_user_sgpr_dispatch_ptr 0
		.amdhsa_user_sgpr_queue_ptr 0
		.amdhsa_user_sgpr_kernarg_segment_ptr 1
		.amdhsa_user_sgpr_dispatch_id 0
		.amdhsa_user_sgpr_private_segment_size 0
		.amdhsa_wavefront_size32 1
		.amdhsa_uses_dynamic_stack 0
		.amdhsa_enable_private_segment 0
		.amdhsa_system_sgpr_workgroup_id_x 1
		.amdhsa_system_sgpr_workgroup_id_y 0
		.amdhsa_system_sgpr_workgroup_id_z 0
		.amdhsa_system_sgpr_workgroup_info 0
		.amdhsa_system_vgpr_workitem_id 0
		.amdhsa_next_free_vgpr 1
		.amdhsa_next_free_sgpr 1
		.amdhsa_reserve_vcc 0
		.amdhsa_float_round_mode_32 0
		.amdhsa_float_round_mode_16_64 0
		.amdhsa_float_denorm_mode_32 3
		.amdhsa_float_denorm_mode_16_64 3
		.amdhsa_dx10_clamp 1
		.amdhsa_ieee_mode 1
		.amdhsa_fp16_overflow 0
		.amdhsa_workgroup_processor_mode 1
		.amdhsa_memory_ordered 1
		.amdhsa_forward_progress 0
		.amdhsa_shared_vgpr_count 0
		.amdhsa_exception_fp_ieee_invalid_op 0
		.amdhsa_exception_fp_denorm_src 0
		.amdhsa_exception_fp_ieee_div_zero 0
		.amdhsa_exception_fp_ieee_overflow 0
		.amdhsa_exception_fp_ieee_underflow 0
		.amdhsa_exception_fp_ieee_inexact 0
		.amdhsa_exception_int_div_zero 0
	.end_amdhsa_kernel
	.section	.text._ZN7rocprim17ROCPRIM_400000_NS6detail17trampoline_kernelINS0_14default_configENS1_35adjacent_difference_config_selectorILb1EtEEZNS1_24adjacent_difference_implIS3_Lb1ELb0EPtS7_N6thrust23THRUST_200600_302600_NS5minusItEEEE10hipError_tPvRmT2_T3_mT4_P12ihipStream_tbEUlT_E_NS1_11comp_targetILNS1_3genE8ELNS1_11target_archE1030ELNS1_3gpuE2ELNS1_3repE0EEENS1_30default_config_static_selectorELNS0_4arch9wavefront6targetE0EEEvT1_,"axG",@progbits,_ZN7rocprim17ROCPRIM_400000_NS6detail17trampoline_kernelINS0_14default_configENS1_35adjacent_difference_config_selectorILb1EtEEZNS1_24adjacent_difference_implIS3_Lb1ELb0EPtS7_N6thrust23THRUST_200600_302600_NS5minusItEEEE10hipError_tPvRmT2_T3_mT4_P12ihipStream_tbEUlT_E_NS1_11comp_targetILNS1_3genE8ELNS1_11target_archE1030ELNS1_3gpuE2ELNS1_3repE0EEENS1_30default_config_static_selectorELNS0_4arch9wavefront6targetE0EEEvT1_,comdat
.Lfunc_end230:
	.size	_ZN7rocprim17ROCPRIM_400000_NS6detail17trampoline_kernelINS0_14default_configENS1_35adjacent_difference_config_selectorILb1EtEEZNS1_24adjacent_difference_implIS3_Lb1ELb0EPtS7_N6thrust23THRUST_200600_302600_NS5minusItEEEE10hipError_tPvRmT2_T3_mT4_P12ihipStream_tbEUlT_E_NS1_11comp_targetILNS1_3genE8ELNS1_11target_archE1030ELNS1_3gpuE2ELNS1_3repE0EEENS1_30default_config_static_selectorELNS0_4arch9wavefront6targetE0EEEvT1_, .Lfunc_end230-_ZN7rocprim17ROCPRIM_400000_NS6detail17trampoline_kernelINS0_14default_configENS1_35adjacent_difference_config_selectorILb1EtEEZNS1_24adjacent_difference_implIS3_Lb1ELb0EPtS7_N6thrust23THRUST_200600_302600_NS5minusItEEEE10hipError_tPvRmT2_T3_mT4_P12ihipStream_tbEUlT_E_NS1_11comp_targetILNS1_3genE8ELNS1_11target_archE1030ELNS1_3gpuE2ELNS1_3repE0EEENS1_30default_config_static_selectorELNS0_4arch9wavefront6targetE0EEEvT1_
                                        ; -- End function
	.section	.AMDGPU.csdata,"",@progbits
; Kernel info:
; codeLenInByte = 0
; NumSgprs: 0
; NumVgprs: 0
; ScratchSize: 0
; MemoryBound: 0
; FloatMode: 240
; IeeeMode: 1
; LDSByteSize: 0 bytes/workgroup (compile time only)
; SGPRBlocks: 0
; VGPRBlocks: 0
; NumSGPRsForWavesPerEU: 1
; NumVGPRsForWavesPerEU: 1
; Occupancy: 16
; WaveLimiterHint : 0
; COMPUTE_PGM_RSRC2:SCRATCH_EN: 0
; COMPUTE_PGM_RSRC2:USER_SGPR: 15
; COMPUTE_PGM_RSRC2:TRAP_HANDLER: 0
; COMPUTE_PGM_RSRC2:TGID_X_EN: 1
; COMPUTE_PGM_RSRC2:TGID_Y_EN: 0
; COMPUTE_PGM_RSRC2:TGID_Z_EN: 0
; COMPUTE_PGM_RSRC2:TIDIG_COMP_CNT: 0
	.section	.text._ZN7rocprim17ROCPRIM_400000_NS6detail17trampoline_kernelINS0_14default_configENS1_35adjacent_difference_config_selectorILb0EtEEZNS1_24adjacent_difference_implIS3_Lb0ELb0EPtS7_N6thrust23THRUST_200600_302600_NS4plusItEEEE10hipError_tPvRmT2_T3_mT4_P12ihipStream_tbEUlT_E_NS1_11comp_targetILNS1_3genE0ELNS1_11target_archE4294967295ELNS1_3gpuE0ELNS1_3repE0EEENS1_30default_config_static_selectorELNS0_4arch9wavefront6targetE0EEEvT1_,"axG",@progbits,_ZN7rocprim17ROCPRIM_400000_NS6detail17trampoline_kernelINS0_14default_configENS1_35adjacent_difference_config_selectorILb0EtEEZNS1_24adjacent_difference_implIS3_Lb0ELb0EPtS7_N6thrust23THRUST_200600_302600_NS4plusItEEEE10hipError_tPvRmT2_T3_mT4_P12ihipStream_tbEUlT_E_NS1_11comp_targetILNS1_3genE0ELNS1_11target_archE4294967295ELNS1_3gpuE0ELNS1_3repE0EEENS1_30default_config_static_selectorELNS0_4arch9wavefront6targetE0EEEvT1_,comdat
	.protected	_ZN7rocprim17ROCPRIM_400000_NS6detail17trampoline_kernelINS0_14default_configENS1_35adjacent_difference_config_selectorILb0EtEEZNS1_24adjacent_difference_implIS3_Lb0ELb0EPtS7_N6thrust23THRUST_200600_302600_NS4plusItEEEE10hipError_tPvRmT2_T3_mT4_P12ihipStream_tbEUlT_E_NS1_11comp_targetILNS1_3genE0ELNS1_11target_archE4294967295ELNS1_3gpuE0ELNS1_3repE0EEENS1_30default_config_static_selectorELNS0_4arch9wavefront6targetE0EEEvT1_ ; -- Begin function _ZN7rocprim17ROCPRIM_400000_NS6detail17trampoline_kernelINS0_14default_configENS1_35adjacent_difference_config_selectorILb0EtEEZNS1_24adjacent_difference_implIS3_Lb0ELb0EPtS7_N6thrust23THRUST_200600_302600_NS4plusItEEEE10hipError_tPvRmT2_T3_mT4_P12ihipStream_tbEUlT_E_NS1_11comp_targetILNS1_3genE0ELNS1_11target_archE4294967295ELNS1_3gpuE0ELNS1_3repE0EEENS1_30default_config_static_selectorELNS0_4arch9wavefront6targetE0EEEvT1_
	.globl	_ZN7rocprim17ROCPRIM_400000_NS6detail17trampoline_kernelINS0_14default_configENS1_35adjacent_difference_config_selectorILb0EtEEZNS1_24adjacent_difference_implIS3_Lb0ELb0EPtS7_N6thrust23THRUST_200600_302600_NS4plusItEEEE10hipError_tPvRmT2_T3_mT4_P12ihipStream_tbEUlT_E_NS1_11comp_targetILNS1_3genE0ELNS1_11target_archE4294967295ELNS1_3gpuE0ELNS1_3repE0EEENS1_30default_config_static_selectorELNS0_4arch9wavefront6targetE0EEEvT1_
	.p2align	8
	.type	_ZN7rocprim17ROCPRIM_400000_NS6detail17trampoline_kernelINS0_14default_configENS1_35adjacent_difference_config_selectorILb0EtEEZNS1_24adjacent_difference_implIS3_Lb0ELb0EPtS7_N6thrust23THRUST_200600_302600_NS4plusItEEEE10hipError_tPvRmT2_T3_mT4_P12ihipStream_tbEUlT_E_NS1_11comp_targetILNS1_3genE0ELNS1_11target_archE4294967295ELNS1_3gpuE0ELNS1_3repE0EEENS1_30default_config_static_selectorELNS0_4arch9wavefront6targetE0EEEvT1_,@function
_ZN7rocprim17ROCPRIM_400000_NS6detail17trampoline_kernelINS0_14default_configENS1_35adjacent_difference_config_selectorILb0EtEEZNS1_24adjacent_difference_implIS3_Lb0ELb0EPtS7_N6thrust23THRUST_200600_302600_NS4plusItEEEE10hipError_tPvRmT2_T3_mT4_P12ihipStream_tbEUlT_E_NS1_11comp_targetILNS1_3genE0ELNS1_11target_archE4294967295ELNS1_3gpuE0ELNS1_3repE0EEENS1_30default_config_static_selectorELNS0_4arch9wavefront6targetE0EEEvT1_: ; @_ZN7rocprim17ROCPRIM_400000_NS6detail17trampoline_kernelINS0_14default_configENS1_35adjacent_difference_config_selectorILb0EtEEZNS1_24adjacent_difference_implIS3_Lb0ELb0EPtS7_N6thrust23THRUST_200600_302600_NS4plusItEEEE10hipError_tPvRmT2_T3_mT4_P12ihipStream_tbEUlT_E_NS1_11comp_targetILNS1_3genE0ELNS1_11target_archE4294967295ELNS1_3gpuE0ELNS1_3repE0EEENS1_30default_config_static_selectorELNS0_4arch9wavefront6targetE0EEEvT1_
; %bb.0:
	.section	.rodata,"a",@progbits
	.p2align	6, 0x0
	.amdhsa_kernel _ZN7rocprim17ROCPRIM_400000_NS6detail17trampoline_kernelINS0_14default_configENS1_35adjacent_difference_config_selectorILb0EtEEZNS1_24adjacent_difference_implIS3_Lb0ELb0EPtS7_N6thrust23THRUST_200600_302600_NS4plusItEEEE10hipError_tPvRmT2_T3_mT4_P12ihipStream_tbEUlT_E_NS1_11comp_targetILNS1_3genE0ELNS1_11target_archE4294967295ELNS1_3gpuE0ELNS1_3repE0EEENS1_30default_config_static_selectorELNS0_4arch9wavefront6targetE0EEEvT1_
		.amdhsa_group_segment_fixed_size 0
		.amdhsa_private_segment_fixed_size 0
		.amdhsa_kernarg_size 56
		.amdhsa_user_sgpr_count 15
		.amdhsa_user_sgpr_dispatch_ptr 0
		.amdhsa_user_sgpr_queue_ptr 0
		.amdhsa_user_sgpr_kernarg_segment_ptr 1
		.amdhsa_user_sgpr_dispatch_id 0
		.amdhsa_user_sgpr_private_segment_size 0
		.amdhsa_wavefront_size32 1
		.amdhsa_uses_dynamic_stack 0
		.amdhsa_enable_private_segment 0
		.amdhsa_system_sgpr_workgroup_id_x 1
		.amdhsa_system_sgpr_workgroup_id_y 0
		.amdhsa_system_sgpr_workgroup_id_z 0
		.amdhsa_system_sgpr_workgroup_info 0
		.amdhsa_system_vgpr_workitem_id 0
		.amdhsa_next_free_vgpr 1
		.amdhsa_next_free_sgpr 1
		.amdhsa_reserve_vcc 0
		.amdhsa_float_round_mode_32 0
		.amdhsa_float_round_mode_16_64 0
		.amdhsa_float_denorm_mode_32 3
		.amdhsa_float_denorm_mode_16_64 3
		.amdhsa_dx10_clamp 1
		.amdhsa_ieee_mode 1
		.amdhsa_fp16_overflow 0
		.amdhsa_workgroup_processor_mode 1
		.amdhsa_memory_ordered 1
		.amdhsa_forward_progress 0
		.amdhsa_shared_vgpr_count 0
		.amdhsa_exception_fp_ieee_invalid_op 0
		.amdhsa_exception_fp_denorm_src 0
		.amdhsa_exception_fp_ieee_div_zero 0
		.amdhsa_exception_fp_ieee_overflow 0
		.amdhsa_exception_fp_ieee_underflow 0
		.amdhsa_exception_fp_ieee_inexact 0
		.amdhsa_exception_int_div_zero 0
	.end_amdhsa_kernel
	.section	.text._ZN7rocprim17ROCPRIM_400000_NS6detail17trampoline_kernelINS0_14default_configENS1_35adjacent_difference_config_selectorILb0EtEEZNS1_24adjacent_difference_implIS3_Lb0ELb0EPtS7_N6thrust23THRUST_200600_302600_NS4plusItEEEE10hipError_tPvRmT2_T3_mT4_P12ihipStream_tbEUlT_E_NS1_11comp_targetILNS1_3genE0ELNS1_11target_archE4294967295ELNS1_3gpuE0ELNS1_3repE0EEENS1_30default_config_static_selectorELNS0_4arch9wavefront6targetE0EEEvT1_,"axG",@progbits,_ZN7rocprim17ROCPRIM_400000_NS6detail17trampoline_kernelINS0_14default_configENS1_35adjacent_difference_config_selectorILb0EtEEZNS1_24adjacent_difference_implIS3_Lb0ELb0EPtS7_N6thrust23THRUST_200600_302600_NS4plusItEEEE10hipError_tPvRmT2_T3_mT4_P12ihipStream_tbEUlT_E_NS1_11comp_targetILNS1_3genE0ELNS1_11target_archE4294967295ELNS1_3gpuE0ELNS1_3repE0EEENS1_30default_config_static_selectorELNS0_4arch9wavefront6targetE0EEEvT1_,comdat
.Lfunc_end231:
	.size	_ZN7rocprim17ROCPRIM_400000_NS6detail17trampoline_kernelINS0_14default_configENS1_35adjacent_difference_config_selectorILb0EtEEZNS1_24adjacent_difference_implIS3_Lb0ELb0EPtS7_N6thrust23THRUST_200600_302600_NS4plusItEEEE10hipError_tPvRmT2_T3_mT4_P12ihipStream_tbEUlT_E_NS1_11comp_targetILNS1_3genE0ELNS1_11target_archE4294967295ELNS1_3gpuE0ELNS1_3repE0EEENS1_30default_config_static_selectorELNS0_4arch9wavefront6targetE0EEEvT1_, .Lfunc_end231-_ZN7rocprim17ROCPRIM_400000_NS6detail17trampoline_kernelINS0_14default_configENS1_35adjacent_difference_config_selectorILb0EtEEZNS1_24adjacent_difference_implIS3_Lb0ELb0EPtS7_N6thrust23THRUST_200600_302600_NS4plusItEEEE10hipError_tPvRmT2_T3_mT4_P12ihipStream_tbEUlT_E_NS1_11comp_targetILNS1_3genE0ELNS1_11target_archE4294967295ELNS1_3gpuE0ELNS1_3repE0EEENS1_30default_config_static_selectorELNS0_4arch9wavefront6targetE0EEEvT1_
                                        ; -- End function
	.section	.AMDGPU.csdata,"",@progbits
; Kernel info:
; codeLenInByte = 0
; NumSgprs: 0
; NumVgprs: 0
; ScratchSize: 0
; MemoryBound: 0
; FloatMode: 240
; IeeeMode: 1
; LDSByteSize: 0 bytes/workgroup (compile time only)
; SGPRBlocks: 0
; VGPRBlocks: 0
; NumSGPRsForWavesPerEU: 1
; NumVGPRsForWavesPerEU: 1
; Occupancy: 16
; WaveLimiterHint : 0
; COMPUTE_PGM_RSRC2:SCRATCH_EN: 0
; COMPUTE_PGM_RSRC2:USER_SGPR: 15
; COMPUTE_PGM_RSRC2:TRAP_HANDLER: 0
; COMPUTE_PGM_RSRC2:TGID_X_EN: 1
; COMPUTE_PGM_RSRC2:TGID_Y_EN: 0
; COMPUTE_PGM_RSRC2:TGID_Z_EN: 0
; COMPUTE_PGM_RSRC2:TIDIG_COMP_CNT: 0
	.section	.text._ZN7rocprim17ROCPRIM_400000_NS6detail17trampoline_kernelINS0_14default_configENS1_35adjacent_difference_config_selectorILb0EtEEZNS1_24adjacent_difference_implIS3_Lb0ELb0EPtS7_N6thrust23THRUST_200600_302600_NS4plusItEEEE10hipError_tPvRmT2_T3_mT4_P12ihipStream_tbEUlT_E_NS1_11comp_targetILNS1_3genE10ELNS1_11target_archE1201ELNS1_3gpuE5ELNS1_3repE0EEENS1_30default_config_static_selectorELNS0_4arch9wavefront6targetE0EEEvT1_,"axG",@progbits,_ZN7rocprim17ROCPRIM_400000_NS6detail17trampoline_kernelINS0_14default_configENS1_35adjacent_difference_config_selectorILb0EtEEZNS1_24adjacent_difference_implIS3_Lb0ELb0EPtS7_N6thrust23THRUST_200600_302600_NS4plusItEEEE10hipError_tPvRmT2_T3_mT4_P12ihipStream_tbEUlT_E_NS1_11comp_targetILNS1_3genE10ELNS1_11target_archE1201ELNS1_3gpuE5ELNS1_3repE0EEENS1_30default_config_static_selectorELNS0_4arch9wavefront6targetE0EEEvT1_,comdat
	.protected	_ZN7rocprim17ROCPRIM_400000_NS6detail17trampoline_kernelINS0_14default_configENS1_35adjacent_difference_config_selectorILb0EtEEZNS1_24adjacent_difference_implIS3_Lb0ELb0EPtS7_N6thrust23THRUST_200600_302600_NS4plusItEEEE10hipError_tPvRmT2_T3_mT4_P12ihipStream_tbEUlT_E_NS1_11comp_targetILNS1_3genE10ELNS1_11target_archE1201ELNS1_3gpuE5ELNS1_3repE0EEENS1_30default_config_static_selectorELNS0_4arch9wavefront6targetE0EEEvT1_ ; -- Begin function _ZN7rocprim17ROCPRIM_400000_NS6detail17trampoline_kernelINS0_14default_configENS1_35adjacent_difference_config_selectorILb0EtEEZNS1_24adjacent_difference_implIS3_Lb0ELb0EPtS7_N6thrust23THRUST_200600_302600_NS4plusItEEEE10hipError_tPvRmT2_T3_mT4_P12ihipStream_tbEUlT_E_NS1_11comp_targetILNS1_3genE10ELNS1_11target_archE1201ELNS1_3gpuE5ELNS1_3repE0EEENS1_30default_config_static_selectorELNS0_4arch9wavefront6targetE0EEEvT1_
	.globl	_ZN7rocprim17ROCPRIM_400000_NS6detail17trampoline_kernelINS0_14default_configENS1_35adjacent_difference_config_selectorILb0EtEEZNS1_24adjacent_difference_implIS3_Lb0ELb0EPtS7_N6thrust23THRUST_200600_302600_NS4plusItEEEE10hipError_tPvRmT2_T3_mT4_P12ihipStream_tbEUlT_E_NS1_11comp_targetILNS1_3genE10ELNS1_11target_archE1201ELNS1_3gpuE5ELNS1_3repE0EEENS1_30default_config_static_selectorELNS0_4arch9wavefront6targetE0EEEvT1_
	.p2align	8
	.type	_ZN7rocprim17ROCPRIM_400000_NS6detail17trampoline_kernelINS0_14default_configENS1_35adjacent_difference_config_selectorILb0EtEEZNS1_24adjacent_difference_implIS3_Lb0ELb0EPtS7_N6thrust23THRUST_200600_302600_NS4plusItEEEE10hipError_tPvRmT2_T3_mT4_P12ihipStream_tbEUlT_E_NS1_11comp_targetILNS1_3genE10ELNS1_11target_archE1201ELNS1_3gpuE5ELNS1_3repE0EEENS1_30default_config_static_selectorELNS0_4arch9wavefront6targetE0EEEvT1_,@function
_ZN7rocprim17ROCPRIM_400000_NS6detail17trampoline_kernelINS0_14default_configENS1_35adjacent_difference_config_selectorILb0EtEEZNS1_24adjacent_difference_implIS3_Lb0ELb0EPtS7_N6thrust23THRUST_200600_302600_NS4plusItEEEE10hipError_tPvRmT2_T3_mT4_P12ihipStream_tbEUlT_E_NS1_11comp_targetILNS1_3genE10ELNS1_11target_archE1201ELNS1_3gpuE5ELNS1_3repE0EEENS1_30default_config_static_selectorELNS0_4arch9wavefront6targetE0EEEvT1_: ; @_ZN7rocprim17ROCPRIM_400000_NS6detail17trampoline_kernelINS0_14default_configENS1_35adjacent_difference_config_selectorILb0EtEEZNS1_24adjacent_difference_implIS3_Lb0ELb0EPtS7_N6thrust23THRUST_200600_302600_NS4plusItEEEE10hipError_tPvRmT2_T3_mT4_P12ihipStream_tbEUlT_E_NS1_11comp_targetILNS1_3genE10ELNS1_11target_archE1201ELNS1_3gpuE5ELNS1_3repE0EEENS1_30default_config_static_selectorELNS0_4arch9wavefront6targetE0EEEvT1_
; %bb.0:
	.section	.rodata,"a",@progbits
	.p2align	6, 0x0
	.amdhsa_kernel _ZN7rocprim17ROCPRIM_400000_NS6detail17trampoline_kernelINS0_14default_configENS1_35adjacent_difference_config_selectorILb0EtEEZNS1_24adjacent_difference_implIS3_Lb0ELb0EPtS7_N6thrust23THRUST_200600_302600_NS4plusItEEEE10hipError_tPvRmT2_T3_mT4_P12ihipStream_tbEUlT_E_NS1_11comp_targetILNS1_3genE10ELNS1_11target_archE1201ELNS1_3gpuE5ELNS1_3repE0EEENS1_30default_config_static_selectorELNS0_4arch9wavefront6targetE0EEEvT1_
		.amdhsa_group_segment_fixed_size 0
		.amdhsa_private_segment_fixed_size 0
		.amdhsa_kernarg_size 56
		.amdhsa_user_sgpr_count 15
		.amdhsa_user_sgpr_dispatch_ptr 0
		.amdhsa_user_sgpr_queue_ptr 0
		.amdhsa_user_sgpr_kernarg_segment_ptr 1
		.amdhsa_user_sgpr_dispatch_id 0
		.amdhsa_user_sgpr_private_segment_size 0
		.amdhsa_wavefront_size32 1
		.amdhsa_uses_dynamic_stack 0
		.amdhsa_enable_private_segment 0
		.amdhsa_system_sgpr_workgroup_id_x 1
		.amdhsa_system_sgpr_workgroup_id_y 0
		.amdhsa_system_sgpr_workgroup_id_z 0
		.amdhsa_system_sgpr_workgroup_info 0
		.amdhsa_system_vgpr_workitem_id 0
		.amdhsa_next_free_vgpr 1
		.amdhsa_next_free_sgpr 1
		.amdhsa_reserve_vcc 0
		.amdhsa_float_round_mode_32 0
		.amdhsa_float_round_mode_16_64 0
		.amdhsa_float_denorm_mode_32 3
		.amdhsa_float_denorm_mode_16_64 3
		.amdhsa_dx10_clamp 1
		.amdhsa_ieee_mode 1
		.amdhsa_fp16_overflow 0
		.amdhsa_workgroup_processor_mode 1
		.amdhsa_memory_ordered 1
		.amdhsa_forward_progress 0
		.amdhsa_shared_vgpr_count 0
		.amdhsa_exception_fp_ieee_invalid_op 0
		.amdhsa_exception_fp_denorm_src 0
		.amdhsa_exception_fp_ieee_div_zero 0
		.amdhsa_exception_fp_ieee_overflow 0
		.amdhsa_exception_fp_ieee_underflow 0
		.amdhsa_exception_fp_ieee_inexact 0
		.amdhsa_exception_int_div_zero 0
	.end_amdhsa_kernel
	.section	.text._ZN7rocprim17ROCPRIM_400000_NS6detail17trampoline_kernelINS0_14default_configENS1_35adjacent_difference_config_selectorILb0EtEEZNS1_24adjacent_difference_implIS3_Lb0ELb0EPtS7_N6thrust23THRUST_200600_302600_NS4plusItEEEE10hipError_tPvRmT2_T3_mT4_P12ihipStream_tbEUlT_E_NS1_11comp_targetILNS1_3genE10ELNS1_11target_archE1201ELNS1_3gpuE5ELNS1_3repE0EEENS1_30default_config_static_selectorELNS0_4arch9wavefront6targetE0EEEvT1_,"axG",@progbits,_ZN7rocprim17ROCPRIM_400000_NS6detail17trampoline_kernelINS0_14default_configENS1_35adjacent_difference_config_selectorILb0EtEEZNS1_24adjacent_difference_implIS3_Lb0ELb0EPtS7_N6thrust23THRUST_200600_302600_NS4plusItEEEE10hipError_tPvRmT2_T3_mT4_P12ihipStream_tbEUlT_E_NS1_11comp_targetILNS1_3genE10ELNS1_11target_archE1201ELNS1_3gpuE5ELNS1_3repE0EEENS1_30default_config_static_selectorELNS0_4arch9wavefront6targetE0EEEvT1_,comdat
.Lfunc_end232:
	.size	_ZN7rocprim17ROCPRIM_400000_NS6detail17trampoline_kernelINS0_14default_configENS1_35adjacent_difference_config_selectorILb0EtEEZNS1_24adjacent_difference_implIS3_Lb0ELb0EPtS7_N6thrust23THRUST_200600_302600_NS4plusItEEEE10hipError_tPvRmT2_T3_mT4_P12ihipStream_tbEUlT_E_NS1_11comp_targetILNS1_3genE10ELNS1_11target_archE1201ELNS1_3gpuE5ELNS1_3repE0EEENS1_30default_config_static_selectorELNS0_4arch9wavefront6targetE0EEEvT1_, .Lfunc_end232-_ZN7rocprim17ROCPRIM_400000_NS6detail17trampoline_kernelINS0_14default_configENS1_35adjacent_difference_config_selectorILb0EtEEZNS1_24adjacent_difference_implIS3_Lb0ELb0EPtS7_N6thrust23THRUST_200600_302600_NS4plusItEEEE10hipError_tPvRmT2_T3_mT4_P12ihipStream_tbEUlT_E_NS1_11comp_targetILNS1_3genE10ELNS1_11target_archE1201ELNS1_3gpuE5ELNS1_3repE0EEENS1_30default_config_static_selectorELNS0_4arch9wavefront6targetE0EEEvT1_
                                        ; -- End function
	.section	.AMDGPU.csdata,"",@progbits
; Kernel info:
; codeLenInByte = 0
; NumSgprs: 0
; NumVgprs: 0
; ScratchSize: 0
; MemoryBound: 0
; FloatMode: 240
; IeeeMode: 1
; LDSByteSize: 0 bytes/workgroup (compile time only)
; SGPRBlocks: 0
; VGPRBlocks: 0
; NumSGPRsForWavesPerEU: 1
; NumVGPRsForWavesPerEU: 1
; Occupancy: 16
; WaveLimiterHint : 0
; COMPUTE_PGM_RSRC2:SCRATCH_EN: 0
; COMPUTE_PGM_RSRC2:USER_SGPR: 15
; COMPUTE_PGM_RSRC2:TRAP_HANDLER: 0
; COMPUTE_PGM_RSRC2:TGID_X_EN: 1
; COMPUTE_PGM_RSRC2:TGID_Y_EN: 0
; COMPUTE_PGM_RSRC2:TGID_Z_EN: 0
; COMPUTE_PGM_RSRC2:TIDIG_COMP_CNT: 0
	.section	.text._ZN7rocprim17ROCPRIM_400000_NS6detail17trampoline_kernelINS0_14default_configENS1_35adjacent_difference_config_selectorILb0EtEEZNS1_24adjacent_difference_implIS3_Lb0ELb0EPtS7_N6thrust23THRUST_200600_302600_NS4plusItEEEE10hipError_tPvRmT2_T3_mT4_P12ihipStream_tbEUlT_E_NS1_11comp_targetILNS1_3genE5ELNS1_11target_archE942ELNS1_3gpuE9ELNS1_3repE0EEENS1_30default_config_static_selectorELNS0_4arch9wavefront6targetE0EEEvT1_,"axG",@progbits,_ZN7rocprim17ROCPRIM_400000_NS6detail17trampoline_kernelINS0_14default_configENS1_35adjacent_difference_config_selectorILb0EtEEZNS1_24adjacent_difference_implIS3_Lb0ELb0EPtS7_N6thrust23THRUST_200600_302600_NS4plusItEEEE10hipError_tPvRmT2_T3_mT4_P12ihipStream_tbEUlT_E_NS1_11comp_targetILNS1_3genE5ELNS1_11target_archE942ELNS1_3gpuE9ELNS1_3repE0EEENS1_30default_config_static_selectorELNS0_4arch9wavefront6targetE0EEEvT1_,comdat
	.protected	_ZN7rocprim17ROCPRIM_400000_NS6detail17trampoline_kernelINS0_14default_configENS1_35adjacent_difference_config_selectorILb0EtEEZNS1_24adjacent_difference_implIS3_Lb0ELb0EPtS7_N6thrust23THRUST_200600_302600_NS4plusItEEEE10hipError_tPvRmT2_T3_mT4_P12ihipStream_tbEUlT_E_NS1_11comp_targetILNS1_3genE5ELNS1_11target_archE942ELNS1_3gpuE9ELNS1_3repE0EEENS1_30default_config_static_selectorELNS0_4arch9wavefront6targetE0EEEvT1_ ; -- Begin function _ZN7rocprim17ROCPRIM_400000_NS6detail17trampoline_kernelINS0_14default_configENS1_35adjacent_difference_config_selectorILb0EtEEZNS1_24adjacent_difference_implIS3_Lb0ELb0EPtS7_N6thrust23THRUST_200600_302600_NS4plusItEEEE10hipError_tPvRmT2_T3_mT4_P12ihipStream_tbEUlT_E_NS1_11comp_targetILNS1_3genE5ELNS1_11target_archE942ELNS1_3gpuE9ELNS1_3repE0EEENS1_30default_config_static_selectorELNS0_4arch9wavefront6targetE0EEEvT1_
	.globl	_ZN7rocprim17ROCPRIM_400000_NS6detail17trampoline_kernelINS0_14default_configENS1_35adjacent_difference_config_selectorILb0EtEEZNS1_24adjacent_difference_implIS3_Lb0ELb0EPtS7_N6thrust23THRUST_200600_302600_NS4plusItEEEE10hipError_tPvRmT2_T3_mT4_P12ihipStream_tbEUlT_E_NS1_11comp_targetILNS1_3genE5ELNS1_11target_archE942ELNS1_3gpuE9ELNS1_3repE0EEENS1_30default_config_static_selectorELNS0_4arch9wavefront6targetE0EEEvT1_
	.p2align	8
	.type	_ZN7rocprim17ROCPRIM_400000_NS6detail17trampoline_kernelINS0_14default_configENS1_35adjacent_difference_config_selectorILb0EtEEZNS1_24adjacent_difference_implIS3_Lb0ELb0EPtS7_N6thrust23THRUST_200600_302600_NS4plusItEEEE10hipError_tPvRmT2_T3_mT4_P12ihipStream_tbEUlT_E_NS1_11comp_targetILNS1_3genE5ELNS1_11target_archE942ELNS1_3gpuE9ELNS1_3repE0EEENS1_30default_config_static_selectorELNS0_4arch9wavefront6targetE0EEEvT1_,@function
_ZN7rocprim17ROCPRIM_400000_NS6detail17trampoline_kernelINS0_14default_configENS1_35adjacent_difference_config_selectorILb0EtEEZNS1_24adjacent_difference_implIS3_Lb0ELb0EPtS7_N6thrust23THRUST_200600_302600_NS4plusItEEEE10hipError_tPvRmT2_T3_mT4_P12ihipStream_tbEUlT_E_NS1_11comp_targetILNS1_3genE5ELNS1_11target_archE942ELNS1_3gpuE9ELNS1_3repE0EEENS1_30default_config_static_selectorELNS0_4arch9wavefront6targetE0EEEvT1_: ; @_ZN7rocprim17ROCPRIM_400000_NS6detail17trampoline_kernelINS0_14default_configENS1_35adjacent_difference_config_selectorILb0EtEEZNS1_24adjacent_difference_implIS3_Lb0ELb0EPtS7_N6thrust23THRUST_200600_302600_NS4plusItEEEE10hipError_tPvRmT2_T3_mT4_P12ihipStream_tbEUlT_E_NS1_11comp_targetILNS1_3genE5ELNS1_11target_archE942ELNS1_3gpuE9ELNS1_3repE0EEENS1_30default_config_static_selectorELNS0_4arch9wavefront6targetE0EEEvT1_
; %bb.0:
	.section	.rodata,"a",@progbits
	.p2align	6, 0x0
	.amdhsa_kernel _ZN7rocprim17ROCPRIM_400000_NS6detail17trampoline_kernelINS0_14default_configENS1_35adjacent_difference_config_selectorILb0EtEEZNS1_24adjacent_difference_implIS3_Lb0ELb0EPtS7_N6thrust23THRUST_200600_302600_NS4plusItEEEE10hipError_tPvRmT2_T3_mT4_P12ihipStream_tbEUlT_E_NS1_11comp_targetILNS1_3genE5ELNS1_11target_archE942ELNS1_3gpuE9ELNS1_3repE0EEENS1_30default_config_static_selectorELNS0_4arch9wavefront6targetE0EEEvT1_
		.amdhsa_group_segment_fixed_size 0
		.amdhsa_private_segment_fixed_size 0
		.amdhsa_kernarg_size 56
		.amdhsa_user_sgpr_count 15
		.amdhsa_user_sgpr_dispatch_ptr 0
		.amdhsa_user_sgpr_queue_ptr 0
		.amdhsa_user_sgpr_kernarg_segment_ptr 1
		.amdhsa_user_sgpr_dispatch_id 0
		.amdhsa_user_sgpr_private_segment_size 0
		.amdhsa_wavefront_size32 1
		.amdhsa_uses_dynamic_stack 0
		.amdhsa_enable_private_segment 0
		.amdhsa_system_sgpr_workgroup_id_x 1
		.amdhsa_system_sgpr_workgroup_id_y 0
		.amdhsa_system_sgpr_workgroup_id_z 0
		.amdhsa_system_sgpr_workgroup_info 0
		.amdhsa_system_vgpr_workitem_id 0
		.amdhsa_next_free_vgpr 1
		.amdhsa_next_free_sgpr 1
		.amdhsa_reserve_vcc 0
		.amdhsa_float_round_mode_32 0
		.amdhsa_float_round_mode_16_64 0
		.amdhsa_float_denorm_mode_32 3
		.amdhsa_float_denorm_mode_16_64 3
		.amdhsa_dx10_clamp 1
		.amdhsa_ieee_mode 1
		.amdhsa_fp16_overflow 0
		.amdhsa_workgroup_processor_mode 1
		.amdhsa_memory_ordered 1
		.amdhsa_forward_progress 0
		.amdhsa_shared_vgpr_count 0
		.amdhsa_exception_fp_ieee_invalid_op 0
		.amdhsa_exception_fp_denorm_src 0
		.amdhsa_exception_fp_ieee_div_zero 0
		.amdhsa_exception_fp_ieee_overflow 0
		.amdhsa_exception_fp_ieee_underflow 0
		.amdhsa_exception_fp_ieee_inexact 0
		.amdhsa_exception_int_div_zero 0
	.end_amdhsa_kernel
	.section	.text._ZN7rocprim17ROCPRIM_400000_NS6detail17trampoline_kernelINS0_14default_configENS1_35adjacent_difference_config_selectorILb0EtEEZNS1_24adjacent_difference_implIS3_Lb0ELb0EPtS7_N6thrust23THRUST_200600_302600_NS4plusItEEEE10hipError_tPvRmT2_T3_mT4_P12ihipStream_tbEUlT_E_NS1_11comp_targetILNS1_3genE5ELNS1_11target_archE942ELNS1_3gpuE9ELNS1_3repE0EEENS1_30default_config_static_selectorELNS0_4arch9wavefront6targetE0EEEvT1_,"axG",@progbits,_ZN7rocprim17ROCPRIM_400000_NS6detail17trampoline_kernelINS0_14default_configENS1_35adjacent_difference_config_selectorILb0EtEEZNS1_24adjacent_difference_implIS3_Lb0ELb0EPtS7_N6thrust23THRUST_200600_302600_NS4plusItEEEE10hipError_tPvRmT2_T3_mT4_P12ihipStream_tbEUlT_E_NS1_11comp_targetILNS1_3genE5ELNS1_11target_archE942ELNS1_3gpuE9ELNS1_3repE0EEENS1_30default_config_static_selectorELNS0_4arch9wavefront6targetE0EEEvT1_,comdat
.Lfunc_end233:
	.size	_ZN7rocprim17ROCPRIM_400000_NS6detail17trampoline_kernelINS0_14default_configENS1_35adjacent_difference_config_selectorILb0EtEEZNS1_24adjacent_difference_implIS3_Lb0ELb0EPtS7_N6thrust23THRUST_200600_302600_NS4plusItEEEE10hipError_tPvRmT2_T3_mT4_P12ihipStream_tbEUlT_E_NS1_11comp_targetILNS1_3genE5ELNS1_11target_archE942ELNS1_3gpuE9ELNS1_3repE0EEENS1_30default_config_static_selectorELNS0_4arch9wavefront6targetE0EEEvT1_, .Lfunc_end233-_ZN7rocprim17ROCPRIM_400000_NS6detail17trampoline_kernelINS0_14default_configENS1_35adjacent_difference_config_selectorILb0EtEEZNS1_24adjacent_difference_implIS3_Lb0ELb0EPtS7_N6thrust23THRUST_200600_302600_NS4plusItEEEE10hipError_tPvRmT2_T3_mT4_P12ihipStream_tbEUlT_E_NS1_11comp_targetILNS1_3genE5ELNS1_11target_archE942ELNS1_3gpuE9ELNS1_3repE0EEENS1_30default_config_static_selectorELNS0_4arch9wavefront6targetE0EEEvT1_
                                        ; -- End function
	.section	.AMDGPU.csdata,"",@progbits
; Kernel info:
; codeLenInByte = 0
; NumSgprs: 0
; NumVgprs: 0
; ScratchSize: 0
; MemoryBound: 0
; FloatMode: 240
; IeeeMode: 1
; LDSByteSize: 0 bytes/workgroup (compile time only)
; SGPRBlocks: 0
; VGPRBlocks: 0
; NumSGPRsForWavesPerEU: 1
; NumVGPRsForWavesPerEU: 1
; Occupancy: 16
; WaveLimiterHint : 0
; COMPUTE_PGM_RSRC2:SCRATCH_EN: 0
; COMPUTE_PGM_RSRC2:USER_SGPR: 15
; COMPUTE_PGM_RSRC2:TRAP_HANDLER: 0
; COMPUTE_PGM_RSRC2:TGID_X_EN: 1
; COMPUTE_PGM_RSRC2:TGID_Y_EN: 0
; COMPUTE_PGM_RSRC2:TGID_Z_EN: 0
; COMPUTE_PGM_RSRC2:TIDIG_COMP_CNT: 0
	.section	.text._ZN7rocprim17ROCPRIM_400000_NS6detail17trampoline_kernelINS0_14default_configENS1_35adjacent_difference_config_selectorILb0EtEEZNS1_24adjacent_difference_implIS3_Lb0ELb0EPtS7_N6thrust23THRUST_200600_302600_NS4plusItEEEE10hipError_tPvRmT2_T3_mT4_P12ihipStream_tbEUlT_E_NS1_11comp_targetILNS1_3genE4ELNS1_11target_archE910ELNS1_3gpuE8ELNS1_3repE0EEENS1_30default_config_static_selectorELNS0_4arch9wavefront6targetE0EEEvT1_,"axG",@progbits,_ZN7rocprim17ROCPRIM_400000_NS6detail17trampoline_kernelINS0_14default_configENS1_35adjacent_difference_config_selectorILb0EtEEZNS1_24adjacent_difference_implIS3_Lb0ELb0EPtS7_N6thrust23THRUST_200600_302600_NS4plusItEEEE10hipError_tPvRmT2_T3_mT4_P12ihipStream_tbEUlT_E_NS1_11comp_targetILNS1_3genE4ELNS1_11target_archE910ELNS1_3gpuE8ELNS1_3repE0EEENS1_30default_config_static_selectorELNS0_4arch9wavefront6targetE0EEEvT1_,comdat
	.protected	_ZN7rocprim17ROCPRIM_400000_NS6detail17trampoline_kernelINS0_14default_configENS1_35adjacent_difference_config_selectorILb0EtEEZNS1_24adjacent_difference_implIS3_Lb0ELb0EPtS7_N6thrust23THRUST_200600_302600_NS4plusItEEEE10hipError_tPvRmT2_T3_mT4_P12ihipStream_tbEUlT_E_NS1_11comp_targetILNS1_3genE4ELNS1_11target_archE910ELNS1_3gpuE8ELNS1_3repE0EEENS1_30default_config_static_selectorELNS0_4arch9wavefront6targetE0EEEvT1_ ; -- Begin function _ZN7rocprim17ROCPRIM_400000_NS6detail17trampoline_kernelINS0_14default_configENS1_35adjacent_difference_config_selectorILb0EtEEZNS1_24adjacent_difference_implIS3_Lb0ELb0EPtS7_N6thrust23THRUST_200600_302600_NS4plusItEEEE10hipError_tPvRmT2_T3_mT4_P12ihipStream_tbEUlT_E_NS1_11comp_targetILNS1_3genE4ELNS1_11target_archE910ELNS1_3gpuE8ELNS1_3repE0EEENS1_30default_config_static_selectorELNS0_4arch9wavefront6targetE0EEEvT1_
	.globl	_ZN7rocprim17ROCPRIM_400000_NS6detail17trampoline_kernelINS0_14default_configENS1_35adjacent_difference_config_selectorILb0EtEEZNS1_24adjacent_difference_implIS3_Lb0ELb0EPtS7_N6thrust23THRUST_200600_302600_NS4plusItEEEE10hipError_tPvRmT2_T3_mT4_P12ihipStream_tbEUlT_E_NS1_11comp_targetILNS1_3genE4ELNS1_11target_archE910ELNS1_3gpuE8ELNS1_3repE0EEENS1_30default_config_static_selectorELNS0_4arch9wavefront6targetE0EEEvT1_
	.p2align	8
	.type	_ZN7rocprim17ROCPRIM_400000_NS6detail17trampoline_kernelINS0_14default_configENS1_35adjacent_difference_config_selectorILb0EtEEZNS1_24adjacent_difference_implIS3_Lb0ELb0EPtS7_N6thrust23THRUST_200600_302600_NS4plusItEEEE10hipError_tPvRmT2_T3_mT4_P12ihipStream_tbEUlT_E_NS1_11comp_targetILNS1_3genE4ELNS1_11target_archE910ELNS1_3gpuE8ELNS1_3repE0EEENS1_30default_config_static_selectorELNS0_4arch9wavefront6targetE0EEEvT1_,@function
_ZN7rocprim17ROCPRIM_400000_NS6detail17trampoline_kernelINS0_14default_configENS1_35adjacent_difference_config_selectorILb0EtEEZNS1_24adjacent_difference_implIS3_Lb0ELb0EPtS7_N6thrust23THRUST_200600_302600_NS4plusItEEEE10hipError_tPvRmT2_T3_mT4_P12ihipStream_tbEUlT_E_NS1_11comp_targetILNS1_3genE4ELNS1_11target_archE910ELNS1_3gpuE8ELNS1_3repE0EEENS1_30default_config_static_selectorELNS0_4arch9wavefront6targetE0EEEvT1_: ; @_ZN7rocprim17ROCPRIM_400000_NS6detail17trampoline_kernelINS0_14default_configENS1_35adjacent_difference_config_selectorILb0EtEEZNS1_24adjacent_difference_implIS3_Lb0ELb0EPtS7_N6thrust23THRUST_200600_302600_NS4plusItEEEE10hipError_tPvRmT2_T3_mT4_P12ihipStream_tbEUlT_E_NS1_11comp_targetILNS1_3genE4ELNS1_11target_archE910ELNS1_3gpuE8ELNS1_3repE0EEENS1_30default_config_static_selectorELNS0_4arch9wavefront6targetE0EEEvT1_
; %bb.0:
	.section	.rodata,"a",@progbits
	.p2align	6, 0x0
	.amdhsa_kernel _ZN7rocprim17ROCPRIM_400000_NS6detail17trampoline_kernelINS0_14default_configENS1_35adjacent_difference_config_selectorILb0EtEEZNS1_24adjacent_difference_implIS3_Lb0ELb0EPtS7_N6thrust23THRUST_200600_302600_NS4plusItEEEE10hipError_tPvRmT2_T3_mT4_P12ihipStream_tbEUlT_E_NS1_11comp_targetILNS1_3genE4ELNS1_11target_archE910ELNS1_3gpuE8ELNS1_3repE0EEENS1_30default_config_static_selectorELNS0_4arch9wavefront6targetE0EEEvT1_
		.amdhsa_group_segment_fixed_size 0
		.amdhsa_private_segment_fixed_size 0
		.amdhsa_kernarg_size 56
		.amdhsa_user_sgpr_count 15
		.amdhsa_user_sgpr_dispatch_ptr 0
		.amdhsa_user_sgpr_queue_ptr 0
		.amdhsa_user_sgpr_kernarg_segment_ptr 1
		.amdhsa_user_sgpr_dispatch_id 0
		.amdhsa_user_sgpr_private_segment_size 0
		.amdhsa_wavefront_size32 1
		.amdhsa_uses_dynamic_stack 0
		.amdhsa_enable_private_segment 0
		.amdhsa_system_sgpr_workgroup_id_x 1
		.amdhsa_system_sgpr_workgroup_id_y 0
		.amdhsa_system_sgpr_workgroup_id_z 0
		.amdhsa_system_sgpr_workgroup_info 0
		.amdhsa_system_vgpr_workitem_id 0
		.amdhsa_next_free_vgpr 1
		.amdhsa_next_free_sgpr 1
		.amdhsa_reserve_vcc 0
		.amdhsa_float_round_mode_32 0
		.amdhsa_float_round_mode_16_64 0
		.amdhsa_float_denorm_mode_32 3
		.amdhsa_float_denorm_mode_16_64 3
		.amdhsa_dx10_clamp 1
		.amdhsa_ieee_mode 1
		.amdhsa_fp16_overflow 0
		.amdhsa_workgroup_processor_mode 1
		.amdhsa_memory_ordered 1
		.amdhsa_forward_progress 0
		.amdhsa_shared_vgpr_count 0
		.amdhsa_exception_fp_ieee_invalid_op 0
		.amdhsa_exception_fp_denorm_src 0
		.amdhsa_exception_fp_ieee_div_zero 0
		.amdhsa_exception_fp_ieee_overflow 0
		.amdhsa_exception_fp_ieee_underflow 0
		.amdhsa_exception_fp_ieee_inexact 0
		.amdhsa_exception_int_div_zero 0
	.end_amdhsa_kernel
	.section	.text._ZN7rocprim17ROCPRIM_400000_NS6detail17trampoline_kernelINS0_14default_configENS1_35adjacent_difference_config_selectorILb0EtEEZNS1_24adjacent_difference_implIS3_Lb0ELb0EPtS7_N6thrust23THRUST_200600_302600_NS4plusItEEEE10hipError_tPvRmT2_T3_mT4_P12ihipStream_tbEUlT_E_NS1_11comp_targetILNS1_3genE4ELNS1_11target_archE910ELNS1_3gpuE8ELNS1_3repE0EEENS1_30default_config_static_selectorELNS0_4arch9wavefront6targetE0EEEvT1_,"axG",@progbits,_ZN7rocprim17ROCPRIM_400000_NS6detail17trampoline_kernelINS0_14default_configENS1_35adjacent_difference_config_selectorILb0EtEEZNS1_24adjacent_difference_implIS3_Lb0ELb0EPtS7_N6thrust23THRUST_200600_302600_NS4plusItEEEE10hipError_tPvRmT2_T3_mT4_P12ihipStream_tbEUlT_E_NS1_11comp_targetILNS1_3genE4ELNS1_11target_archE910ELNS1_3gpuE8ELNS1_3repE0EEENS1_30default_config_static_selectorELNS0_4arch9wavefront6targetE0EEEvT1_,comdat
.Lfunc_end234:
	.size	_ZN7rocprim17ROCPRIM_400000_NS6detail17trampoline_kernelINS0_14default_configENS1_35adjacent_difference_config_selectorILb0EtEEZNS1_24adjacent_difference_implIS3_Lb0ELb0EPtS7_N6thrust23THRUST_200600_302600_NS4plusItEEEE10hipError_tPvRmT2_T3_mT4_P12ihipStream_tbEUlT_E_NS1_11comp_targetILNS1_3genE4ELNS1_11target_archE910ELNS1_3gpuE8ELNS1_3repE0EEENS1_30default_config_static_selectorELNS0_4arch9wavefront6targetE0EEEvT1_, .Lfunc_end234-_ZN7rocprim17ROCPRIM_400000_NS6detail17trampoline_kernelINS0_14default_configENS1_35adjacent_difference_config_selectorILb0EtEEZNS1_24adjacent_difference_implIS3_Lb0ELb0EPtS7_N6thrust23THRUST_200600_302600_NS4plusItEEEE10hipError_tPvRmT2_T3_mT4_P12ihipStream_tbEUlT_E_NS1_11comp_targetILNS1_3genE4ELNS1_11target_archE910ELNS1_3gpuE8ELNS1_3repE0EEENS1_30default_config_static_selectorELNS0_4arch9wavefront6targetE0EEEvT1_
                                        ; -- End function
	.section	.AMDGPU.csdata,"",@progbits
; Kernel info:
; codeLenInByte = 0
; NumSgprs: 0
; NumVgprs: 0
; ScratchSize: 0
; MemoryBound: 0
; FloatMode: 240
; IeeeMode: 1
; LDSByteSize: 0 bytes/workgroup (compile time only)
; SGPRBlocks: 0
; VGPRBlocks: 0
; NumSGPRsForWavesPerEU: 1
; NumVGPRsForWavesPerEU: 1
; Occupancy: 16
; WaveLimiterHint : 0
; COMPUTE_PGM_RSRC2:SCRATCH_EN: 0
; COMPUTE_PGM_RSRC2:USER_SGPR: 15
; COMPUTE_PGM_RSRC2:TRAP_HANDLER: 0
; COMPUTE_PGM_RSRC2:TGID_X_EN: 1
; COMPUTE_PGM_RSRC2:TGID_Y_EN: 0
; COMPUTE_PGM_RSRC2:TGID_Z_EN: 0
; COMPUTE_PGM_RSRC2:TIDIG_COMP_CNT: 0
	.section	.text._ZN7rocprim17ROCPRIM_400000_NS6detail17trampoline_kernelINS0_14default_configENS1_35adjacent_difference_config_selectorILb0EtEEZNS1_24adjacent_difference_implIS3_Lb0ELb0EPtS7_N6thrust23THRUST_200600_302600_NS4plusItEEEE10hipError_tPvRmT2_T3_mT4_P12ihipStream_tbEUlT_E_NS1_11comp_targetILNS1_3genE3ELNS1_11target_archE908ELNS1_3gpuE7ELNS1_3repE0EEENS1_30default_config_static_selectorELNS0_4arch9wavefront6targetE0EEEvT1_,"axG",@progbits,_ZN7rocprim17ROCPRIM_400000_NS6detail17trampoline_kernelINS0_14default_configENS1_35adjacent_difference_config_selectorILb0EtEEZNS1_24adjacent_difference_implIS3_Lb0ELb0EPtS7_N6thrust23THRUST_200600_302600_NS4plusItEEEE10hipError_tPvRmT2_T3_mT4_P12ihipStream_tbEUlT_E_NS1_11comp_targetILNS1_3genE3ELNS1_11target_archE908ELNS1_3gpuE7ELNS1_3repE0EEENS1_30default_config_static_selectorELNS0_4arch9wavefront6targetE0EEEvT1_,comdat
	.protected	_ZN7rocprim17ROCPRIM_400000_NS6detail17trampoline_kernelINS0_14default_configENS1_35adjacent_difference_config_selectorILb0EtEEZNS1_24adjacent_difference_implIS3_Lb0ELb0EPtS7_N6thrust23THRUST_200600_302600_NS4plusItEEEE10hipError_tPvRmT2_T3_mT4_P12ihipStream_tbEUlT_E_NS1_11comp_targetILNS1_3genE3ELNS1_11target_archE908ELNS1_3gpuE7ELNS1_3repE0EEENS1_30default_config_static_selectorELNS0_4arch9wavefront6targetE0EEEvT1_ ; -- Begin function _ZN7rocprim17ROCPRIM_400000_NS6detail17trampoline_kernelINS0_14default_configENS1_35adjacent_difference_config_selectorILb0EtEEZNS1_24adjacent_difference_implIS3_Lb0ELb0EPtS7_N6thrust23THRUST_200600_302600_NS4plusItEEEE10hipError_tPvRmT2_T3_mT4_P12ihipStream_tbEUlT_E_NS1_11comp_targetILNS1_3genE3ELNS1_11target_archE908ELNS1_3gpuE7ELNS1_3repE0EEENS1_30default_config_static_selectorELNS0_4arch9wavefront6targetE0EEEvT1_
	.globl	_ZN7rocprim17ROCPRIM_400000_NS6detail17trampoline_kernelINS0_14default_configENS1_35adjacent_difference_config_selectorILb0EtEEZNS1_24adjacent_difference_implIS3_Lb0ELb0EPtS7_N6thrust23THRUST_200600_302600_NS4plusItEEEE10hipError_tPvRmT2_T3_mT4_P12ihipStream_tbEUlT_E_NS1_11comp_targetILNS1_3genE3ELNS1_11target_archE908ELNS1_3gpuE7ELNS1_3repE0EEENS1_30default_config_static_selectorELNS0_4arch9wavefront6targetE0EEEvT1_
	.p2align	8
	.type	_ZN7rocprim17ROCPRIM_400000_NS6detail17trampoline_kernelINS0_14default_configENS1_35adjacent_difference_config_selectorILb0EtEEZNS1_24adjacent_difference_implIS3_Lb0ELb0EPtS7_N6thrust23THRUST_200600_302600_NS4plusItEEEE10hipError_tPvRmT2_T3_mT4_P12ihipStream_tbEUlT_E_NS1_11comp_targetILNS1_3genE3ELNS1_11target_archE908ELNS1_3gpuE7ELNS1_3repE0EEENS1_30default_config_static_selectorELNS0_4arch9wavefront6targetE0EEEvT1_,@function
_ZN7rocprim17ROCPRIM_400000_NS6detail17trampoline_kernelINS0_14default_configENS1_35adjacent_difference_config_selectorILb0EtEEZNS1_24adjacent_difference_implIS3_Lb0ELb0EPtS7_N6thrust23THRUST_200600_302600_NS4plusItEEEE10hipError_tPvRmT2_T3_mT4_P12ihipStream_tbEUlT_E_NS1_11comp_targetILNS1_3genE3ELNS1_11target_archE908ELNS1_3gpuE7ELNS1_3repE0EEENS1_30default_config_static_selectorELNS0_4arch9wavefront6targetE0EEEvT1_: ; @_ZN7rocprim17ROCPRIM_400000_NS6detail17trampoline_kernelINS0_14default_configENS1_35adjacent_difference_config_selectorILb0EtEEZNS1_24adjacent_difference_implIS3_Lb0ELb0EPtS7_N6thrust23THRUST_200600_302600_NS4plusItEEEE10hipError_tPvRmT2_T3_mT4_P12ihipStream_tbEUlT_E_NS1_11comp_targetILNS1_3genE3ELNS1_11target_archE908ELNS1_3gpuE7ELNS1_3repE0EEENS1_30default_config_static_selectorELNS0_4arch9wavefront6targetE0EEEvT1_
; %bb.0:
	.section	.rodata,"a",@progbits
	.p2align	6, 0x0
	.amdhsa_kernel _ZN7rocprim17ROCPRIM_400000_NS6detail17trampoline_kernelINS0_14default_configENS1_35adjacent_difference_config_selectorILb0EtEEZNS1_24adjacent_difference_implIS3_Lb0ELb0EPtS7_N6thrust23THRUST_200600_302600_NS4plusItEEEE10hipError_tPvRmT2_T3_mT4_P12ihipStream_tbEUlT_E_NS1_11comp_targetILNS1_3genE3ELNS1_11target_archE908ELNS1_3gpuE7ELNS1_3repE0EEENS1_30default_config_static_selectorELNS0_4arch9wavefront6targetE0EEEvT1_
		.amdhsa_group_segment_fixed_size 0
		.amdhsa_private_segment_fixed_size 0
		.amdhsa_kernarg_size 56
		.amdhsa_user_sgpr_count 15
		.amdhsa_user_sgpr_dispatch_ptr 0
		.amdhsa_user_sgpr_queue_ptr 0
		.amdhsa_user_sgpr_kernarg_segment_ptr 1
		.amdhsa_user_sgpr_dispatch_id 0
		.amdhsa_user_sgpr_private_segment_size 0
		.amdhsa_wavefront_size32 1
		.amdhsa_uses_dynamic_stack 0
		.amdhsa_enable_private_segment 0
		.amdhsa_system_sgpr_workgroup_id_x 1
		.amdhsa_system_sgpr_workgroup_id_y 0
		.amdhsa_system_sgpr_workgroup_id_z 0
		.amdhsa_system_sgpr_workgroup_info 0
		.amdhsa_system_vgpr_workitem_id 0
		.amdhsa_next_free_vgpr 1
		.amdhsa_next_free_sgpr 1
		.amdhsa_reserve_vcc 0
		.amdhsa_float_round_mode_32 0
		.amdhsa_float_round_mode_16_64 0
		.amdhsa_float_denorm_mode_32 3
		.amdhsa_float_denorm_mode_16_64 3
		.amdhsa_dx10_clamp 1
		.amdhsa_ieee_mode 1
		.amdhsa_fp16_overflow 0
		.amdhsa_workgroup_processor_mode 1
		.amdhsa_memory_ordered 1
		.amdhsa_forward_progress 0
		.amdhsa_shared_vgpr_count 0
		.amdhsa_exception_fp_ieee_invalid_op 0
		.amdhsa_exception_fp_denorm_src 0
		.amdhsa_exception_fp_ieee_div_zero 0
		.amdhsa_exception_fp_ieee_overflow 0
		.amdhsa_exception_fp_ieee_underflow 0
		.amdhsa_exception_fp_ieee_inexact 0
		.amdhsa_exception_int_div_zero 0
	.end_amdhsa_kernel
	.section	.text._ZN7rocprim17ROCPRIM_400000_NS6detail17trampoline_kernelINS0_14default_configENS1_35adjacent_difference_config_selectorILb0EtEEZNS1_24adjacent_difference_implIS3_Lb0ELb0EPtS7_N6thrust23THRUST_200600_302600_NS4plusItEEEE10hipError_tPvRmT2_T3_mT4_P12ihipStream_tbEUlT_E_NS1_11comp_targetILNS1_3genE3ELNS1_11target_archE908ELNS1_3gpuE7ELNS1_3repE0EEENS1_30default_config_static_selectorELNS0_4arch9wavefront6targetE0EEEvT1_,"axG",@progbits,_ZN7rocprim17ROCPRIM_400000_NS6detail17trampoline_kernelINS0_14default_configENS1_35adjacent_difference_config_selectorILb0EtEEZNS1_24adjacent_difference_implIS3_Lb0ELb0EPtS7_N6thrust23THRUST_200600_302600_NS4plusItEEEE10hipError_tPvRmT2_T3_mT4_P12ihipStream_tbEUlT_E_NS1_11comp_targetILNS1_3genE3ELNS1_11target_archE908ELNS1_3gpuE7ELNS1_3repE0EEENS1_30default_config_static_selectorELNS0_4arch9wavefront6targetE0EEEvT1_,comdat
.Lfunc_end235:
	.size	_ZN7rocprim17ROCPRIM_400000_NS6detail17trampoline_kernelINS0_14default_configENS1_35adjacent_difference_config_selectorILb0EtEEZNS1_24adjacent_difference_implIS3_Lb0ELb0EPtS7_N6thrust23THRUST_200600_302600_NS4plusItEEEE10hipError_tPvRmT2_T3_mT4_P12ihipStream_tbEUlT_E_NS1_11comp_targetILNS1_3genE3ELNS1_11target_archE908ELNS1_3gpuE7ELNS1_3repE0EEENS1_30default_config_static_selectorELNS0_4arch9wavefront6targetE0EEEvT1_, .Lfunc_end235-_ZN7rocprim17ROCPRIM_400000_NS6detail17trampoline_kernelINS0_14default_configENS1_35adjacent_difference_config_selectorILb0EtEEZNS1_24adjacent_difference_implIS3_Lb0ELb0EPtS7_N6thrust23THRUST_200600_302600_NS4plusItEEEE10hipError_tPvRmT2_T3_mT4_P12ihipStream_tbEUlT_E_NS1_11comp_targetILNS1_3genE3ELNS1_11target_archE908ELNS1_3gpuE7ELNS1_3repE0EEENS1_30default_config_static_selectorELNS0_4arch9wavefront6targetE0EEEvT1_
                                        ; -- End function
	.section	.AMDGPU.csdata,"",@progbits
; Kernel info:
; codeLenInByte = 0
; NumSgprs: 0
; NumVgprs: 0
; ScratchSize: 0
; MemoryBound: 0
; FloatMode: 240
; IeeeMode: 1
; LDSByteSize: 0 bytes/workgroup (compile time only)
; SGPRBlocks: 0
; VGPRBlocks: 0
; NumSGPRsForWavesPerEU: 1
; NumVGPRsForWavesPerEU: 1
; Occupancy: 16
; WaveLimiterHint : 0
; COMPUTE_PGM_RSRC2:SCRATCH_EN: 0
; COMPUTE_PGM_RSRC2:USER_SGPR: 15
; COMPUTE_PGM_RSRC2:TRAP_HANDLER: 0
; COMPUTE_PGM_RSRC2:TGID_X_EN: 1
; COMPUTE_PGM_RSRC2:TGID_Y_EN: 0
; COMPUTE_PGM_RSRC2:TGID_Z_EN: 0
; COMPUTE_PGM_RSRC2:TIDIG_COMP_CNT: 0
	.section	.text._ZN7rocprim17ROCPRIM_400000_NS6detail17trampoline_kernelINS0_14default_configENS1_35adjacent_difference_config_selectorILb0EtEEZNS1_24adjacent_difference_implIS3_Lb0ELb0EPtS7_N6thrust23THRUST_200600_302600_NS4plusItEEEE10hipError_tPvRmT2_T3_mT4_P12ihipStream_tbEUlT_E_NS1_11comp_targetILNS1_3genE2ELNS1_11target_archE906ELNS1_3gpuE6ELNS1_3repE0EEENS1_30default_config_static_selectorELNS0_4arch9wavefront6targetE0EEEvT1_,"axG",@progbits,_ZN7rocprim17ROCPRIM_400000_NS6detail17trampoline_kernelINS0_14default_configENS1_35adjacent_difference_config_selectorILb0EtEEZNS1_24adjacent_difference_implIS3_Lb0ELb0EPtS7_N6thrust23THRUST_200600_302600_NS4plusItEEEE10hipError_tPvRmT2_T3_mT4_P12ihipStream_tbEUlT_E_NS1_11comp_targetILNS1_3genE2ELNS1_11target_archE906ELNS1_3gpuE6ELNS1_3repE0EEENS1_30default_config_static_selectorELNS0_4arch9wavefront6targetE0EEEvT1_,comdat
	.protected	_ZN7rocprim17ROCPRIM_400000_NS6detail17trampoline_kernelINS0_14default_configENS1_35adjacent_difference_config_selectorILb0EtEEZNS1_24adjacent_difference_implIS3_Lb0ELb0EPtS7_N6thrust23THRUST_200600_302600_NS4plusItEEEE10hipError_tPvRmT2_T3_mT4_P12ihipStream_tbEUlT_E_NS1_11comp_targetILNS1_3genE2ELNS1_11target_archE906ELNS1_3gpuE6ELNS1_3repE0EEENS1_30default_config_static_selectorELNS0_4arch9wavefront6targetE0EEEvT1_ ; -- Begin function _ZN7rocprim17ROCPRIM_400000_NS6detail17trampoline_kernelINS0_14default_configENS1_35adjacent_difference_config_selectorILb0EtEEZNS1_24adjacent_difference_implIS3_Lb0ELb0EPtS7_N6thrust23THRUST_200600_302600_NS4plusItEEEE10hipError_tPvRmT2_T3_mT4_P12ihipStream_tbEUlT_E_NS1_11comp_targetILNS1_3genE2ELNS1_11target_archE906ELNS1_3gpuE6ELNS1_3repE0EEENS1_30default_config_static_selectorELNS0_4arch9wavefront6targetE0EEEvT1_
	.globl	_ZN7rocprim17ROCPRIM_400000_NS6detail17trampoline_kernelINS0_14default_configENS1_35adjacent_difference_config_selectorILb0EtEEZNS1_24adjacent_difference_implIS3_Lb0ELb0EPtS7_N6thrust23THRUST_200600_302600_NS4plusItEEEE10hipError_tPvRmT2_T3_mT4_P12ihipStream_tbEUlT_E_NS1_11comp_targetILNS1_3genE2ELNS1_11target_archE906ELNS1_3gpuE6ELNS1_3repE0EEENS1_30default_config_static_selectorELNS0_4arch9wavefront6targetE0EEEvT1_
	.p2align	8
	.type	_ZN7rocprim17ROCPRIM_400000_NS6detail17trampoline_kernelINS0_14default_configENS1_35adjacent_difference_config_selectorILb0EtEEZNS1_24adjacent_difference_implIS3_Lb0ELb0EPtS7_N6thrust23THRUST_200600_302600_NS4plusItEEEE10hipError_tPvRmT2_T3_mT4_P12ihipStream_tbEUlT_E_NS1_11comp_targetILNS1_3genE2ELNS1_11target_archE906ELNS1_3gpuE6ELNS1_3repE0EEENS1_30default_config_static_selectorELNS0_4arch9wavefront6targetE0EEEvT1_,@function
_ZN7rocprim17ROCPRIM_400000_NS6detail17trampoline_kernelINS0_14default_configENS1_35adjacent_difference_config_selectorILb0EtEEZNS1_24adjacent_difference_implIS3_Lb0ELb0EPtS7_N6thrust23THRUST_200600_302600_NS4plusItEEEE10hipError_tPvRmT2_T3_mT4_P12ihipStream_tbEUlT_E_NS1_11comp_targetILNS1_3genE2ELNS1_11target_archE906ELNS1_3gpuE6ELNS1_3repE0EEENS1_30default_config_static_selectorELNS0_4arch9wavefront6targetE0EEEvT1_: ; @_ZN7rocprim17ROCPRIM_400000_NS6detail17trampoline_kernelINS0_14default_configENS1_35adjacent_difference_config_selectorILb0EtEEZNS1_24adjacent_difference_implIS3_Lb0ELb0EPtS7_N6thrust23THRUST_200600_302600_NS4plusItEEEE10hipError_tPvRmT2_T3_mT4_P12ihipStream_tbEUlT_E_NS1_11comp_targetILNS1_3genE2ELNS1_11target_archE906ELNS1_3gpuE6ELNS1_3repE0EEENS1_30default_config_static_selectorELNS0_4arch9wavefront6targetE0EEEvT1_
; %bb.0:
	.section	.rodata,"a",@progbits
	.p2align	6, 0x0
	.amdhsa_kernel _ZN7rocprim17ROCPRIM_400000_NS6detail17trampoline_kernelINS0_14default_configENS1_35adjacent_difference_config_selectorILb0EtEEZNS1_24adjacent_difference_implIS3_Lb0ELb0EPtS7_N6thrust23THRUST_200600_302600_NS4plusItEEEE10hipError_tPvRmT2_T3_mT4_P12ihipStream_tbEUlT_E_NS1_11comp_targetILNS1_3genE2ELNS1_11target_archE906ELNS1_3gpuE6ELNS1_3repE0EEENS1_30default_config_static_selectorELNS0_4arch9wavefront6targetE0EEEvT1_
		.amdhsa_group_segment_fixed_size 0
		.amdhsa_private_segment_fixed_size 0
		.amdhsa_kernarg_size 56
		.amdhsa_user_sgpr_count 15
		.amdhsa_user_sgpr_dispatch_ptr 0
		.amdhsa_user_sgpr_queue_ptr 0
		.amdhsa_user_sgpr_kernarg_segment_ptr 1
		.amdhsa_user_sgpr_dispatch_id 0
		.amdhsa_user_sgpr_private_segment_size 0
		.amdhsa_wavefront_size32 1
		.amdhsa_uses_dynamic_stack 0
		.amdhsa_enable_private_segment 0
		.amdhsa_system_sgpr_workgroup_id_x 1
		.amdhsa_system_sgpr_workgroup_id_y 0
		.amdhsa_system_sgpr_workgroup_id_z 0
		.amdhsa_system_sgpr_workgroup_info 0
		.amdhsa_system_vgpr_workitem_id 0
		.amdhsa_next_free_vgpr 1
		.amdhsa_next_free_sgpr 1
		.amdhsa_reserve_vcc 0
		.amdhsa_float_round_mode_32 0
		.amdhsa_float_round_mode_16_64 0
		.amdhsa_float_denorm_mode_32 3
		.amdhsa_float_denorm_mode_16_64 3
		.amdhsa_dx10_clamp 1
		.amdhsa_ieee_mode 1
		.amdhsa_fp16_overflow 0
		.amdhsa_workgroup_processor_mode 1
		.amdhsa_memory_ordered 1
		.amdhsa_forward_progress 0
		.amdhsa_shared_vgpr_count 0
		.amdhsa_exception_fp_ieee_invalid_op 0
		.amdhsa_exception_fp_denorm_src 0
		.amdhsa_exception_fp_ieee_div_zero 0
		.amdhsa_exception_fp_ieee_overflow 0
		.amdhsa_exception_fp_ieee_underflow 0
		.amdhsa_exception_fp_ieee_inexact 0
		.amdhsa_exception_int_div_zero 0
	.end_amdhsa_kernel
	.section	.text._ZN7rocprim17ROCPRIM_400000_NS6detail17trampoline_kernelINS0_14default_configENS1_35adjacent_difference_config_selectorILb0EtEEZNS1_24adjacent_difference_implIS3_Lb0ELb0EPtS7_N6thrust23THRUST_200600_302600_NS4plusItEEEE10hipError_tPvRmT2_T3_mT4_P12ihipStream_tbEUlT_E_NS1_11comp_targetILNS1_3genE2ELNS1_11target_archE906ELNS1_3gpuE6ELNS1_3repE0EEENS1_30default_config_static_selectorELNS0_4arch9wavefront6targetE0EEEvT1_,"axG",@progbits,_ZN7rocprim17ROCPRIM_400000_NS6detail17trampoline_kernelINS0_14default_configENS1_35adjacent_difference_config_selectorILb0EtEEZNS1_24adjacent_difference_implIS3_Lb0ELb0EPtS7_N6thrust23THRUST_200600_302600_NS4plusItEEEE10hipError_tPvRmT2_T3_mT4_P12ihipStream_tbEUlT_E_NS1_11comp_targetILNS1_3genE2ELNS1_11target_archE906ELNS1_3gpuE6ELNS1_3repE0EEENS1_30default_config_static_selectorELNS0_4arch9wavefront6targetE0EEEvT1_,comdat
.Lfunc_end236:
	.size	_ZN7rocprim17ROCPRIM_400000_NS6detail17trampoline_kernelINS0_14default_configENS1_35adjacent_difference_config_selectorILb0EtEEZNS1_24adjacent_difference_implIS3_Lb0ELb0EPtS7_N6thrust23THRUST_200600_302600_NS4plusItEEEE10hipError_tPvRmT2_T3_mT4_P12ihipStream_tbEUlT_E_NS1_11comp_targetILNS1_3genE2ELNS1_11target_archE906ELNS1_3gpuE6ELNS1_3repE0EEENS1_30default_config_static_selectorELNS0_4arch9wavefront6targetE0EEEvT1_, .Lfunc_end236-_ZN7rocprim17ROCPRIM_400000_NS6detail17trampoline_kernelINS0_14default_configENS1_35adjacent_difference_config_selectorILb0EtEEZNS1_24adjacent_difference_implIS3_Lb0ELb0EPtS7_N6thrust23THRUST_200600_302600_NS4plusItEEEE10hipError_tPvRmT2_T3_mT4_P12ihipStream_tbEUlT_E_NS1_11comp_targetILNS1_3genE2ELNS1_11target_archE906ELNS1_3gpuE6ELNS1_3repE0EEENS1_30default_config_static_selectorELNS0_4arch9wavefront6targetE0EEEvT1_
                                        ; -- End function
	.section	.AMDGPU.csdata,"",@progbits
; Kernel info:
; codeLenInByte = 0
; NumSgprs: 0
; NumVgprs: 0
; ScratchSize: 0
; MemoryBound: 0
; FloatMode: 240
; IeeeMode: 1
; LDSByteSize: 0 bytes/workgroup (compile time only)
; SGPRBlocks: 0
; VGPRBlocks: 0
; NumSGPRsForWavesPerEU: 1
; NumVGPRsForWavesPerEU: 1
; Occupancy: 16
; WaveLimiterHint : 0
; COMPUTE_PGM_RSRC2:SCRATCH_EN: 0
; COMPUTE_PGM_RSRC2:USER_SGPR: 15
; COMPUTE_PGM_RSRC2:TRAP_HANDLER: 0
; COMPUTE_PGM_RSRC2:TGID_X_EN: 1
; COMPUTE_PGM_RSRC2:TGID_Y_EN: 0
; COMPUTE_PGM_RSRC2:TGID_Z_EN: 0
; COMPUTE_PGM_RSRC2:TIDIG_COMP_CNT: 0
	.section	.text._ZN7rocprim17ROCPRIM_400000_NS6detail17trampoline_kernelINS0_14default_configENS1_35adjacent_difference_config_selectorILb0EtEEZNS1_24adjacent_difference_implIS3_Lb0ELb0EPtS7_N6thrust23THRUST_200600_302600_NS4plusItEEEE10hipError_tPvRmT2_T3_mT4_P12ihipStream_tbEUlT_E_NS1_11comp_targetILNS1_3genE9ELNS1_11target_archE1100ELNS1_3gpuE3ELNS1_3repE0EEENS1_30default_config_static_selectorELNS0_4arch9wavefront6targetE0EEEvT1_,"axG",@progbits,_ZN7rocprim17ROCPRIM_400000_NS6detail17trampoline_kernelINS0_14default_configENS1_35adjacent_difference_config_selectorILb0EtEEZNS1_24adjacent_difference_implIS3_Lb0ELb0EPtS7_N6thrust23THRUST_200600_302600_NS4plusItEEEE10hipError_tPvRmT2_T3_mT4_P12ihipStream_tbEUlT_E_NS1_11comp_targetILNS1_3genE9ELNS1_11target_archE1100ELNS1_3gpuE3ELNS1_3repE0EEENS1_30default_config_static_selectorELNS0_4arch9wavefront6targetE0EEEvT1_,comdat
	.protected	_ZN7rocprim17ROCPRIM_400000_NS6detail17trampoline_kernelINS0_14default_configENS1_35adjacent_difference_config_selectorILb0EtEEZNS1_24adjacent_difference_implIS3_Lb0ELb0EPtS7_N6thrust23THRUST_200600_302600_NS4plusItEEEE10hipError_tPvRmT2_T3_mT4_P12ihipStream_tbEUlT_E_NS1_11comp_targetILNS1_3genE9ELNS1_11target_archE1100ELNS1_3gpuE3ELNS1_3repE0EEENS1_30default_config_static_selectorELNS0_4arch9wavefront6targetE0EEEvT1_ ; -- Begin function _ZN7rocprim17ROCPRIM_400000_NS6detail17trampoline_kernelINS0_14default_configENS1_35adjacent_difference_config_selectorILb0EtEEZNS1_24adjacent_difference_implIS3_Lb0ELb0EPtS7_N6thrust23THRUST_200600_302600_NS4plusItEEEE10hipError_tPvRmT2_T3_mT4_P12ihipStream_tbEUlT_E_NS1_11comp_targetILNS1_3genE9ELNS1_11target_archE1100ELNS1_3gpuE3ELNS1_3repE0EEENS1_30default_config_static_selectorELNS0_4arch9wavefront6targetE0EEEvT1_
	.globl	_ZN7rocprim17ROCPRIM_400000_NS6detail17trampoline_kernelINS0_14default_configENS1_35adjacent_difference_config_selectorILb0EtEEZNS1_24adjacent_difference_implIS3_Lb0ELb0EPtS7_N6thrust23THRUST_200600_302600_NS4plusItEEEE10hipError_tPvRmT2_T3_mT4_P12ihipStream_tbEUlT_E_NS1_11comp_targetILNS1_3genE9ELNS1_11target_archE1100ELNS1_3gpuE3ELNS1_3repE0EEENS1_30default_config_static_selectorELNS0_4arch9wavefront6targetE0EEEvT1_
	.p2align	8
	.type	_ZN7rocprim17ROCPRIM_400000_NS6detail17trampoline_kernelINS0_14default_configENS1_35adjacent_difference_config_selectorILb0EtEEZNS1_24adjacent_difference_implIS3_Lb0ELb0EPtS7_N6thrust23THRUST_200600_302600_NS4plusItEEEE10hipError_tPvRmT2_T3_mT4_P12ihipStream_tbEUlT_E_NS1_11comp_targetILNS1_3genE9ELNS1_11target_archE1100ELNS1_3gpuE3ELNS1_3repE0EEENS1_30default_config_static_selectorELNS0_4arch9wavefront6targetE0EEEvT1_,@function
_ZN7rocprim17ROCPRIM_400000_NS6detail17trampoline_kernelINS0_14default_configENS1_35adjacent_difference_config_selectorILb0EtEEZNS1_24adjacent_difference_implIS3_Lb0ELb0EPtS7_N6thrust23THRUST_200600_302600_NS4plusItEEEE10hipError_tPvRmT2_T3_mT4_P12ihipStream_tbEUlT_E_NS1_11comp_targetILNS1_3genE9ELNS1_11target_archE1100ELNS1_3gpuE3ELNS1_3repE0EEENS1_30default_config_static_selectorELNS0_4arch9wavefront6targetE0EEEvT1_: ; @_ZN7rocprim17ROCPRIM_400000_NS6detail17trampoline_kernelINS0_14default_configENS1_35adjacent_difference_config_selectorILb0EtEEZNS1_24adjacent_difference_implIS3_Lb0ELb0EPtS7_N6thrust23THRUST_200600_302600_NS4plusItEEEE10hipError_tPvRmT2_T3_mT4_P12ihipStream_tbEUlT_E_NS1_11comp_targetILNS1_3genE9ELNS1_11target_archE1100ELNS1_3gpuE3ELNS1_3repE0EEENS1_30default_config_static_selectorELNS0_4arch9wavefront6targetE0EEEvT1_
; %bb.0:
	s_load_b256 s[4:11], s[0:1], 0x0
	s_waitcnt lgkmcnt(0)
	s_lshl_b64 s[6:7], s[6:7], 1
	s_delay_alu instid0(SALU_CYCLE_1)
	s_add_u32 s17, s4, s6
	s_addc_u32 s18, s5, s7
	s_add_u32 s2, 0, 0x45249
	s_addc_u32 s3, 0, 0
	s_add_u32 s2, s2, 0x49204000
	s_addc_u32 s2, s3, 0x452
	s_addc_u32 s3, 0, 0
	s_add_u32 s2, s2, 0
	s_addc_u32 s3, 0, s3
	v_add_co_u32 v1, s2, 0x92492040, s2
	s_delay_alu instid0(VALU_DEP_1) | instskip(SKIP_1) | instid1(VALU_DEP_1)
	s_cmp_lg_u32 s2, 0
	s_addc_u32 s2, s3, 0x924924
	v_readfirstlane_b32 s3, v1
	s_mul_i32 s5, s10, s2
	s_mul_hi_u32 s4, s10, s2
	s_mul_hi_u32 s12, s11, s2
	s_mul_i32 s2, s11, s2
	s_mul_hi_u32 s13, s10, s3
	s_mul_hi_u32 s14, s11, s3
	s_mul_i32 s3, s11, s3
	s_add_u32 s5, s13, s5
	s_addc_u32 s4, 0, s4
	s_add_u32 s3, s5, s3
	s_addc_u32 s3, s4, s14
	s_addc_u32 s4, s12, 0
	s_add_u32 s5, s3, s2
	s_addc_u32 s4, 0, s4
	s_mul_i32 s3, s5, 0x1c0
	s_add_u32 s2, s5, 1
	v_sub_co_u32 v1, s3, s10, s3
	s_mul_hi_u32 s12, s5, 0x1c0
	s_addc_u32 s13, s4, 0
	s_mul_i32 s14, s4, 0x1c0
	s_delay_alu instid0(VALU_DEP_1)
	v_subrev_co_u32 v2, s16, 0x1c0, v1
	s_add_u32 s19, s5, 2
	s_addc_u32 s20, s4, 0
	s_add_i32 s12, s12, s14
	s_cmp_lg_u32 s3, 0
	v_readfirstlane_b32 s3, v2
	s_subb_u32 s12, s11, s12
	s_cmp_lg_u32 s16, 0
	s_subb_u32 s14, s12, 0
	s_delay_alu instid0(VALU_DEP_1) | instskip(SKIP_4) | instid1(SALU_CYCLE_1)
	s_cmpk_gt_u32 s3, 0x1bf
	s_cselect_b32 s3, -1, 0
	s_cmp_eq_u32 s14, 0
	v_readfirstlane_b32 s14, v1
	s_cselect_b32 s3, s3, -1
	s_cmp_lg_u32 s3, 0
	s_cselect_b32 s16, s19, s2
	s_cselect_b32 s13, s20, s13
	s_cmpk_gt_u32 s14, 0x1bf
	s_mov_b32 s14, -1
	s_cselect_b32 s2, -1, 0
	s_cmp_eq_u32 s12, 0
	s_cselect_b32 s2, s2, -1
	s_delay_alu instid0(SALU_CYCLE_1)
	s_cmp_lg_u32 s2, 0
	s_load_b64 s[2:3], s[0:1], 0x30
	s_cselect_b32 s4, s13, s4
	s_cselect_b32 s5, s16, s5
	s_mul_i32 s0, s4, 0x1c0
	s_mul_hi_u32 s1, s5, 0x1c0
	s_mul_i32 s12, s5, 0x1c0
	s_add_i32 s1, s1, s0
	s_sub_u32 s0, s10, s12
	s_subb_u32 s1, s11, s1
	s_delay_alu instid0(SALU_CYCLE_1) | instskip(SKIP_1) | instid1(SALU_CYCLE_1)
	s_cmp_lg_u64 s[0:1], 0
	s_cselect_b32 s0, -1, 0
	v_cndmask_b32_e64 v1, 0, 1, s0
	s_delay_alu instid0(VALU_DEP_1) | instskip(NEXT) | instid1(VALU_DEP_1)
	v_readfirstlane_b32 s0, v1
	s_add_u32 s0, s5, s0
	s_addc_u32 s1, s4, 0
	s_waitcnt lgkmcnt(0)
	s_add_u32 s4, s2, s15
	s_addc_u32 s5, s3, 0
	s_add_u32 s12, s0, -1
	s_addc_u32 s13, s1, -1
	s_mul_i32 s2, s15, 0x1c0
	v_cmp_ge_u64_e64 s16, s[4:5], s[12:13]
	s_mov_b32 s3, 0
	s_mul_i32 s11, s12, 0xfffffe40
	s_delay_alu instid0(VALU_DEP_1)
	s_and_b32 vcc_lo, exec_lo, s16
	s_cbranch_vccz .LBB237_16
; %bb.1:
	s_lshl_b64 s[14:15], s[2:3], 1
	s_add_i32 s19, s11, s10
	s_add_u32 s14, s17, s14
	s_addc_u32 s15, s18, s15
	s_mov_b32 s3, exec_lo
                                        ; implicit-def: $vgpr1_vgpr2_vgpr3_vgpr4
	v_cmpx_gt_u32_e64 s19, v0
	s_cbranch_execz .LBB237_3
; %bb.2:
	v_lshlrev_b32_e32 v1, 1, v0
	global_load_d16_b16 v1, v1, s[14:15]
.LBB237_3:
	s_or_b32 exec_lo, exec_lo, s3
	v_or_b32_e32 v5, 64, v0
	s_mov_b32 s3, exec_lo
	s_delay_alu instid0(VALU_DEP_1)
	v_cmpx_gt_u32_e64 s19, v5
	s_cbranch_execz .LBB237_5
; %bb.4:
	v_lshlrev_b32_e32 v5, 1, v0
	global_load_d16_hi_b16 v1, v5, s[14:15] offset:128
.LBB237_5:
	s_or_b32 exec_lo, exec_lo, s3
	v_or_b32_e32 v5, 0x80, v0
	s_mov_b32 s3, exec_lo
	s_delay_alu instid0(VALU_DEP_1)
	v_cmpx_gt_u32_e64 s19, v5
	s_cbranch_execz .LBB237_7
; %bb.6:
	v_lshlrev_b32_e32 v5, 1, v0
	global_load_d16_b16 v2, v5, s[14:15] offset:256
.LBB237_7:
	s_or_b32 exec_lo, exec_lo, s3
	v_or_b32_e32 v5, 0xc0, v0
	s_mov_b32 s3, exec_lo
	s_delay_alu instid0(VALU_DEP_1)
	v_cmpx_gt_u32_e64 s19, v5
	s_cbranch_execz .LBB237_9
; %bb.8:
	v_lshlrev_b32_e32 v5, 1, v0
	global_load_d16_hi_b16 v2, v5, s[14:15] offset:384
.LBB237_9:
	s_or_b32 exec_lo, exec_lo, s3
	v_or_b32_e32 v5, 0x100, v0
	s_mov_b32 s3, exec_lo
	s_delay_alu instid0(VALU_DEP_1)
	v_cmpx_gt_u32_e64 s19, v5
	s_cbranch_execz .LBB237_11
; %bb.10:
	v_lshlrev_b32_e32 v5, 1, v0
	global_load_d16_b16 v3, v5, s[14:15] offset:512
.LBB237_11:
	;; [unrolled: 20-line block ×3, first 2 shown]
	s_or_b32 exec_lo, exec_lo, s3
	v_lshlrev_b32_e32 v5, 1, v0
	s_mov_b32 s14, 0
	s_waitcnt vmcnt(0)
	ds_store_b16 v5, v1
	ds_store_b16_d16_hi v5, v1 offset:128
	ds_store_b16 v5, v2 offset:256
	ds_store_b16_d16_hi v5, v2 offset:384
	ds_store_b16 v5, v3 offset:512
	;; [unrolled: 2-line block ×3, first 2 shown]
	s_waitcnt lgkmcnt(0)
	s_barrier
.LBB237_16:
	v_lshlrev_b32_e32 v8, 1, v0
	s_and_b32 vcc_lo, exec_lo, s14
	s_cbranch_vccz .LBB237_18
; %bb.17:
	s_mov_b32 s3, 0
	s_delay_alu instid0(SALU_CYCLE_1) | instskip(NEXT) | instid1(SALU_CYCLE_1)
	s_lshl_b64 s[14:15], s[2:3], 1
	s_add_u32 s14, s17, s14
	s_addc_u32 s15, s18, s15
	s_clause 0x6
	global_load_u16 v1, v8, s[14:15]
	global_load_u16 v2, v8, s[14:15] offset:128
	global_load_u16 v3, v8, s[14:15] offset:256
	;; [unrolled: 1-line block ×6, first 2 shown]
	s_waitcnt vmcnt(6)
	ds_store_b16 v8, v1
	s_waitcnt vmcnt(5)
	ds_store_b16 v8, v2 offset:128
	s_waitcnt vmcnt(4)
	ds_store_b16 v8, v3 offset:256
	s_waitcnt vmcnt(3)
	ds_store_b16 v8, v4 offset:384
	s_waitcnt vmcnt(2)
	ds_store_b16 v8, v5 offset:512
	s_waitcnt vmcnt(1)
	ds_store_b16 v8, v6 offset:640
	s_waitcnt vmcnt(0)
	ds_store_b16 v8, v7 offset:768
	s_waitcnt lgkmcnt(0)
	s_barrier
.LBB237_18:
	v_mul_u32_u24_e32 v1, 7, v0
	buffer_gl0_inv
	s_cmp_eq_u64 s[4:5], 0
	v_lshlrev_b32_e32 v1, 1, v1
	ds_load_b96 v[5:7], v1
	ds_load_u16 v11, v1 offset:12
	s_waitcnt lgkmcnt(0)
	s_barrier
	buffer_gl0_inv
	v_lshrrev_b32_e32 v10, 16, v5
	v_lshrrev_b32_e32 v12, 16, v6
	;; [unrolled: 1-line block ×3, first 2 shown]
	s_cbranch_scc1 .LBB237_23
; %bb.19:
	s_mov_b32 s3, 0
	v_mov_b32_e32 v1, 0
	s_lshl_b64 s[14:15], s[2:3], 1
	s_delay_alu instid0(SALU_CYCLE_1)
	s_add_u32 s14, s17, s14
	s_addc_u32 s15, s18, s15
	s_cmp_eq_u64 s[4:5], s[12:13]
	global_load_u16 v15, v1, s[14:15] offset:-2
	s_cbranch_scc1 .LBB237_24
; %bb.20:
	v_add_nc_u16 v3, v13, v7
	v_add_nc_u16 v4, v7, v12
	;; [unrolled: 1-line block ×5, first 2 shown]
	s_waitcnt vmcnt(0)
	v_mov_b32_e32 v14, v15
	s_mov_b32 s3, exec_lo
	ds_store_b16 v8, v11
	s_waitcnt lgkmcnt(0)
	s_barrier
	buffer_gl0_inv
	v_cmpx_ne_u32_e32 0, v0
	s_cbranch_execz .LBB237_22
; %bb.21:
	v_add_nc_u32_e32 v9, -2, v8
	ds_load_u16 v14, v9
.LBB237_22:
	s_or_b32 exec_lo, exec_lo, s3
	v_add_nc_u16 v9, v11, v13
	v_lshlrev_b32_e32 v1, 16, v1
	v_perm_b32 v2, v2, v16, 0x5040100
	v_perm_b32 v3, v3, v4, 0x5040100
	s_cbranch_execz .LBB237_25
	s_branch .LBB237_28
.LBB237_23:
	s_mov_b32 s3, 0
                                        ; implicit-def: $vgpr9
                                        ; implicit-def: $vgpr14
                                        ; implicit-def: $vgpr1_vgpr2_vgpr3_vgpr4
	s_branch .LBB237_29
.LBB237_24:
                                        ; implicit-def: $vgpr9
                                        ; implicit-def: $vgpr14
                                        ; implicit-def: $vgpr1_vgpr2_vgpr3_vgpr4
.LBB237_25:
	v_mul_u32_u24_e32 v4, 7, v0
	s_mov_b32 s3, exec_lo
	ds_store_b16 v8, v11
	s_waitcnt vmcnt(0) lgkmcnt(0)
	s_barrier
	buffer_gl0_inv
	v_cmpx_ne_u32_e32 0, v0
	s_cbranch_execz .LBB237_27
; %bb.26:
	v_add_nc_u32_e32 v1, -2, v8
	ds_load_u16 v15, v1
.LBB237_27:
	s_or_b32 exec_lo, exec_lo, s3
	v_add_nc_u16 v3, v11, v13
	v_add_nc_u32_e32 v2, 6, v4
	s_mul_i32 s3, s4, 0xfffffe40
	v_add_nc_u16 v1, v13, v7
	s_add_i32 s3, s3, s10
	v_lshlrev_b32_e32 v16, 16, v13
	v_cmp_gt_u32_e32 vcc_lo, s3, v2
	v_add_nc_u16 v2, v12, v6
	v_lshlrev_b32_e32 v21, 16, v10
	v_add_nc_u16 v17, v7, v12
	v_dual_cndmask_b32 v9, v11, v3 :: v_dual_add_nc_u32 v20, 1, v4
	s_delay_alu instid0(VALU_DEP_4) | instskip(SKIP_3) | instid1(VALU_DEP_2)
	v_lshlrev_b32_e32 v2, 16, v2
	v_lshlrev_b32_e32 v1, 16, v1
	v_add_nc_u32_e32 v14, 5, v4
	v_add_nc_u32_e32 v3, 3, v4
	v_cmp_gt_u32_e32 vcc_lo, s3, v14
	s_delay_alu instid0(VALU_DEP_4) | instskip(NEXT) | instid1(VALU_DEP_3)
	v_dual_cndmask_b32 v1, v16, v1 :: v_dual_add_nc_u32 v16, 4, v4
	v_cmp_gt_u32_e32 vcc_lo, s3, v3
	v_add_nc_u16 v3, v6, v10
	s_delay_alu instid0(VALU_DEP_3) | instskip(SKIP_3) | instid1(VALU_DEP_2)
	v_bfi_b32 v18, 0xffff, v7, v1
	v_bfi_b32 v1, 0xffff, v17, v1
	v_lshlrev_b32_e32 v14, 16, v12
	v_add_nc_u16 v17, v10, v5
	v_cndmask_b32_e32 v2, v14, v2, vcc_lo
	v_add_nc_u32_e32 v14, 2, v4
	v_cmp_gt_u32_e32 vcc_lo, s3, v16
	s_delay_alu instid0(VALU_DEP_4) | instskip(NEXT) | instid1(VALU_DEP_4)
	v_lshlrev_b32_e32 v17, 16, v17
	v_bfi_b32 v19, 0xffff, v6, v2
	v_bfi_b32 v2, 0xffff, v3, v2
	v_cndmask_b32_e32 v3, v18, v1, vcc_lo
	v_cmp_gt_u32_e32 vcc_lo, s3, v14
	s_delay_alu instid0(VALU_DEP_3)
	v_cndmask_b32_e32 v2, v19, v2, vcc_lo
	v_cmp_gt_u32_e32 vcc_lo, s3, v20
	v_cndmask_b32_e32 v1, v21, v17, vcc_lo
	v_cmp_gt_u32_e32 vcc_lo, s3, v4
	s_waitcnt lgkmcnt(0)
	v_cndmask_b32_e32 v14, 0, v15, vcc_lo
.LBB237_28:
	s_mov_b32 s3, -1
	s_cbranch_execnz .LBB237_37
.LBB237_29:
	s_delay_alu instid0(VALU_DEP_1)
	v_add_nc_u16 v9, v11, v13
	v_add_nc_u16 v19, v13, v7
	;; [unrolled: 1-line block ×4, first 2 shown]
	s_waitcnt vmcnt(0)
	v_add_nc_u16 v15, v6, v10
	v_add_nc_u16 v16, v10, v5
	v_cmp_ne_u32_e32 vcc_lo, 0, v0
	s_cmp_lg_u64 s[0:1], 1
	s_cbranch_scc0 .LBB237_33
; %bb.30:
	v_perm_b32 v3, v19, v18, 0x5040100
	v_perm_b32 v2, v17, v15, 0x5040100
	;; [unrolled: 1-line block ×3, first 2 shown]
	s_mov_b32 s0, 0
	ds_store_b16 v8, v11
	s_waitcnt lgkmcnt(0)
	s_barrier
	buffer_gl0_inv
                                        ; implicit-def: $vgpr14
	s_and_saveexec_b32 s1, vcc_lo
	s_cbranch_execz .LBB237_32
; %bb.31:
	v_add_nc_u32_e32 v4, -2, v8
	s_or_b32 s3, s3, exec_lo
	ds_load_u16 v14, v4
.LBB237_32:
	s_or_b32 exec_lo, exec_lo, s1
	s_delay_alu instid0(SALU_CYCLE_1)
	s_and_b32 vcc_lo, exec_lo, s0
	s_cbranch_vccnz .LBB237_34
	s_branch .LBB237_37
.LBB237_33:
                                        ; implicit-def: $vgpr14
                                        ; implicit-def: $vgpr1_vgpr2_vgpr3_vgpr4
	s_cbranch_execz .LBB237_37
.LBB237_34:
	v_mad_u32_u24 v1, v0, 7, 5
	v_lshlrev_b32_e32 v3, 16, v19
	v_lshlrev_b32_e32 v12, 16, v12
	s_waitcnt lgkmcnt(0)
	v_lshlrev_b32_e32 v14, 16, v17
	v_lshlrev_b32_e32 v2, 16, v13
	v_cmp_gt_u32_e32 vcc_lo, s10, v1
	v_mad_u32_u24 v4, v0, 7, 4
	v_mad_u32_u24 v13, v0, 7, 3
	ds_store_b16 v8, v11
	s_waitcnt lgkmcnt(0)
	v_cndmask_b32_e32 v1, v2, v3, vcc_lo
	v_mad_u32_u24 v3, v0, 7, 6
	v_mul_u32_u24_e32 v2, 7, v0
	s_barrier
	buffer_gl0_inv
	v_bfi_b32 v7, 0xffff, v7, v1
	v_cmp_gt_u32_e32 vcc_lo, s10, v3
	v_bfi_b32 v1, 0xffff, v18, v1
	v_cmp_gt_u32_e64 s0, s10, v2
	v_cndmask_b32_e32 v9, v11, v9, vcc_lo
	v_cmp_gt_u32_e32 vcc_lo, s10, v4
	v_mad_u32_u24 v4, v0, 7, 1
	v_mad_u32_u24 v11, v0, 7, 2
	v_cndmask_b32_e32 v3, v7, v1, vcc_lo
	v_cmp_gt_u32_e32 vcc_lo, s10, v13
	v_lshlrev_b32_e32 v7, 16, v10
	v_lshlrev_b32_e32 v10, 16, v16
	v_cmp_gt_u32_e64 s1, s10, v11
	v_cndmask_b32_e32 v1, v12, v14, vcc_lo
	v_cmp_gt_u32_e32 vcc_lo, s10, v4
                                        ; implicit-def: $vgpr14
	s_delay_alu instid0(VALU_DEP_2) | instskip(SKIP_3) | instid1(VALU_DEP_3)
	v_bfi_b32 v6, 0xffff, v6, v1
	v_bfi_b32 v1, 0xffff, v15, v1
	v_cndmask_b32_e32 v4, v7, v10, vcc_lo
	v_cmp_ne_u32_e32 vcc_lo, 0, v0
	v_cndmask_b32_e64 v2, v6, v1, s1
	s_delay_alu instid0(VALU_DEP_3) | instskip(SKIP_1) | instid1(SALU_CYCLE_1)
	v_bfi_b32 v1, 0xffff, v5, v4
	s_and_b32 s1, vcc_lo, s0
	s_and_saveexec_b32 s0, s1
	s_cbranch_execz .LBB237_36
; %bb.35:
	v_add_nc_u32_e32 v4, -2, v8
	s_or_b32 s3, s3, exec_lo
	ds_load_u16 v14, v4
.LBB237_36:
	s_or_b32 exec_lo, exec_lo, s0
.LBB237_37:
	s_and_saveexec_b32 s0, s3
	s_cbranch_execz .LBB237_39
; %bb.38:
	s_waitcnt lgkmcnt(0)
	v_add_nc_u16 v4, v14, v5
	s_delay_alu instid0(VALU_DEP_1)
	v_bfi_b32 v1, 0xffff, v4, v1
.LBB237_39:
	s_or_b32 exec_lo, exec_lo, s0
	v_mul_u32_u24_e32 v6, 14, v0
	v_mul_i32_i24_e32 v7, -12, v0
	s_add_u32 s0, s8, s6
	s_addc_u32 s1, s9, s7
	s_and_b32 vcc_lo, exec_lo, s16
	s_waitcnt vmcnt(0) lgkmcnt(0)
	s_barrier
	buffer_gl0_inv
	s_cbranch_vccz .LBB237_53
; %bb.40:
	v_mad_u32_u24 v4, v0, 14, v7
	ds_store_b96 v6, v[1:3]
	ds_store_b16 v6, v9 offset:12
	s_waitcnt lgkmcnt(0)
	s_barrier
	buffer_gl0_inv
	ds_load_u16 v15, v4 offset:128
	ds_load_u16 v14, v4 offset:256
	;; [unrolled: 1-line block ×6, first 2 shown]
	s_mov_b32 s3, 0
	s_add_i32 s11, s11, s10
	s_lshl_b64 s[4:5], s[2:3], 1
	s_delay_alu instid0(SALU_CYCLE_1) | instskip(SKIP_2) | instid1(VALU_DEP_1)
	s_add_u32 s3, s0, s4
	s_addc_u32 s4, s1, s5
	v_add_co_u32 v4, s3, s3, v8
	v_add_co_ci_u32_e64 v5, null, s4, 0, s3
	s_mov_b32 s3, exec_lo
	v_cmpx_gt_u32_e64 s11, v0
	s_cbranch_execz .LBB237_42
; %bb.41:
	v_add_nc_u32_e32 v16, v6, v7
	ds_load_u16 v16, v16
	s_waitcnt lgkmcnt(0)
	global_store_b16 v[4:5], v16, off
.LBB237_42:
	s_or_b32 exec_lo, exec_lo, s3
	v_or_b32_e32 v16, 64, v0
	s_mov_b32 s3, exec_lo
	s_delay_alu instid0(VALU_DEP_1)
	v_cmpx_gt_u32_e64 s11, v16
	s_cbranch_execz .LBB237_44
; %bb.43:
	s_waitcnt lgkmcnt(5)
	global_store_b16 v[4:5], v15, off offset:128
.LBB237_44:
	s_or_b32 exec_lo, exec_lo, s3
	s_waitcnt lgkmcnt(5)
	v_or_b32_e32 v15, 0x80, v0
	s_mov_b32 s3, exec_lo
	s_delay_alu instid0(VALU_DEP_1)
	v_cmpx_gt_u32_e64 s11, v15
	s_cbranch_execz .LBB237_46
; %bb.45:
	s_waitcnt lgkmcnt(4)
	global_store_b16 v[4:5], v14, off offset:256
.LBB237_46:
	s_or_b32 exec_lo, exec_lo, s3
	s_waitcnt lgkmcnt(4)
	;; [unrolled: 11-line block ×5, first 2 shown]
	v_or_b32_e32 v11, 0x180, v0
	s_delay_alu instid0(VALU_DEP_1)
	v_cmp_gt_u32_e64 s4, s11, v11
	s_branch .LBB237_55
.LBB237_53:
	s_mov_b32 s4, 0
                                        ; implicit-def: $vgpr10
                                        ; implicit-def: $vgpr4_vgpr5
	s_cbranch_execz .LBB237_55
; %bb.54:
	v_mad_u32_u24 v0, v0, 14, v7
	ds_store_b96 v6, v[1:3]
	ds_store_b16 v6, v9 offset:12
	s_waitcnt lgkmcnt(0)
	s_waitcnt_vscnt null, 0x0
	s_barrier
	buffer_gl0_inv
	ds_load_u16 v1, v0
	ds_load_u16 v2, v0 offset:128
	ds_load_u16 v3, v0 offset:256
	;; [unrolled: 1-line block ×6, first 2 shown]
	s_mov_b32 s3, 0
	s_delay_alu instid0(SALU_CYCLE_1) | instskip(NEXT) | instid1(SALU_CYCLE_1)
	s_lshl_b64 s[2:3], s[2:3], 1
	s_add_u32 s0, s0, s2
	s_addc_u32 s1, s1, s3
	v_add_co_u32 v4, s2, s0, v8
	s_delay_alu instid0(VALU_DEP_1)
	v_add_co_ci_u32_e64 v5, null, s1, 0, s2
	s_or_b32 s4, s4, exec_lo
	s_waitcnt lgkmcnt(6)
	global_store_b16 v8, v1, s[0:1]
	s_waitcnt lgkmcnt(5)
	global_store_b16 v8, v2, s[0:1] offset:128
	s_waitcnt lgkmcnt(4)
	global_store_b16 v8, v3, s[0:1] offset:256
	;; [unrolled: 2-line block ×5, first 2 shown]
.LBB237_55:
	s_delay_alu instid0(VALU_DEP_1)
	s_and_saveexec_b32 s0, s4
	s_cbranch_execnz .LBB237_57
; %bb.56:
	s_nop 0
	s_sendmsg sendmsg(MSG_DEALLOC_VGPRS)
	s_endpgm
.LBB237_57:
	s_waitcnt lgkmcnt(0)
	global_store_b16 v[4:5], v10, off offset:768
	s_nop 0
	s_sendmsg sendmsg(MSG_DEALLOC_VGPRS)
	s_endpgm
	.section	.rodata,"a",@progbits
	.p2align	6, 0x0
	.amdhsa_kernel _ZN7rocprim17ROCPRIM_400000_NS6detail17trampoline_kernelINS0_14default_configENS1_35adjacent_difference_config_selectorILb0EtEEZNS1_24adjacent_difference_implIS3_Lb0ELb0EPtS7_N6thrust23THRUST_200600_302600_NS4plusItEEEE10hipError_tPvRmT2_T3_mT4_P12ihipStream_tbEUlT_E_NS1_11comp_targetILNS1_3genE9ELNS1_11target_archE1100ELNS1_3gpuE3ELNS1_3repE0EEENS1_30default_config_static_selectorELNS0_4arch9wavefront6targetE0EEEvT1_
		.amdhsa_group_segment_fixed_size 896
		.amdhsa_private_segment_fixed_size 0
		.amdhsa_kernarg_size 56
		.amdhsa_user_sgpr_count 15
		.amdhsa_user_sgpr_dispatch_ptr 0
		.amdhsa_user_sgpr_queue_ptr 0
		.amdhsa_user_sgpr_kernarg_segment_ptr 1
		.amdhsa_user_sgpr_dispatch_id 0
		.amdhsa_user_sgpr_private_segment_size 0
		.amdhsa_wavefront_size32 1
		.amdhsa_uses_dynamic_stack 0
		.amdhsa_enable_private_segment 0
		.amdhsa_system_sgpr_workgroup_id_x 1
		.amdhsa_system_sgpr_workgroup_id_y 0
		.amdhsa_system_sgpr_workgroup_id_z 0
		.amdhsa_system_sgpr_workgroup_info 0
		.amdhsa_system_vgpr_workitem_id 0
		.amdhsa_next_free_vgpr 22
		.amdhsa_next_free_sgpr 21
		.amdhsa_reserve_vcc 1
		.amdhsa_float_round_mode_32 0
		.amdhsa_float_round_mode_16_64 0
		.amdhsa_float_denorm_mode_32 3
		.amdhsa_float_denorm_mode_16_64 3
		.amdhsa_dx10_clamp 1
		.amdhsa_ieee_mode 1
		.amdhsa_fp16_overflow 0
		.amdhsa_workgroup_processor_mode 1
		.amdhsa_memory_ordered 1
		.amdhsa_forward_progress 0
		.amdhsa_shared_vgpr_count 0
		.amdhsa_exception_fp_ieee_invalid_op 0
		.amdhsa_exception_fp_denorm_src 0
		.amdhsa_exception_fp_ieee_div_zero 0
		.amdhsa_exception_fp_ieee_overflow 0
		.amdhsa_exception_fp_ieee_underflow 0
		.amdhsa_exception_fp_ieee_inexact 0
		.amdhsa_exception_int_div_zero 0
	.end_amdhsa_kernel
	.section	.text._ZN7rocprim17ROCPRIM_400000_NS6detail17trampoline_kernelINS0_14default_configENS1_35adjacent_difference_config_selectorILb0EtEEZNS1_24adjacent_difference_implIS3_Lb0ELb0EPtS7_N6thrust23THRUST_200600_302600_NS4plusItEEEE10hipError_tPvRmT2_T3_mT4_P12ihipStream_tbEUlT_E_NS1_11comp_targetILNS1_3genE9ELNS1_11target_archE1100ELNS1_3gpuE3ELNS1_3repE0EEENS1_30default_config_static_selectorELNS0_4arch9wavefront6targetE0EEEvT1_,"axG",@progbits,_ZN7rocprim17ROCPRIM_400000_NS6detail17trampoline_kernelINS0_14default_configENS1_35adjacent_difference_config_selectorILb0EtEEZNS1_24adjacent_difference_implIS3_Lb0ELb0EPtS7_N6thrust23THRUST_200600_302600_NS4plusItEEEE10hipError_tPvRmT2_T3_mT4_P12ihipStream_tbEUlT_E_NS1_11comp_targetILNS1_3genE9ELNS1_11target_archE1100ELNS1_3gpuE3ELNS1_3repE0EEENS1_30default_config_static_selectorELNS0_4arch9wavefront6targetE0EEEvT1_,comdat
.Lfunc_end237:
	.size	_ZN7rocprim17ROCPRIM_400000_NS6detail17trampoline_kernelINS0_14default_configENS1_35adjacent_difference_config_selectorILb0EtEEZNS1_24adjacent_difference_implIS3_Lb0ELb0EPtS7_N6thrust23THRUST_200600_302600_NS4plusItEEEE10hipError_tPvRmT2_T3_mT4_P12ihipStream_tbEUlT_E_NS1_11comp_targetILNS1_3genE9ELNS1_11target_archE1100ELNS1_3gpuE3ELNS1_3repE0EEENS1_30default_config_static_selectorELNS0_4arch9wavefront6targetE0EEEvT1_, .Lfunc_end237-_ZN7rocprim17ROCPRIM_400000_NS6detail17trampoline_kernelINS0_14default_configENS1_35adjacent_difference_config_selectorILb0EtEEZNS1_24adjacent_difference_implIS3_Lb0ELb0EPtS7_N6thrust23THRUST_200600_302600_NS4plusItEEEE10hipError_tPvRmT2_T3_mT4_P12ihipStream_tbEUlT_E_NS1_11comp_targetILNS1_3genE9ELNS1_11target_archE1100ELNS1_3gpuE3ELNS1_3repE0EEENS1_30default_config_static_selectorELNS0_4arch9wavefront6targetE0EEEvT1_
                                        ; -- End function
	.section	.AMDGPU.csdata,"",@progbits
; Kernel info:
; codeLenInByte = 2820
; NumSgprs: 23
; NumVgprs: 22
; ScratchSize: 0
; MemoryBound: 0
; FloatMode: 240
; IeeeMode: 1
; LDSByteSize: 896 bytes/workgroup (compile time only)
; SGPRBlocks: 2
; VGPRBlocks: 2
; NumSGPRsForWavesPerEU: 23
; NumVGPRsForWavesPerEU: 22
; Occupancy: 16
; WaveLimiterHint : 1
; COMPUTE_PGM_RSRC2:SCRATCH_EN: 0
; COMPUTE_PGM_RSRC2:USER_SGPR: 15
; COMPUTE_PGM_RSRC2:TRAP_HANDLER: 0
; COMPUTE_PGM_RSRC2:TGID_X_EN: 1
; COMPUTE_PGM_RSRC2:TGID_Y_EN: 0
; COMPUTE_PGM_RSRC2:TGID_Z_EN: 0
; COMPUTE_PGM_RSRC2:TIDIG_COMP_CNT: 0
	.section	.text._ZN7rocprim17ROCPRIM_400000_NS6detail17trampoline_kernelINS0_14default_configENS1_35adjacent_difference_config_selectorILb0EtEEZNS1_24adjacent_difference_implIS3_Lb0ELb0EPtS7_N6thrust23THRUST_200600_302600_NS4plusItEEEE10hipError_tPvRmT2_T3_mT4_P12ihipStream_tbEUlT_E_NS1_11comp_targetILNS1_3genE8ELNS1_11target_archE1030ELNS1_3gpuE2ELNS1_3repE0EEENS1_30default_config_static_selectorELNS0_4arch9wavefront6targetE0EEEvT1_,"axG",@progbits,_ZN7rocprim17ROCPRIM_400000_NS6detail17trampoline_kernelINS0_14default_configENS1_35adjacent_difference_config_selectorILb0EtEEZNS1_24adjacent_difference_implIS3_Lb0ELb0EPtS7_N6thrust23THRUST_200600_302600_NS4plusItEEEE10hipError_tPvRmT2_T3_mT4_P12ihipStream_tbEUlT_E_NS1_11comp_targetILNS1_3genE8ELNS1_11target_archE1030ELNS1_3gpuE2ELNS1_3repE0EEENS1_30default_config_static_selectorELNS0_4arch9wavefront6targetE0EEEvT1_,comdat
	.protected	_ZN7rocprim17ROCPRIM_400000_NS6detail17trampoline_kernelINS0_14default_configENS1_35adjacent_difference_config_selectorILb0EtEEZNS1_24adjacent_difference_implIS3_Lb0ELb0EPtS7_N6thrust23THRUST_200600_302600_NS4plusItEEEE10hipError_tPvRmT2_T3_mT4_P12ihipStream_tbEUlT_E_NS1_11comp_targetILNS1_3genE8ELNS1_11target_archE1030ELNS1_3gpuE2ELNS1_3repE0EEENS1_30default_config_static_selectorELNS0_4arch9wavefront6targetE0EEEvT1_ ; -- Begin function _ZN7rocprim17ROCPRIM_400000_NS6detail17trampoline_kernelINS0_14default_configENS1_35adjacent_difference_config_selectorILb0EtEEZNS1_24adjacent_difference_implIS3_Lb0ELb0EPtS7_N6thrust23THRUST_200600_302600_NS4plusItEEEE10hipError_tPvRmT2_T3_mT4_P12ihipStream_tbEUlT_E_NS1_11comp_targetILNS1_3genE8ELNS1_11target_archE1030ELNS1_3gpuE2ELNS1_3repE0EEENS1_30default_config_static_selectorELNS0_4arch9wavefront6targetE0EEEvT1_
	.globl	_ZN7rocprim17ROCPRIM_400000_NS6detail17trampoline_kernelINS0_14default_configENS1_35adjacent_difference_config_selectorILb0EtEEZNS1_24adjacent_difference_implIS3_Lb0ELb0EPtS7_N6thrust23THRUST_200600_302600_NS4plusItEEEE10hipError_tPvRmT2_T3_mT4_P12ihipStream_tbEUlT_E_NS1_11comp_targetILNS1_3genE8ELNS1_11target_archE1030ELNS1_3gpuE2ELNS1_3repE0EEENS1_30default_config_static_selectorELNS0_4arch9wavefront6targetE0EEEvT1_
	.p2align	8
	.type	_ZN7rocprim17ROCPRIM_400000_NS6detail17trampoline_kernelINS0_14default_configENS1_35adjacent_difference_config_selectorILb0EtEEZNS1_24adjacent_difference_implIS3_Lb0ELb0EPtS7_N6thrust23THRUST_200600_302600_NS4plusItEEEE10hipError_tPvRmT2_T3_mT4_P12ihipStream_tbEUlT_E_NS1_11comp_targetILNS1_3genE8ELNS1_11target_archE1030ELNS1_3gpuE2ELNS1_3repE0EEENS1_30default_config_static_selectorELNS0_4arch9wavefront6targetE0EEEvT1_,@function
_ZN7rocprim17ROCPRIM_400000_NS6detail17trampoline_kernelINS0_14default_configENS1_35adjacent_difference_config_selectorILb0EtEEZNS1_24adjacent_difference_implIS3_Lb0ELb0EPtS7_N6thrust23THRUST_200600_302600_NS4plusItEEEE10hipError_tPvRmT2_T3_mT4_P12ihipStream_tbEUlT_E_NS1_11comp_targetILNS1_3genE8ELNS1_11target_archE1030ELNS1_3gpuE2ELNS1_3repE0EEENS1_30default_config_static_selectorELNS0_4arch9wavefront6targetE0EEEvT1_: ; @_ZN7rocprim17ROCPRIM_400000_NS6detail17trampoline_kernelINS0_14default_configENS1_35adjacent_difference_config_selectorILb0EtEEZNS1_24adjacent_difference_implIS3_Lb0ELb0EPtS7_N6thrust23THRUST_200600_302600_NS4plusItEEEE10hipError_tPvRmT2_T3_mT4_P12ihipStream_tbEUlT_E_NS1_11comp_targetILNS1_3genE8ELNS1_11target_archE1030ELNS1_3gpuE2ELNS1_3repE0EEENS1_30default_config_static_selectorELNS0_4arch9wavefront6targetE0EEEvT1_
; %bb.0:
	.section	.rodata,"a",@progbits
	.p2align	6, 0x0
	.amdhsa_kernel _ZN7rocprim17ROCPRIM_400000_NS6detail17trampoline_kernelINS0_14default_configENS1_35adjacent_difference_config_selectorILb0EtEEZNS1_24adjacent_difference_implIS3_Lb0ELb0EPtS7_N6thrust23THRUST_200600_302600_NS4plusItEEEE10hipError_tPvRmT2_T3_mT4_P12ihipStream_tbEUlT_E_NS1_11comp_targetILNS1_3genE8ELNS1_11target_archE1030ELNS1_3gpuE2ELNS1_3repE0EEENS1_30default_config_static_selectorELNS0_4arch9wavefront6targetE0EEEvT1_
		.amdhsa_group_segment_fixed_size 0
		.amdhsa_private_segment_fixed_size 0
		.amdhsa_kernarg_size 56
		.amdhsa_user_sgpr_count 15
		.amdhsa_user_sgpr_dispatch_ptr 0
		.amdhsa_user_sgpr_queue_ptr 0
		.amdhsa_user_sgpr_kernarg_segment_ptr 1
		.amdhsa_user_sgpr_dispatch_id 0
		.amdhsa_user_sgpr_private_segment_size 0
		.amdhsa_wavefront_size32 1
		.amdhsa_uses_dynamic_stack 0
		.amdhsa_enable_private_segment 0
		.amdhsa_system_sgpr_workgroup_id_x 1
		.amdhsa_system_sgpr_workgroup_id_y 0
		.amdhsa_system_sgpr_workgroup_id_z 0
		.amdhsa_system_sgpr_workgroup_info 0
		.amdhsa_system_vgpr_workitem_id 0
		.amdhsa_next_free_vgpr 1
		.amdhsa_next_free_sgpr 1
		.amdhsa_reserve_vcc 0
		.amdhsa_float_round_mode_32 0
		.amdhsa_float_round_mode_16_64 0
		.amdhsa_float_denorm_mode_32 3
		.amdhsa_float_denorm_mode_16_64 3
		.amdhsa_dx10_clamp 1
		.amdhsa_ieee_mode 1
		.amdhsa_fp16_overflow 0
		.amdhsa_workgroup_processor_mode 1
		.amdhsa_memory_ordered 1
		.amdhsa_forward_progress 0
		.amdhsa_shared_vgpr_count 0
		.amdhsa_exception_fp_ieee_invalid_op 0
		.amdhsa_exception_fp_denorm_src 0
		.amdhsa_exception_fp_ieee_div_zero 0
		.amdhsa_exception_fp_ieee_overflow 0
		.amdhsa_exception_fp_ieee_underflow 0
		.amdhsa_exception_fp_ieee_inexact 0
		.amdhsa_exception_int_div_zero 0
	.end_amdhsa_kernel
	.section	.text._ZN7rocprim17ROCPRIM_400000_NS6detail17trampoline_kernelINS0_14default_configENS1_35adjacent_difference_config_selectorILb0EtEEZNS1_24adjacent_difference_implIS3_Lb0ELb0EPtS7_N6thrust23THRUST_200600_302600_NS4plusItEEEE10hipError_tPvRmT2_T3_mT4_P12ihipStream_tbEUlT_E_NS1_11comp_targetILNS1_3genE8ELNS1_11target_archE1030ELNS1_3gpuE2ELNS1_3repE0EEENS1_30default_config_static_selectorELNS0_4arch9wavefront6targetE0EEEvT1_,"axG",@progbits,_ZN7rocprim17ROCPRIM_400000_NS6detail17trampoline_kernelINS0_14default_configENS1_35adjacent_difference_config_selectorILb0EtEEZNS1_24adjacent_difference_implIS3_Lb0ELb0EPtS7_N6thrust23THRUST_200600_302600_NS4plusItEEEE10hipError_tPvRmT2_T3_mT4_P12ihipStream_tbEUlT_E_NS1_11comp_targetILNS1_3genE8ELNS1_11target_archE1030ELNS1_3gpuE2ELNS1_3repE0EEENS1_30default_config_static_selectorELNS0_4arch9wavefront6targetE0EEEvT1_,comdat
.Lfunc_end238:
	.size	_ZN7rocprim17ROCPRIM_400000_NS6detail17trampoline_kernelINS0_14default_configENS1_35adjacent_difference_config_selectorILb0EtEEZNS1_24adjacent_difference_implIS3_Lb0ELb0EPtS7_N6thrust23THRUST_200600_302600_NS4plusItEEEE10hipError_tPvRmT2_T3_mT4_P12ihipStream_tbEUlT_E_NS1_11comp_targetILNS1_3genE8ELNS1_11target_archE1030ELNS1_3gpuE2ELNS1_3repE0EEENS1_30default_config_static_selectorELNS0_4arch9wavefront6targetE0EEEvT1_, .Lfunc_end238-_ZN7rocprim17ROCPRIM_400000_NS6detail17trampoline_kernelINS0_14default_configENS1_35adjacent_difference_config_selectorILb0EtEEZNS1_24adjacent_difference_implIS3_Lb0ELb0EPtS7_N6thrust23THRUST_200600_302600_NS4plusItEEEE10hipError_tPvRmT2_T3_mT4_P12ihipStream_tbEUlT_E_NS1_11comp_targetILNS1_3genE8ELNS1_11target_archE1030ELNS1_3gpuE2ELNS1_3repE0EEENS1_30default_config_static_selectorELNS0_4arch9wavefront6targetE0EEEvT1_
                                        ; -- End function
	.section	.AMDGPU.csdata,"",@progbits
; Kernel info:
; codeLenInByte = 0
; NumSgprs: 0
; NumVgprs: 0
; ScratchSize: 0
; MemoryBound: 0
; FloatMode: 240
; IeeeMode: 1
; LDSByteSize: 0 bytes/workgroup (compile time only)
; SGPRBlocks: 0
; VGPRBlocks: 0
; NumSGPRsForWavesPerEU: 1
; NumVGPRsForWavesPerEU: 1
; Occupancy: 16
; WaveLimiterHint : 0
; COMPUTE_PGM_RSRC2:SCRATCH_EN: 0
; COMPUTE_PGM_RSRC2:USER_SGPR: 15
; COMPUTE_PGM_RSRC2:TRAP_HANDLER: 0
; COMPUTE_PGM_RSRC2:TGID_X_EN: 1
; COMPUTE_PGM_RSRC2:TGID_Y_EN: 0
; COMPUTE_PGM_RSRC2:TGID_Z_EN: 0
; COMPUTE_PGM_RSRC2:TIDIG_COMP_CNT: 0
	.section	.text._ZN7rocprim17ROCPRIM_400000_NS6detail17trampoline_kernelINS0_14default_configENS1_25transform_config_selectorItLb0EEEZNS1_14transform_implILb0ES3_S5_NS0_18transform_iteratorINS0_17counting_iteratorImlEEZNS1_24adjacent_difference_implIS3_Lb1ELb0EPtSB_N6thrust23THRUST_200600_302600_NS4plusItEEEE10hipError_tPvRmT2_T3_mT4_P12ihipStream_tbEUlmE_tEESB_NS0_8identityIvEEEESG_SJ_SK_mSL_SN_bEUlT_E_NS1_11comp_targetILNS1_3genE0ELNS1_11target_archE4294967295ELNS1_3gpuE0ELNS1_3repE0EEENS1_30default_config_static_selectorELNS0_4arch9wavefront6targetE0EEEvT1_,"axG",@progbits,_ZN7rocprim17ROCPRIM_400000_NS6detail17trampoline_kernelINS0_14default_configENS1_25transform_config_selectorItLb0EEEZNS1_14transform_implILb0ES3_S5_NS0_18transform_iteratorINS0_17counting_iteratorImlEEZNS1_24adjacent_difference_implIS3_Lb1ELb0EPtSB_N6thrust23THRUST_200600_302600_NS4plusItEEEE10hipError_tPvRmT2_T3_mT4_P12ihipStream_tbEUlmE_tEESB_NS0_8identityIvEEEESG_SJ_SK_mSL_SN_bEUlT_E_NS1_11comp_targetILNS1_3genE0ELNS1_11target_archE4294967295ELNS1_3gpuE0ELNS1_3repE0EEENS1_30default_config_static_selectorELNS0_4arch9wavefront6targetE0EEEvT1_,comdat
	.protected	_ZN7rocprim17ROCPRIM_400000_NS6detail17trampoline_kernelINS0_14default_configENS1_25transform_config_selectorItLb0EEEZNS1_14transform_implILb0ES3_S5_NS0_18transform_iteratorINS0_17counting_iteratorImlEEZNS1_24adjacent_difference_implIS3_Lb1ELb0EPtSB_N6thrust23THRUST_200600_302600_NS4plusItEEEE10hipError_tPvRmT2_T3_mT4_P12ihipStream_tbEUlmE_tEESB_NS0_8identityIvEEEESG_SJ_SK_mSL_SN_bEUlT_E_NS1_11comp_targetILNS1_3genE0ELNS1_11target_archE4294967295ELNS1_3gpuE0ELNS1_3repE0EEENS1_30default_config_static_selectorELNS0_4arch9wavefront6targetE0EEEvT1_ ; -- Begin function _ZN7rocprim17ROCPRIM_400000_NS6detail17trampoline_kernelINS0_14default_configENS1_25transform_config_selectorItLb0EEEZNS1_14transform_implILb0ES3_S5_NS0_18transform_iteratorINS0_17counting_iteratorImlEEZNS1_24adjacent_difference_implIS3_Lb1ELb0EPtSB_N6thrust23THRUST_200600_302600_NS4plusItEEEE10hipError_tPvRmT2_T3_mT4_P12ihipStream_tbEUlmE_tEESB_NS0_8identityIvEEEESG_SJ_SK_mSL_SN_bEUlT_E_NS1_11comp_targetILNS1_3genE0ELNS1_11target_archE4294967295ELNS1_3gpuE0ELNS1_3repE0EEENS1_30default_config_static_selectorELNS0_4arch9wavefront6targetE0EEEvT1_
	.globl	_ZN7rocprim17ROCPRIM_400000_NS6detail17trampoline_kernelINS0_14default_configENS1_25transform_config_selectorItLb0EEEZNS1_14transform_implILb0ES3_S5_NS0_18transform_iteratorINS0_17counting_iteratorImlEEZNS1_24adjacent_difference_implIS3_Lb1ELb0EPtSB_N6thrust23THRUST_200600_302600_NS4plusItEEEE10hipError_tPvRmT2_T3_mT4_P12ihipStream_tbEUlmE_tEESB_NS0_8identityIvEEEESG_SJ_SK_mSL_SN_bEUlT_E_NS1_11comp_targetILNS1_3genE0ELNS1_11target_archE4294967295ELNS1_3gpuE0ELNS1_3repE0EEENS1_30default_config_static_selectorELNS0_4arch9wavefront6targetE0EEEvT1_
	.p2align	8
	.type	_ZN7rocprim17ROCPRIM_400000_NS6detail17trampoline_kernelINS0_14default_configENS1_25transform_config_selectorItLb0EEEZNS1_14transform_implILb0ES3_S5_NS0_18transform_iteratorINS0_17counting_iteratorImlEEZNS1_24adjacent_difference_implIS3_Lb1ELb0EPtSB_N6thrust23THRUST_200600_302600_NS4plusItEEEE10hipError_tPvRmT2_T3_mT4_P12ihipStream_tbEUlmE_tEESB_NS0_8identityIvEEEESG_SJ_SK_mSL_SN_bEUlT_E_NS1_11comp_targetILNS1_3genE0ELNS1_11target_archE4294967295ELNS1_3gpuE0ELNS1_3repE0EEENS1_30default_config_static_selectorELNS0_4arch9wavefront6targetE0EEEvT1_,@function
_ZN7rocprim17ROCPRIM_400000_NS6detail17trampoline_kernelINS0_14default_configENS1_25transform_config_selectorItLb0EEEZNS1_14transform_implILb0ES3_S5_NS0_18transform_iteratorINS0_17counting_iteratorImlEEZNS1_24adjacent_difference_implIS3_Lb1ELb0EPtSB_N6thrust23THRUST_200600_302600_NS4plusItEEEE10hipError_tPvRmT2_T3_mT4_P12ihipStream_tbEUlmE_tEESB_NS0_8identityIvEEEESG_SJ_SK_mSL_SN_bEUlT_E_NS1_11comp_targetILNS1_3genE0ELNS1_11target_archE4294967295ELNS1_3gpuE0ELNS1_3repE0EEENS1_30default_config_static_selectorELNS0_4arch9wavefront6targetE0EEEvT1_: ; @_ZN7rocprim17ROCPRIM_400000_NS6detail17trampoline_kernelINS0_14default_configENS1_25transform_config_selectorItLb0EEEZNS1_14transform_implILb0ES3_S5_NS0_18transform_iteratorINS0_17counting_iteratorImlEEZNS1_24adjacent_difference_implIS3_Lb1ELb0EPtSB_N6thrust23THRUST_200600_302600_NS4plusItEEEE10hipError_tPvRmT2_T3_mT4_P12ihipStream_tbEUlmE_tEESB_NS0_8identityIvEEEESG_SJ_SK_mSL_SN_bEUlT_E_NS1_11comp_targetILNS1_3genE0ELNS1_11target_archE4294967295ELNS1_3gpuE0ELNS1_3repE0EEENS1_30default_config_static_selectorELNS0_4arch9wavefront6targetE0EEEvT1_
; %bb.0:
	.section	.rodata,"a",@progbits
	.p2align	6, 0x0
	.amdhsa_kernel _ZN7rocprim17ROCPRIM_400000_NS6detail17trampoline_kernelINS0_14default_configENS1_25transform_config_selectorItLb0EEEZNS1_14transform_implILb0ES3_S5_NS0_18transform_iteratorINS0_17counting_iteratorImlEEZNS1_24adjacent_difference_implIS3_Lb1ELb0EPtSB_N6thrust23THRUST_200600_302600_NS4plusItEEEE10hipError_tPvRmT2_T3_mT4_P12ihipStream_tbEUlmE_tEESB_NS0_8identityIvEEEESG_SJ_SK_mSL_SN_bEUlT_E_NS1_11comp_targetILNS1_3genE0ELNS1_11target_archE4294967295ELNS1_3gpuE0ELNS1_3repE0EEENS1_30default_config_static_selectorELNS0_4arch9wavefront6targetE0EEEvT1_
		.amdhsa_group_segment_fixed_size 0
		.amdhsa_private_segment_fixed_size 0
		.amdhsa_kernarg_size 56
		.amdhsa_user_sgpr_count 15
		.amdhsa_user_sgpr_dispatch_ptr 0
		.amdhsa_user_sgpr_queue_ptr 0
		.amdhsa_user_sgpr_kernarg_segment_ptr 1
		.amdhsa_user_sgpr_dispatch_id 0
		.amdhsa_user_sgpr_private_segment_size 0
		.amdhsa_wavefront_size32 1
		.amdhsa_uses_dynamic_stack 0
		.amdhsa_enable_private_segment 0
		.amdhsa_system_sgpr_workgroup_id_x 1
		.amdhsa_system_sgpr_workgroup_id_y 0
		.amdhsa_system_sgpr_workgroup_id_z 0
		.amdhsa_system_sgpr_workgroup_info 0
		.amdhsa_system_vgpr_workitem_id 0
		.amdhsa_next_free_vgpr 1
		.amdhsa_next_free_sgpr 1
		.amdhsa_reserve_vcc 0
		.amdhsa_float_round_mode_32 0
		.amdhsa_float_round_mode_16_64 0
		.amdhsa_float_denorm_mode_32 3
		.amdhsa_float_denorm_mode_16_64 3
		.amdhsa_dx10_clamp 1
		.amdhsa_ieee_mode 1
		.amdhsa_fp16_overflow 0
		.amdhsa_workgroup_processor_mode 1
		.amdhsa_memory_ordered 1
		.amdhsa_forward_progress 0
		.amdhsa_shared_vgpr_count 0
		.amdhsa_exception_fp_ieee_invalid_op 0
		.amdhsa_exception_fp_denorm_src 0
		.amdhsa_exception_fp_ieee_div_zero 0
		.amdhsa_exception_fp_ieee_overflow 0
		.amdhsa_exception_fp_ieee_underflow 0
		.amdhsa_exception_fp_ieee_inexact 0
		.amdhsa_exception_int_div_zero 0
	.end_amdhsa_kernel
	.section	.text._ZN7rocprim17ROCPRIM_400000_NS6detail17trampoline_kernelINS0_14default_configENS1_25transform_config_selectorItLb0EEEZNS1_14transform_implILb0ES3_S5_NS0_18transform_iteratorINS0_17counting_iteratorImlEEZNS1_24adjacent_difference_implIS3_Lb1ELb0EPtSB_N6thrust23THRUST_200600_302600_NS4plusItEEEE10hipError_tPvRmT2_T3_mT4_P12ihipStream_tbEUlmE_tEESB_NS0_8identityIvEEEESG_SJ_SK_mSL_SN_bEUlT_E_NS1_11comp_targetILNS1_3genE0ELNS1_11target_archE4294967295ELNS1_3gpuE0ELNS1_3repE0EEENS1_30default_config_static_selectorELNS0_4arch9wavefront6targetE0EEEvT1_,"axG",@progbits,_ZN7rocprim17ROCPRIM_400000_NS6detail17trampoline_kernelINS0_14default_configENS1_25transform_config_selectorItLb0EEEZNS1_14transform_implILb0ES3_S5_NS0_18transform_iteratorINS0_17counting_iteratorImlEEZNS1_24adjacent_difference_implIS3_Lb1ELb0EPtSB_N6thrust23THRUST_200600_302600_NS4plusItEEEE10hipError_tPvRmT2_T3_mT4_P12ihipStream_tbEUlmE_tEESB_NS0_8identityIvEEEESG_SJ_SK_mSL_SN_bEUlT_E_NS1_11comp_targetILNS1_3genE0ELNS1_11target_archE4294967295ELNS1_3gpuE0ELNS1_3repE0EEENS1_30default_config_static_selectorELNS0_4arch9wavefront6targetE0EEEvT1_,comdat
.Lfunc_end239:
	.size	_ZN7rocprim17ROCPRIM_400000_NS6detail17trampoline_kernelINS0_14default_configENS1_25transform_config_selectorItLb0EEEZNS1_14transform_implILb0ES3_S5_NS0_18transform_iteratorINS0_17counting_iteratorImlEEZNS1_24adjacent_difference_implIS3_Lb1ELb0EPtSB_N6thrust23THRUST_200600_302600_NS4plusItEEEE10hipError_tPvRmT2_T3_mT4_P12ihipStream_tbEUlmE_tEESB_NS0_8identityIvEEEESG_SJ_SK_mSL_SN_bEUlT_E_NS1_11comp_targetILNS1_3genE0ELNS1_11target_archE4294967295ELNS1_3gpuE0ELNS1_3repE0EEENS1_30default_config_static_selectorELNS0_4arch9wavefront6targetE0EEEvT1_, .Lfunc_end239-_ZN7rocprim17ROCPRIM_400000_NS6detail17trampoline_kernelINS0_14default_configENS1_25transform_config_selectorItLb0EEEZNS1_14transform_implILb0ES3_S5_NS0_18transform_iteratorINS0_17counting_iteratorImlEEZNS1_24adjacent_difference_implIS3_Lb1ELb0EPtSB_N6thrust23THRUST_200600_302600_NS4plusItEEEE10hipError_tPvRmT2_T3_mT4_P12ihipStream_tbEUlmE_tEESB_NS0_8identityIvEEEESG_SJ_SK_mSL_SN_bEUlT_E_NS1_11comp_targetILNS1_3genE0ELNS1_11target_archE4294967295ELNS1_3gpuE0ELNS1_3repE0EEENS1_30default_config_static_selectorELNS0_4arch9wavefront6targetE0EEEvT1_
                                        ; -- End function
	.section	.AMDGPU.csdata,"",@progbits
; Kernel info:
; codeLenInByte = 0
; NumSgprs: 0
; NumVgprs: 0
; ScratchSize: 0
; MemoryBound: 0
; FloatMode: 240
; IeeeMode: 1
; LDSByteSize: 0 bytes/workgroup (compile time only)
; SGPRBlocks: 0
; VGPRBlocks: 0
; NumSGPRsForWavesPerEU: 1
; NumVGPRsForWavesPerEU: 1
; Occupancy: 16
; WaveLimiterHint : 0
; COMPUTE_PGM_RSRC2:SCRATCH_EN: 0
; COMPUTE_PGM_RSRC2:USER_SGPR: 15
; COMPUTE_PGM_RSRC2:TRAP_HANDLER: 0
; COMPUTE_PGM_RSRC2:TGID_X_EN: 1
; COMPUTE_PGM_RSRC2:TGID_Y_EN: 0
; COMPUTE_PGM_RSRC2:TGID_Z_EN: 0
; COMPUTE_PGM_RSRC2:TIDIG_COMP_CNT: 0
	.section	.text._ZN7rocprim17ROCPRIM_400000_NS6detail17trampoline_kernelINS0_14default_configENS1_25transform_config_selectorItLb0EEEZNS1_14transform_implILb0ES3_S5_NS0_18transform_iteratorINS0_17counting_iteratorImlEEZNS1_24adjacent_difference_implIS3_Lb1ELb0EPtSB_N6thrust23THRUST_200600_302600_NS4plusItEEEE10hipError_tPvRmT2_T3_mT4_P12ihipStream_tbEUlmE_tEESB_NS0_8identityIvEEEESG_SJ_SK_mSL_SN_bEUlT_E_NS1_11comp_targetILNS1_3genE5ELNS1_11target_archE942ELNS1_3gpuE9ELNS1_3repE0EEENS1_30default_config_static_selectorELNS0_4arch9wavefront6targetE0EEEvT1_,"axG",@progbits,_ZN7rocprim17ROCPRIM_400000_NS6detail17trampoline_kernelINS0_14default_configENS1_25transform_config_selectorItLb0EEEZNS1_14transform_implILb0ES3_S5_NS0_18transform_iteratorINS0_17counting_iteratorImlEEZNS1_24adjacent_difference_implIS3_Lb1ELb0EPtSB_N6thrust23THRUST_200600_302600_NS4plusItEEEE10hipError_tPvRmT2_T3_mT4_P12ihipStream_tbEUlmE_tEESB_NS0_8identityIvEEEESG_SJ_SK_mSL_SN_bEUlT_E_NS1_11comp_targetILNS1_3genE5ELNS1_11target_archE942ELNS1_3gpuE9ELNS1_3repE0EEENS1_30default_config_static_selectorELNS0_4arch9wavefront6targetE0EEEvT1_,comdat
	.protected	_ZN7rocprim17ROCPRIM_400000_NS6detail17trampoline_kernelINS0_14default_configENS1_25transform_config_selectorItLb0EEEZNS1_14transform_implILb0ES3_S5_NS0_18transform_iteratorINS0_17counting_iteratorImlEEZNS1_24adjacent_difference_implIS3_Lb1ELb0EPtSB_N6thrust23THRUST_200600_302600_NS4plusItEEEE10hipError_tPvRmT2_T3_mT4_P12ihipStream_tbEUlmE_tEESB_NS0_8identityIvEEEESG_SJ_SK_mSL_SN_bEUlT_E_NS1_11comp_targetILNS1_3genE5ELNS1_11target_archE942ELNS1_3gpuE9ELNS1_3repE0EEENS1_30default_config_static_selectorELNS0_4arch9wavefront6targetE0EEEvT1_ ; -- Begin function _ZN7rocprim17ROCPRIM_400000_NS6detail17trampoline_kernelINS0_14default_configENS1_25transform_config_selectorItLb0EEEZNS1_14transform_implILb0ES3_S5_NS0_18transform_iteratorINS0_17counting_iteratorImlEEZNS1_24adjacent_difference_implIS3_Lb1ELb0EPtSB_N6thrust23THRUST_200600_302600_NS4plusItEEEE10hipError_tPvRmT2_T3_mT4_P12ihipStream_tbEUlmE_tEESB_NS0_8identityIvEEEESG_SJ_SK_mSL_SN_bEUlT_E_NS1_11comp_targetILNS1_3genE5ELNS1_11target_archE942ELNS1_3gpuE9ELNS1_3repE0EEENS1_30default_config_static_selectorELNS0_4arch9wavefront6targetE0EEEvT1_
	.globl	_ZN7rocprim17ROCPRIM_400000_NS6detail17trampoline_kernelINS0_14default_configENS1_25transform_config_selectorItLb0EEEZNS1_14transform_implILb0ES3_S5_NS0_18transform_iteratorINS0_17counting_iteratorImlEEZNS1_24adjacent_difference_implIS3_Lb1ELb0EPtSB_N6thrust23THRUST_200600_302600_NS4plusItEEEE10hipError_tPvRmT2_T3_mT4_P12ihipStream_tbEUlmE_tEESB_NS0_8identityIvEEEESG_SJ_SK_mSL_SN_bEUlT_E_NS1_11comp_targetILNS1_3genE5ELNS1_11target_archE942ELNS1_3gpuE9ELNS1_3repE0EEENS1_30default_config_static_selectorELNS0_4arch9wavefront6targetE0EEEvT1_
	.p2align	8
	.type	_ZN7rocprim17ROCPRIM_400000_NS6detail17trampoline_kernelINS0_14default_configENS1_25transform_config_selectorItLb0EEEZNS1_14transform_implILb0ES3_S5_NS0_18transform_iteratorINS0_17counting_iteratorImlEEZNS1_24adjacent_difference_implIS3_Lb1ELb0EPtSB_N6thrust23THRUST_200600_302600_NS4plusItEEEE10hipError_tPvRmT2_T3_mT4_P12ihipStream_tbEUlmE_tEESB_NS0_8identityIvEEEESG_SJ_SK_mSL_SN_bEUlT_E_NS1_11comp_targetILNS1_3genE5ELNS1_11target_archE942ELNS1_3gpuE9ELNS1_3repE0EEENS1_30default_config_static_selectorELNS0_4arch9wavefront6targetE0EEEvT1_,@function
_ZN7rocprim17ROCPRIM_400000_NS6detail17trampoline_kernelINS0_14default_configENS1_25transform_config_selectorItLb0EEEZNS1_14transform_implILb0ES3_S5_NS0_18transform_iteratorINS0_17counting_iteratorImlEEZNS1_24adjacent_difference_implIS3_Lb1ELb0EPtSB_N6thrust23THRUST_200600_302600_NS4plusItEEEE10hipError_tPvRmT2_T3_mT4_P12ihipStream_tbEUlmE_tEESB_NS0_8identityIvEEEESG_SJ_SK_mSL_SN_bEUlT_E_NS1_11comp_targetILNS1_3genE5ELNS1_11target_archE942ELNS1_3gpuE9ELNS1_3repE0EEENS1_30default_config_static_selectorELNS0_4arch9wavefront6targetE0EEEvT1_: ; @_ZN7rocprim17ROCPRIM_400000_NS6detail17trampoline_kernelINS0_14default_configENS1_25transform_config_selectorItLb0EEEZNS1_14transform_implILb0ES3_S5_NS0_18transform_iteratorINS0_17counting_iteratorImlEEZNS1_24adjacent_difference_implIS3_Lb1ELb0EPtSB_N6thrust23THRUST_200600_302600_NS4plusItEEEE10hipError_tPvRmT2_T3_mT4_P12ihipStream_tbEUlmE_tEESB_NS0_8identityIvEEEESG_SJ_SK_mSL_SN_bEUlT_E_NS1_11comp_targetILNS1_3genE5ELNS1_11target_archE942ELNS1_3gpuE9ELNS1_3repE0EEENS1_30default_config_static_selectorELNS0_4arch9wavefront6targetE0EEEvT1_
; %bb.0:
	.section	.rodata,"a",@progbits
	.p2align	6, 0x0
	.amdhsa_kernel _ZN7rocprim17ROCPRIM_400000_NS6detail17trampoline_kernelINS0_14default_configENS1_25transform_config_selectorItLb0EEEZNS1_14transform_implILb0ES3_S5_NS0_18transform_iteratorINS0_17counting_iteratorImlEEZNS1_24adjacent_difference_implIS3_Lb1ELb0EPtSB_N6thrust23THRUST_200600_302600_NS4plusItEEEE10hipError_tPvRmT2_T3_mT4_P12ihipStream_tbEUlmE_tEESB_NS0_8identityIvEEEESG_SJ_SK_mSL_SN_bEUlT_E_NS1_11comp_targetILNS1_3genE5ELNS1_11target_archE942ELNS1_3gpuE9ELNS1_3repE0EEENS1_30default_config_static_selectorELNS0_4arch9wavefront6targetE0EEEvT1_
		.amdhsa_group_segment_fixed_size 0
		.amdhsa_private_segment_fixed_size 0
		.amdhsa_kernarg_size 56
		.amdhsa_user_sgpr_count 15
		.amdhsa_user_sgpr_dispatch_ptr 0
		.amdhsa_user_sgpr_queue_ptr 0
		.amdhsa_user_sgpr_kernarg_segment_ptr 1
		.amdhsa_user_sgpr_dispatch_id 0
		.amdhsa_user_sgpr_private_segment_size 0
		.amdhsa_wavefront_size32 1
		.amdhsa_uses_dynamic_stack 0
		.amdhsa_enable_private_segment 0
		.amdhsa_system_sgpr_workgroup_id_x 1
		.amdhsa_system_sgpr_workgroup_id_y 0
		.amdhsa_system_sgpr_workgroup_id_z 0
		.amdhsa_system_sgpr_workgroup_info 0
		.amdhsa_system_vgpr_workitem_id 0
		.amdhsa_next_free_vgpr 1
		.amdhsa_next_free_sgpr 1
		.amdhsa_reserve_vcc 0
		.amdhsa_float_round_mode_32 0
		.amdhsa_float_round_mode_16_64 0
		.amdhsa_float_denorm_mode_32 3
		.amdhsa_float_denorm_mode_16_64 3
		.amdhsa_dx10_clamp 1
		.amdhsa_ieee_mode 1
		.amdhsa_fp16_overflow 0
		.amdhsa_workgroup_processor_mode 1
		.amdhsa_memory_ordered 1
		.amdhsa_forward_progress 0
		.amdhsa_shared_vgpr_count 0
		.amdhsa_exception_fp_ieee_invalid_op 0
		.amdhsa_exception_fp_denorm_src 0
		.amdhsa_exception_fp_ieee_div_zero 0
		.amdhsa_exception_fp_ieee_overflow 0
		.amdhsa_exception_fp_ieee_underflow 0
		.amdhsa_exception_fp_ieee_inexact 0
		.amdhsa_exception_int_div_zero 0
	.end_amdhsa_kernel
	.section	.text._ZN7rocprim17ROCPRIM_400000_NS6detail17trampoline_kernelINS0_14default_configENS1_25transform_config_selectorItLb0EEEZNS1_14transform_implILb0ES3_S5_NS0_18transform_iteratorINS0_17counting_iteratorImlEEZNS1_24adjacent_difference_implIS3_Lb1ELb0EPtSB_N6thrust23THRUST_200600_302600_NS4plusItEEEE10hipError_tPvRmT2_T3_mT4_P12ihipStream_tbEUlmE_tEESB_NS0_8identityIvEEEESG_SJ_SK_mSL_SN_bEUlT_E_NS1_11comp_targetILNS1_3genE5ELNS1_11target_archE942ELNS1_3gpuE9ELNS1_3repE0EEENS1_30default_config_static_selectorELNS0_4arch9wavefront6targetE0EEEvT1_,"axG",@progbits,_ZN7rocprim17ROCPRIM_400000_NS6detail17trampoline_kernelINS0_14default_configENS1_25transform_config_selectorItLb0EEEZNS1_14transform_implILb0ES3_S5_NS0_18transform_iteratorINS0_17counting_iteratorImlEEZNS1_24adjacent_difference_implIS3_Lb1ELb0EPtSB_N6thrust23THRUST_200600_302600_NS4plusItEEEE10hipError_tPvRmT2_T3_mT4_P12ihipStream_tbEUlmE_tEESB_NS0_8identityIvEEEESG_SJ_SK_mSL_SN_bEUlT_E_NS1_11comp_targetILNS1_3genE5ELNS1_11target_archE942ELNS1_3gpuE9ELNS1_3repE0EEENS1_30default_config_static_selectorELNS0_4arch9wavefront6targetE0EEEvT1_,comdat
.Lfunc_end240:
	.size	_ZN7rocprim17ROCPRIM_400000_NS6detail17trampoline_kernelINS0_14default_configENS1_25transform_config_selectorItLb0EEEZNS1_14transform_implILb0ES3_S5_NS0_18transform_iteratorINS0_17counting_iteratorImlEEZNS1_24adjacent_difference_implIS3_Lb1ELb0EPtSB_N6thrust23THRUST_200600_302600_NS4plusItEEEE10hipError_tPvRmT2_T3_mT4_P12ihipStream_tbEUlmE_tEESB_NS0_8identityIvEEEESG_SJ_SK_mSL_SN_bEUlT_E_NS1_11comp_targetILNS1_3genE5ELNS1_11target_archE942ELNS1_3gpuE9ELNS1_3repE0EEENS1_30default_config_static_selectorELNS0_4arch9wavefront6targetE0EEEvT1_, .Lfunc_end240-_ZN7rocprim17ROCPRIM_400000_NS6detail17trampoline_kernelINS0_14default_configENS1_25transform_config_selectorItLb0EEEZNS1_14transform_implILb0ES3_S5_NS0_18transform_iteratorINS0_17counting_iteratorImlEEZNS1_24adjacent_difference_implIS3_Lb1ELb0EPtSB_N6thrust23THRUST_200600_302600_NS4plusItEEEE10hipError_tPvRmT2_T3_mT4_P12ihipStream_tbEUlmE_tEESB_NS0_8identityIvEEEESG_SJ_SK_mSL_SN_bEUlT_E_NS1_11comp_targetILNS1_3genE5ELNS1_11target_archE942ELNS1_3gpuE9ELNS1_3repE0EEENS1_30default_config_static_selectorELNS0_4arch9wavefront6targetE0EEEvT1_
                                        ; -- End function
	.section	.AMDGPU.csdata,"",@progbits
; Kernel info:
; codeLenInByte = 0
; NumSgprs: 0
; NumVgprs: 0
; ScratchSize: 0
; MemoryBound: 0
; FloatMode: 240
; IeeeMode: 1
; LDSByteSize: 0 bytes/workgroup (compile time only)
; SGPRBlocks: 0
; VGPRBlocks: 0
; NumSGPRsForWavesPerEU: 1
; NumVGPRsForWavesPerEU: 1
; Occupancy: 16
; WaveLimiterHint : 0
; COMPUTE_PGM_RSRC2:SCRATCH_EN: 0
; COMPUTE_PGM_RSRC2:USER_SGPR: 15
; COMPUTE_PGM_RSRC2:TRAP_HANDLER: 0
; COMPUTE_PGM_RSRC2:TGID_X_EN: 1
; COMPUTE_PGM_RSRC2:TGID_Y_EN: 0
; COMPUTE_PGM_RSRC2:TGID_Z_EN: 0
; COMPUTE_PGM_RSRC2:TIDIG_COMP_CNT: 0
	.section	.text._ZN7rocprim17ROCPRIM_400000_NS6detail17trampoline_kernelINS0_14default_configENS1_25transform_config_selectorItLb0EEEZNS1_14transform_implILb0ES3_S5_NS0_18transform_iteratorINS0_17counting_iteratorImlEEZNS1_24adjacent_difference_implIS3_Lb1ELb0EPtSB_N6thrust23THRUST_200600_302600_NS4plusItEEEE10hipError_tPvRmT2_T3_mT4_P12ihipStream_tbEUlmE_tEESB_NS0_8identityIvEEEESG_SJ_SK_mSL_SN_bEUlT_E_NS1_11comp_targetILNS1_3genE4ELNS1_11target_archE910ELNS1_3gpuE8ELNS1_3repE0EEENS1_30default_config_static_selectorELNS0_4arch9wavefront6targetE0EEEvT1_,"axG",@progbits,_ZN7rocprim17ROCPRIM_400000_NS6detail17trampoline_kernelINS0_14default_configENS1_25transform_config_selectorItLb0EEEZNS1_14transform_implILb0ES3_S5_NS0_18transform_iteratorINS0_17counting_iteratorImlEEZNS1_24adjacent_difference_implIS3_Lb1ELb0EPtSB_N6thrust23THRUST_200600_302600_NS4plusItEEEE10hipError_tPvRmT2_T3_mT4_P12ihipStream_tbEUlmE_tEESB_NS0_8identityIvEEEESG_SJ_SK_mSL_SN_bEUlT_E_NS1_11comp_targetILNS1_3genE4ELNS1_11target_archE910ELNS1_3gpuE8ELNS1_3repE0EEENS1_30default_config_static_selectorELNS0_4arch9wavefront6targetE0EEEvT1_,comdat
	.protected	_ZN7rocprim17ROCPRIM_400000_NS6detail17trampoline_kernelINS0_14default_configENS1_25transform_config_selectorItLb0EEEZNS1_14transform_implILb0ES3_S5_NS0_18transform_iteratorINS0_17counting_iteratorImlEEZNS1_24adjacent_difference_implIS3_Lb1ELb0EPtSB_N6thrust23THRUST_200600_302600_NS4plusItEEEE10hipError_tPvRmT2_T3_mT4_P12ihipStream_tbEUlmE_tEESB_NS0_8identityIvEEEESG_SJ_SK_mSL_SN_bEUlT_E_NS1_11comp_targetILNS1_3genE4ELNS1_11target_archE910ELNS1_3gpuE8ELNS1_3repE0EEENS1_30default_config_static_selectorELNS0_4arch9wavefront6targetE0EEEvT1_ ; -- Begin function _ZN7rocprim17ROCPRIM_400000_NS6detail17trampoline_kernelINS0_14default_configENS1_25transform_config_selectorItLb0EEEZNS1_14transform_implILb0ES3_S5_NS0_18transform_iteratorINS0_17counting_iteratorImlEEZNS1_24adjacent_difference_implIS3_Lb1ELb0EPtSB_N6thrust23THRUST_200600_302600_NS4plusItEEEE10hipError_tPvRmT2_T3_mT4_P12ihipStream_tbEUlmE_tEESB_NS0_8identityIvEEEESG_SJ_SK_mSL_SN_bEUlT_E_NS1_11comp_targetILNS1_3genE4ELNS1_11target_archE910ELNS1_3gpuE8ELNS1_3repE0EEENS1_30default_config_static_selectorELNS0_4arch9wavefront6targetE0EEEvT1_
	.globl	_ZN7rocprim17ROCPRIM_400000_NS6detail17trampoline_kernelINS0_14default_configENS1_25transform_config_selectorItLb0EEEZNS1_14transform_implILb0ES3_S5_NS0_18transform_iteratorINS0_17counting_iteratorImlEEZNS1_24adjacent_difference_implIS3_Lb1ELb0EPtSB_N6thrust23THRUST_200600_302600_NS4plusItEEEE10hipError_tPvRmT2_T3_mT4_P12ihipStream_tbEUlmE_tEESB_NS0_8identityIvEEEESG_SJ_SK_mSL_SN_bEUlT_E_NS1_11comp_targetILNS1_3genE4ELNS1_11target_archE910ELNS1_3gpuE8ELNS1_3repE0EEENS1_30default_config_static_selectorELNS0_4arch9wavefront6targetE0EEEvT1_
	.p2align	8
	.type	_ZN7rocprim17ROCPRIM_400000_NS6detail17trampoline_kernelINS0_14default_configENS1_25transform_config_selectorItLb0EEEZNS1_14transform_implILb0ES3_S5_NS0_18transform_iteratorINS0_17counting_iteratorImlEEZNS1_24adjacent_difference_implIS3_Lb1ELb0EPtSB_N6thrust23THRUST_200600_302600_NS4plusItEEEE10hipError_tPvRmT2_T3_mT4_P12ihipStream_tbEUlmE_tEESB_NS0_8identityIvEEEESG_SJ_SK_mSL_SN_bEUlT_E_NS1_11comp_targetILNS1_3genE4ELNS1_11target_archE910ELNS1_3gpuE8ELNS1_3repE0EEENS1_30default_config_static_selectorELNS0_4arch9wavefront6targetE0EEEvT1_,@function
_ZN7rocprim17ROCPRIM_400000_NS6detail17trampoline_kernelINS0_14default_configENS1_25transform_config_selectorItLb0EEEZNS1_14transform_implILb0ES3_S5_NS0_18transform_iteratorINS0_17counting_iteratorImlEEZNS1_24adjacent_difference_implIS3_Lb1ELb0EPtSB_N6thrust23THRUST_200600_302600_NS4plusItEEEE10hipError_tPvRmT2_T3_mT4_P12ihipStream_tbEUlmE_tEESB_NS0_8identityIvEEEESG_SJ_SK_mSL_SN_bEUlT_E_NS1_11comp_targetILNS1_3genE4ELNS1_11target_archE910ELNS1_3gpuE8ELNS1_3repE0EEENS1_30default_config_static_selectorELNS0_4arch9wavefront6targetE0EEEvT1_: ; @_ZN7rocprim17ROCPRIM_400000_NS6detail17trampoline_kernelINS0_14default_configENS1_25transform_config_selectorItLb0EEEZNS1_14transform_implILb0ES3_S5_NS0_18transform_iteratorINS0_17counting_iteratorImlEEZNS1_24adjacent_difference_implIS3_Lb1ELb0EPtSB_N6thrust23THRUST_200600_302600_NS4plusItEEEE10hipError_tPvRmT2_T3_mT4_P12ihipStream_tbEUlmE_tEESB_NS0_8identityIvEEEESG_SJ_SK_mSL_SN_bEUlT_E_NS1_11comp_targetILNS1_3genE4ELNS1_11target_archE910ELNS1_3gpuE8ELNS1_3repE0EEENS1_30default_config_static_selectorELNS0_4arch9wavefront6targetE0EEEvT1_
; %bb.0:
	.section	.rodata,"a",@progbits
	.p2align	6, 0x0
	.amdhsa_kernel _ZN7rocprim17ROCPRIM_400000_NS6detail17trampoline_kernelINS0_14default_configENS1_25transform_config_selectorItLb0EEEZNS1_14transform_implILb0ES3_S5_NS0_18transform_iteratorINS0_17counting_iteratorImlEEZNS1_24adjacent_difference_implIS3_Lb1ELb0EPtSB_N6thrust23THRUST_200600_302600_NS4plusItEEEE10hipError_tPvRmT2_T3_mT4_P12ihipStream_tbEUlmE_tEESB_NS0_8identityIvEEEESG_SJ_SK_mSL_SN_bEUlT_E_NS1_11comp_targetILNS1_3genE4ELNS1_11target_archE910ELNS1_3gpuE8ELNS1_3repE0EEENS1_30default_config_static_selectorELNS0_4arch9wavefront6targetE0EEEvT1_
		.amdhsa_group_segment_fixed_size 0
		.amdhsa_private_segment_fixed_size 0
		.amdhsa_kernarg_size 56
		.amdhsa_user_sgpr_count 15
		.amdhsa_user_sgpr_dispatch_ptr 0
		.amdhsa_user_sgpr_queue_ptr 0
		.amdhsa_user_sgpr_kernarg_segment_ptr 1
		.amdhsa_user_sgpr_dispatch_id 0
		.amdhsa_user_sgpr_private_segment_size 0
		.amdhsa_wavefront_size32 1
		.amdhsa_uses_dynamic_stack 0
		.amdhsa_enable_private_segment 0
		.amdhsa_system_sgpr_workgroup_id_x 1
		.amdhsa_system_sgpr_workgroup_id_y 0
		.amdhsa_system_sgpr_workgroup_id_z 0
		.amdhsa_system_sgpr_workgroup_info 0
		.amdhsa_system_vgpr_workitem_id 0
		.amdhsa_next_free_vgpr 1
		.amdhsa_next_free_sgpr 1
		.amdhsa_reserve_vcc 0
		.amdhsa_float_round_mode_32 0
		.amdhsa_float_round_mode_16_64 0
		.amdhsa_float_denorm_mode_32 3
		.amdhsa_float_denorm_mode_16_64 3
		.amdhsa_dx10_clamp 1
		.amdhsa_ieee_mode 1
		.amdhsa_fp16_overflow 0
		.amdhsa_workgroup_processor_mode 1
		.amdhsa_memory_ordered 1
		.amdhsa_forward_progress 0
		.amdhsa_shared_vgpr_count 0
		.amdhsa_exception_fp_ieee_invalid_op 0
		.amdhsa_exception_fp_denorm_src 0
		.amdhsa_exception_fp_ieee_div_zero 0
		.amdhsa_exception_fp_ieee_overflow 0
		.amdhsa_exception_fp_ieee_underflow 0
		.amdhsa_exception_fp_ieee_inexact 0
		.amdhsa_exception_int_div_zero 0
	.end_amdhsa_kernel
	.section	.text._ZN7rocprim17ROCPRIM_400000_NS6detail17trampoline_kernelINS0_14default_configENS1_25transform_config_selectorItLb0EEEZNS1_14transform_implILb0ES3_S5_NS0_18transform_iteratorINS0_17counting_iteratorImlEEZNS1_24adjacent_difference_implIS3_Lb1ELb0EPtSB_N6thrust23THRUST_200600_302600_NS4plusItEEEE10hipError_tPvRmT2_T3_mT4_P12ihipStream_tbEUlmE_tEESB_NS0_8identityIvEEEESG_SJ_SK_mSL_SN_bEUlT_E_NS1_11comp_targetILNS1_3genE4ELNS1_11target_archE910ELNS1_3gpuE8ELNS1_3repE0EEENS1_30default_config_static_selectorELNS0_4arch9wavefront6targetE0EEEvT1_,"axG",@progbits,_ZN7rocprim17ROCPRIM_400000_NS6detail17trampoline_kernelINS0_14default_configENS1_25transform_config_selectorItLb0EEEZNS1_14transform_implILb0ES3_S5_NS0_18transform_iteratorINS0_17counting_iteratorImlEEZNS1_24adjacent_difference_implIS3_Lb1ELb0EPtSB_N6thrust23THRUST_200600_302600_NS4plusItEEEE10hipError_tPvRmT2_T3_mT4_P12ihipStream_tbEUlmE_tEESB_NS0_8identityIvEEEESG_SJ_SK_mSL_SN_bEUlT_E_NS1_11comp_targetILNS1_3genE4ELNS1_11target_archE910ELNS1_3gpuE8ELNS1_3repE0EEENS1_30default_config_static_selectorELNS0_4arch9wavefront6targetE0EEEvT1_,comdat
.Lfunc_end241:
	.size	_ZN7rocprim17ROCPRIM_400000_NS6detail17trampoline_kernelINS0_14default_configENS1_25transform_config_selectorItLb0EEEZNS1_14transform_implILb0ES3_S5_NS0_18transform_iteratorINS0_17counting_iteratorImlEEZNS1_24adjacent_difference_implIS3_Lb1ELb0EPtSB_N6thrust23THRUST_200600_302600_NS4plusItEEEE10hipError_tPvRmT2_T3_mT4_P12ihipStream_tbEUlmE_tEESB_NS0_8identityIvEEEESG_SJ_SK_mSL_SN_bEUlT_E_NS1_11comp_targetILNS1_3genE4ELNS1_11target_archE910ELNS1_3gpuE8ELNS1_3repE0EEENS1_30default_config_static_selectorELNS0_4arch9wavefront6targetE0EEEvT1_, .Lfunc_end241-_ZN7rocprim17ROCPRIM_400000_NS6detail17trampoline_kernelINS0_14default_configENS1_25transform_config_selectorItLb0EEEZNS1_14transform_implILb0ES3_S5_NS0_18transform_iteratorINS0_17counting_iteratorImlEEZNS1_24adjacent_difference_implIS3_Lb1ELb0EPtSB_N6thrust23THRUST_200600_302600_NS4plusItEEEE10hipError_tPvRmT2_T3_mT4_P12ihipStream_tbEUlmE_tEESB_NS0_8identityIvEEEESG_SJ_SK_mSL_SN_bEUlT_E_NS1_11comp_targetILNS1_3genE4ELNS1_11target_archE910ELNS1_3gpuE8ELNS1_3repE0EEENS1_30default_config_static_selectorELNS0_4arch9wavefront6targetE0EEEvT1_
                                        ; -- End function
	.section	.AMDGPU.csdata,"",@progbits
; Kernel info:
; codeLenInByte = 0
; NumSgprs: 0
; NumVgprs: 0
; ScratchSize: 0
; MemoryBound: 0
; FloatMode: 240
; IeeeMode: 1
; LDSByteSize: 0 bytes/workgroup (compile time only)
; SGPRBlocks: 0
; VGPRBlocks: 0
; NumSGPRsForWavesPerEU: 1
; NumVGPRsForWavesPerEU: 1
; Occupancy: 16
; WaveLimiterHint : 0
; COMPUTE_PGM_RSRC2:SCRATCH_EN: 0
; COMPUTE_PGM_RSRC2:USER_SGPR: 15
; COMPUTE_PGM_RSRC2:TRAP_HANDLER: 0
; COMPUTE_PGM_RSRC2:TGID_X_EN: 1
; COMPUTE_PGM_RSRC2:TGID_Y_EN: 0
; COMPUTE_PGM_RSRC2:TGID_Z_EN: 0
; COMPUTE_PGM_RSRC2:TIDIG_COMP_CNT: 0
	.section	.text._ZN7rocprim17ROCPRIM_400000_NS6detail17trampoline_kernelINS0_14default_configENS1_25transform_config_selectorItLb0EEEZNS1_14transform_implILb0ES3_S5_NS0_18transform_iteratorINS0_17counting_iteratorImlEEZNS1_24adjacent_difference_implIS3_Lb1ELb0EPtSB_N6thrust23THRUST_200600_302600_NS4plusItEEEE10hipError_tPvRmT2_T3_mT4_P12ihipStream_tbEUlmE_tEESB_NS0_8identityIvEEEESG_SJ_SK_mSL_SN_bEUlT_E_NS1_11comp_targetILNS1_3genE3ELNS1_11target_archE908ELNS1_3gpuE7ELNS1_3repE0EEENS1_30default_config_static_selectorELNS0_4arch9wavefront6targetE0EEEvT1_,"axG",@progbits,_ZN7rocprim17ROCPRIM_400000_NS6detail17trampoline_kernelINS0_14default_configENS1_25transform_config_selectorItLb0EEEZNS1_14transform_implILb0ES3_S5_NS0_18transform_iteratorINS0_17counting_iteratorImlEEZNS1_24adjacent_difference_implIS3_Lb1ELb0EPtSB_N6thrust23THRUST_200600_302600_NS4plusItEEEE10hipError_tPvRmT2_T3_mT4_P12ihipStream_tbEUlmE_tEESB_NS0_8identityIvEEEESG_SJ_SK_mSL_SN_bEUlT_E_NS1_11comp_targetILNS1_3genE3ELNS1_11target_archE908ELNS1_3gpuE7ELNS1_3repE0EEENS1_30default_config_static_selectorELNS0_4arch9wavefront6targetE0EEEvT1_,comdat
	.protected	_ZN7rocprim17ROCPRIM_400000_NS6detail17trampoline_kernelINS0_14default_configENS1_25transform_config_selectorItLb0EEEZNS1_14transform_implILb0ES3_S5_NS0_18transform_iteratorINS0_17counting_iteratorImlEEZNS1_24adjacent_difference_implIS3_Lb1ELb0EPtSB_N6thrust23THRUST_200600_302600_NS4plusItEEEE10hipError_tPvRmT2_T3_mT4_P12ihipStream_tbEUlmE_tEESB_NS0_8identityIvEEEESG_SJ_SK_mSL_SN_bEUlT_E_NS1_11comp_targetILNS1_3genE3ELNS1_11target_archE908ELNS1_3gpuE7ELNS1_3repE0EEENS1_30default_config_static_selectorELNS0_4arch9wavefront6targetE0EEEvT1_ ; -- Begin function _ZN7rocprim17ROCPRIM_400000_NS6detail17trampoline_kernelINS0_14default_configENS1_25transform_config_selectorItLb0EEEZNS1_14transform_implILb0ES3_S5_NS0_18transform_iteratorINS0_17counting_iteratorImlEEZNS1_24adjacent_difference_implIS3_Lb1ELb0EPtSB_N6thrust23THRUST_200600_302600_NS4plusItEEEE10hipError_tPvRmT2_T3_mT4_P12ihipStream_tbEUlmE_tEESB_NS0_8identityIvEEEESG_SJ_SK_mSL_SN_bEUlT_E_NS1_11comp_targetILNS1_3genE3ELNS1_11target_archE908ELNS1_3gpuE7ELNS1_3repE0EEENS1_30default_config_static_selectorELNS0_4arch9wavefront6targetE0EEEvT1_
	.globl	_ZN7rocprim17ROCPRIM_400000_NS6detail17trampoline_kernelINS0_14default_configENS1_25transform_config_selectorItLb0EEEZNS1_14transform_implILb0ES3_S5_NS0_18transform_iteratorINS0_17counting_iteratorImlEEZNS1_24adjacent_difference_implIS3_Lb1ELb0EPtSB_N6thrust23THRUST_200600_302600_NS4plusItEEEE10hipError_tPvRmT2_T3_mT4_P12ihipStream_tbEUlmE_tEESB_NS0_8identityIvEEEESG_SJ_SK_mSL_SN_bEUlT_E_NS1_11comp_targetILNS1_3genE3ELNS1_11target_archE908ELNS1_3gpuE7ELNS1_3repE0EEENS1_30default_config_static_selectorELNS0_4arch9wavefront6targetE0EEEvT1_
	.p2align	8
	.type	_ZN7rocprim17ROCPRIM_400000_NS6detail17trampoline_kernelINS0_14default_configENS1_25transform_config_selectorItLb0EEEZNS1_14transform_implILb0ES3_S5_NS0_18transform_iteratorINS0_17counting_iteratorImlEEZNS1_24adjacent_difference_implIS3_Lb1ELb0EPtSB_N6thrust23THRUST_200600_302600_NS4plusItEEEE10hipError_tPvRmT2_T3_mT4_P12ihipStream_tbEUlmE_tEESB_NS0_8identityIvEEEESG_SJ_SK_mSL_SN_bEUlT_E_NS1_11comp_targetILNS1_3genE3ELNS1_11target_archE908ELNS1_3gpuE7ELNS1_3repE0EEENS1_30default_config_static_selectorELNS0_4arch9wavefront6targetE0EEEvT1_,@function
_ZN7rocprim17ROCPRIM_400000_NS6detail17trampoline_kernelINS0_14default_configENS1_25transform_config_selectorItLb0EEEZNS1_14transform_implILb0ES3_S5_NS0_18transform_iteratorINS0_17counting_iteratorImlEEZNS1_24adjacent_difference_implIS3_Lb1ELb0EPtSB_N6thrust23THRUST_200600_302600_NS4plusItEEEE10hipError_tPvRmT2_T3_mT4_P12ihipStream_tbEUlmE_tEESB_NS0_8identityIvEEEESG_SJ_SK_mSL_SN_bEUlT_E_NS1_11comp_targetILNS1_3genE3ELNS1_11target_archE908ELNS1_3gpuE7ELNS1_3repE0EEENS1_30default_config_static_selectorELNS0_4arch9wavefront6targetE0EEEvT1_: ; @_ZN7rocprim17ROCPRIM_400000_NS6detail17trampoline_kernelINS0_14default_configENS1_25transform_config_selectorItLb0EEEZNS1_14transform_implILb0ES3_S5_NS0_18transform_iteratorINS0_17counting_iteratorImlEEZNS1_24adjacent_difference_implIS3_Lb1ELb0EPtSB_N6thrust23THRUST_200600_302600_NS4plusItEEEE10hipError_tPvRmT2_T3_mT4_P12ihipStream_tbEUlmE_tEESB_NS0_8identityIvEEEESG_SJ_SK_mSL_SN_bEUlT_E_NS1_11comp_targetILNS1_3genE3ELNS1_11target_archE908ELNS1_3gpuE7ELNS1_3repE0EEENS1_30default_config_static_selectorELNS0_4arch9wavefront6targetE0EEEvT1_
; %bb.0:
	.section	.rodata,"a",@progbits
	.p2align	6, 0x0
	.amdhsa_kernel _ZN7rocprim17ROCPRIM_400000_NS6detail17trampoline_kernelINS0_14default_configENS1_25transform_config_selectorItLb0EEEZNS1_14transform_implILb0ES3_S5_NS0_18transform_iteratorINS0_17counting_iteratorImlEEZNS1_24adjacent_difference_implIS3_Lb1ELb0EPtSB_N6thrust23THRUST_200600_302600_NS4plusItEEEE10hipError_tPvRmT2_T3_mT4_P12ihipStream_tbEUlmE_tEESB_NS0_8identityIvEEEESG_SJ_SK_mSL_SN_bEUlT_E_NS1_11comp_targetILNS1_3genE3ELNS1_11target_archE908ELNS1_3gpuE7ELNS1_3repE0EEENS1_30default_config_static_selectorELNS0_4arch9wavefront6targetE0EEEvT1_
		.amdhsa_group_segment_fixed_size 0
		.amdhsa_private_segment_fixed_size 0
		.amdhsa_kernarg_size 56
		.amdhsa_user_sgpr_count 15
		.amdhsa_user_sgpr_dispatch_ptr 0
		.amdhsa_user_sgpr_queue_ptr 0
		.amdhsa_user_sgpr_kernarg_segment_ptr 1
		.amdhsa_user_sgpr_dispatch_id 0
		.amdhsa_user_sgpr_private_segment_size 0
		.amdhsa_wavefront_size32 1
		.amdhsa_uses_dynamic_stack 0
		.amdhsa_enable_private_segment 0
		.amdhsa_system_sgpr_workgroup_id_x 1
		.amdhsa_system_sgpr_workgroup_id_y 0
		.amdhsa_system_sgpr_workgroup_id_z 0
		.amdhsa_system_sgpr_workgroup_info 0
		.amdhsa_system_vgpr_workitem_id 0
		.amdhsa_next_free_vgpr 1
		.amdhsa_next_free_sgpr 1
		.amdhsa_reserve_vcc 0
		.amdhsa_float_round_mode_32 0
		.amdhsa_float_round_mode_16_64 0
		.amdhsa_float_denorm_mode_32 3
		.amdhsa_float_denorm_mode_16_64 3
		.amdhsa_dx10_clamp 1
		.amdhsa_ieee_mode 1
		.amdhsa_fp16_overflow 0
		.amdhsa_workgroup_processor_mode 1
		.amdhsa_memory_ordered 1
		.amdhsa_forward_progress 0
		.amdhsa_shared_vgpr_count 0
		.amdhsa_exception_fp_ieee_invalid_op 0
		.amdhsa_exception_fp_denorm_src 0
		.amdhsa_exception_fp_ieee_div_zero 0
		.amdhsa_exception_fp_ieee_overflow 0
		.amdhsa_exception_fp_ieee_underflow 0
		.amdhsa_exception_fp_ieee_inexact 0
		.amdhsa_exception_int_div_zero 0
	.end_amdhsa_kernel
	.section	.text._ZN7rocprim17ROCPRIM_400000_NS6detail17trampoline_kernelINS0_14default_configENS1_25transform_config_selectorItLb0EEEZNS1_14transform_implILb0ES3_S5_NS0_18transform_iteratorINS0_17counting_iteratorImlEEZNS1_24adjacent_difference_implIS3_Lb1ELb0EPtSB_N6thrust23THRUST_200600_302600_NS4plusItEEEE10hipError_tPvRmT2_T3_mT4_P12ihipStream_tbEUlmE_tEESB_NS0_8identityIvEEEESG_SJ_SK_mSL_SN_bEUlT_E_NS1_11comp_targetILNS1_3genE3ELNS1_11target_archE908ELNS1_3gpuE7ELNS1_3repE0EEENS1_30default_config_static_selectorELNS0_4arch9wavefront6targetE0EEEvT1_,"axG",@progbits,_ZN7rocprim17ROCPRIM_400000_NS6detail17trampoline_kernelINS0_14default_configENS1_25transform_config_selectorItLb0EEEZNS1_14transform_implILb0ES3_S5_NS0_18transform_iteratorINS0_17counting_iteratorImlEEZNS1_24adjacent_difference_implIS3_Lb1ELb0EPtSB_N6thrust23THRUST_200600_302600_NS4plusItEEEE10hipError_tPvRmT2_T3_mT4_P12ihipStream_tbEUlmE_tEESB_NS0_8identityIvEEEESG_SJ_SK_mSL_SN_bEUlT_E_NS1_11comp_targetILNS1_3genE3ELNS1_11target_archE908ELNS1_3gpuE7ELNS1_3repE0EEENS1_30default_config_static_selectorELNS0_4arch9wavefront6targetE0EEEvT1_,comdat
.Lfunc_end242:
	.size	_ZN7rocprim17ROCPRIM_400000_NS6detail17trampoline_kernelINS0_14default_configENS1_25transform_config_selectorItLb0EEEZNS1_14transform_implILb0ES3_S5_NS0_18transform_iteratorINS0_17counting_iteratorImlEEZNS1_24adjacent_difference_implIS3_Lb1ELb0EPtSB_N6thrust23THRUST_200600_302600_NS4plusItEEEE10hipError_tPvRmT2_T3_mT4_P12ihipStream_tbEUlmE_tEESB_NS0_8identityIvEEEESG_SJ_SK_mSL_SN_bEUlT_E_NS1_11comp_targetILNS1_3genE3ELNS1_11target_archE908ELNS1_3gpuE7ELNS1_3repE0EEENS1_30default_config_static_selectorELNS0_4arch9wavefront6targetE0EEEvT1_, .Lfunc_end242-_ZN7rocprim17ROCPRIM_400000_NS6detail17trampoline_kernelINS0_14default_configENS1_25transform_config_selectorItLb0EEEZNS1_14transform_implILb0ES3_S5_NS0_18transform_iteratorINS0_17counting_iteratorImlEEZNS1_24adjacent_difference_implIS3_Lb1ELb0EPtSB_N6thrust23THRUST_200600_302600_NS4plusItEEEE10hipError_tPvRmT2_T3_mT4_P12ihipStream_tbEUlmE_tEESB_NS0_8identityIvEEEESG_SJ_SK_mSL_SN_bEUlT_E_NS1_11comp_targetILNS1_3genE3ELNS1_11target_archE908ELNS1_3gpuE7ELNS1_3repE0EEENS1_30default_config_static_selectorELNS0_4arch9wavefront6targetE0EEEvT1_
                                        ; -- End function
	.section	.AMDGPU.csdata,"",@progbits
; Kernel info:
; codeLenInByte = 0
; NumSgprs: 0
; NumVgprs: 0
; ScratchSize: 0
; MemoryBound: 0
; FloatMode: 240
; IeeeMode: 1
; LDSByteSize: 0 bytes/workgroup (compile time only)
; SGPRBlocks: 0
; VGPRBlocks: 0
; NumSGPRsForWavesPerEU: 1
; NumVGPRsForWavesPerEU: 1
; Occupancy: 16
; WaveLimiterHint : 0
; COMPUTE_PGM_RSRC2:SCRATCH_EN: 0
; COMPUTE_PGM_RSRC2:USER_SGPR: 15
; COMPUTE_PGM_RSRC2:TRAP_HANDLER: 0
; COMPUTE_PGM_RSRC2:TGID_X_EN: 1
; COMPUTE_PGM_RSRC2:TGID_Y_EN: 0
; COMPUTE_PGM_RSRC2:TGID_Z_EN: 0
; COMPUTE_PGM_RSRC2:TIDIG_COMP_CNT: 0
	.section	.text._ZN7rocprim17ROCPRIM_400000_NS6detail17trampoline_kernelINS0_14default_configENS1_25transform_config_selectorItLb0EEEZNS1_14transform_implILb0ES3_S5_NS0_18transform_iteratorINS0_17counting_iteratorImlEEZNS1_24adjacent_difference_implIS3_Lb1ELb0EPtSB_N6thrust23THRUST_200600_302600_NS4plusItEEEE10hipError_tPvRmT2_T3_mT4_P12ihipStream_tbEUlmE_tEESB_NS0_8identityIvEEEESG_SJ_SK_mSL_SN_bEUlT_E_NS1_11comp_targetILNS1_3genE2ELNS1_11target_archE906ELNS1_3gpuE6ELNS1_3repE0EEENS1_30default_config_static_selectorELNS0_4arch9wavefront6targetE0EEEvT1_,"axG",@progbits,_ZN7rocprim17ROCPRIM_400000_NS6detail17trampoline_kernelINS0_14default_configENS1_25transform_config_selectorItLb0EEEZNS1_14transform_implILb0ES3_S5_NS0_18transform_iteratorINS0_17counting_iteratorImlEEZNS1_24adjacent_difference_implIS3_Lb1ELb0EPtSB_N6thrust23THRUST_200600_302600_NS4plusItEEEE10hipError_tPvRmT2_T3_mT4_P12ihipStream_tbEUlmE_tEESB_NS0_8identityIvEEEESG_SJ_SK_mSL_SN_bEUlT_E_NS1_11comp_targetILNS1_3genE2ELNS1_11target_archE906ELNS1_3gpuE6ELNS1_3repE0EEENS1_30default_config_static_selectorELNS0_4arch9wavefront6targetE0EEEvT1_,comdat
	.protected	_ZN7rocprim17ROCPRIM_400000_NS6detail17trampoline_kernelINS0_14default_configENS1_25transform_config_selectorItLb0EEEZNS1_14transform_implILb0ES3_S5_NS0_18transform_iteratorINS0_17counting_iteratorImlEEZNS1_24adjacent_difference_implIS3_Lb1ELb0EPtSB_N6thrust23THRUST_200600_302600_NS4plusItEEEE10hipError_tPvRmT2_T3_mT4_P12ihipStream_tbEUlmE_tEESB_NS0_8identityIvEEEESG_SJ_SK_mSL_SN_bEUlT_E_NS1_11comp_targetILNS1_3genE2ELNS1_11target_archE906ELNS1_3gpuE6ELNS1_3repE0EEENS1_30default_config_static_selectorELNS0_4arch9wavefront6targetE0EEEvT1_ ; -- Begin function _ZN7rocprim17ROCPRIM_400000_NS6detail17trampoline_kernelINS0_14default_configENS1_25transform_config_selectorItLb0EEEZNS1_14transform_implILb0ES3_S5_NS0_18transform_iteratorINS0_17counting_iteratorImlEEZNS1_24adjacent_difference_implIS3_Lb1ELb0EPtSB_N6thrust23THRUST_200600_302600_NS4plusItEEEE10hipError_tPvRmT2_T3_mT4_P12ihipStream_tbEUlmE_tEESB_NS0_8identityIvEEEESG_SJ_SK_mSL_SN_bEUlT_E_NS1_11comp_targetILNS1_3genE2ELNS1_11target_archE906ELNS1_3gpuE6ELNS1_3repE0EEENS1_30default_config_static_selectorELNS0_4arch9wavefront6targetE0EEEvT1_
	.globl	_ZN7rocprim17ROCPRIM_400000_NS6detail17trampoline_kernelINS0_14default_configENS1_25transform_config_selectorItLb0EEEZNS1_14transform_implILb0ES3_S5_NS0_18transform_iteratorINS0_17counting_iteratorImlEEZNS1_24adjacent_difference_implIS3_Lb1ELb0EPtSB_N6thrust23THRUST_200600_302600_NS4plusItEEEE10hipError_tPvRmT2_T3_mT4_P12ihipStream_tbEUlmE_tEESB_NS0_8identityIvEEEESG_SJ_SK_mSL_SN_bEUlT_E_NS1_11comp_targetILNS1_3genE2ELNS1_11target_archE906ELNS1_3gpuE6ELNS1_3repE0EEENS1_30default_config_static_selectorELNS0_4arch9wavefront6targetE0EEEvT1_
	.p2align	8
	.type	_ZN7rocprim17ROCPRIM_400000_NS6detail17trampoline_kernelINS0_14default_configENS1_25transform_config_selectorItLb0EEEZNS1_14transform_implILb0ES3_S5_NS0_18transform_iteratorINS0_17counting_iteratorImlEEZNS1_24adjacent_difference_implIS3_Lb1ELb0EPtSB_N6thrust23THRUST_200600_302600_NS4plusItEEEE10hipError_tPvRmT2_T3_mT4_P12ihipStream_tbEUlmE_tEESB_NS0_8identityIvEEEESG_SJ_SK_mSL_SN_bEUlT_E_NS1_11comp_targetILNS1_3genE2ELNS1_11target_archE906ELNS1_3gpuE6ELNS1_3repE0EEENS1_30default_config_static_selectorELNS0_4arch9wavefront6targetE0EEEvT1_,@function
_ZN7rocprim17ROCPRIM_400000_NS6detail17trampoline_kernelINS0_14default_configENS1_25transform_config_selectorItLb0EEEZNS1_14transform_implILb0ES3_S5_NS0_18transform_iteratorINS0_17counting_iteratorImlEEZNS1_24adjacent_difference_implIS3_Lb1ELb0EPtSB_N6thrust23THRUST_200600_302600_NS4plusItEEEE10hipError_tPvRmT2_T3_mT4_P12ihipStream_tbEUlmE_tEESB_NS0_8identityIvEEEESG_SJ_SK_mSL_SN_bEUlT_E_NS1_11comp_targetILNS1_3genE2ELNS1_11target_archE906ELNS1_3gpuE6ELNS1_3repE0EEENS1_30default_config_static_selectorELNS0_4arch9wavefront6targetE0EEEvT1_: ; @_ZN7rocprim17ROCPRIM_400000_NS6detail17trampoline_kernelINS0_14default_configENS1_25transform_config_selectorItLb0EEEZNS1_14transform_implILb0ES3_S5_NS0_18transform_iteratorINS0_17counting_iteratorImlEEZNS1_24adjacent_difference_implIS3_Lb1ELb0EPtSB_N6thrust23THRUST_200600_302600_NS4plusItEEEE10hipError_tPvRmT2_T3_mT4_P12ihipStream_tbEUlmE_tEESB_NS0_8identityIvEEEESG_SJ_SK_mSL_SN_bEUlT_E_NS1_11comp_targetILNS1_3genE2ELNS1_11target_archE906ELNS1_3gpuE6ELNS1_3repE0EEENS1_30default_config_static_selectorELNS0_4arch9wavefront6targetE0EEEvT1_
; %bb.0:
	.section	.rodata,"a",@progbits
	.p2align	6, 0x0
	.amdhsa_kernel _ZN7rocprim17ROCPRIM_400000_NS6detail17trampoline_kernelINS0_14default_configENS1_25transform_config_selectorItLb0EEEZNS1_14transform_implILb0ES3_S5_NS0_18transform_iteratorINS0_17counting_iteratorImlEEZNS1_24adjacent_difference_implIS3_Lb1ELb0EPtSB_N6thrust23THRUST_200600_302600_NS4plusItEEEE10hipError_tPvRmT2_T3_mT4_P12ihipStream_tbEUlmE_tEESB_NS0_8identityIvEEEESG_SJ_SK_mSL_SN_bEUlT_E_NS1_11comp_targetILNS1_3genE2ELNS1_11target_archE906ELNS1_3gpuE6ELNS1_3repE0EEENS1_30default_config_static_selectorELNS0_4arch9wavefront6targetE0EEEvT1_
		.amdhsa_group_segment_fixed_size 0
		.amdhsa_private_segment_fixed_size 0
		.amdhsa_kernarg_size 56
		.amdhsa_user_sgpr_count 15
		.amdhsa_user_sgpr_dispatch_ptr 0
		.amdhsa_user_sgpr_queue_ptr 0
		.amdhsa_user_sgpr_kernarg_segment_ptr 1
		.amdhsa_user_sgpr_dispatch_id 0
		.amdhsa_user_sgpr_private_segment_size 0
		.amdhsa_wavefront_size32 1
		.amdhsa_uses_dynamic_stack 0
		.amdhsa_enable_private_segment 0
		.amdhsa_system_sgpr_workgroup_id_x 1
		.amdhsa_system_sgpr_workgroup_id_y 0
		.amdhsa_system_sgpr_workgroup_id_z 0
		.amdhsa_system_sgpr_workgroup_info 0
		.amdhsa_system_vgpr_workitem_id 0
		.amdhsa_next_free_vgpr 1
		.amdhsa_next_free_sgpr 1
		.amdhsa_reserve_vcc 0
		.amdhsa_float_round_mode_32 0
		.amdhsa_float_round_mode_16_64 0
		.amdhsa_float_denorm_mode_32 3
		.amdhsa_float_denorm_mode_16_64 3
		.amdhsa_dx10_clamp 1
		.amdhsa_ieee_mode 1
		.amdhsa_fp16_overflow 0
		.amdhsa_workgroup_processor_mode 1
		.amdhsa_memory_ordered 1
		.amdhsa_forward_progress 0
		.amdhsa_shared_vgpr_count 0
		.amdhsa_exception_fp_ieee_invalid_op 0
		.amdhsa_exception_fp_denorm_src 0
		.amdhsa_exception_fp_ieee_div_zero 0
		.amdhsa_exception_fp_ieee_overflow 0
		.amdhsa_exception_fp_ieee_underflow 0
		.amdhsa_exception_fp_ieee_inexact 0
		.amdhsa_exception_int_div_zero 0
	.end_amdhsa_kernel
	.section	.text._ZN7rocprim17ROCPRIM_400000_NS6detail17trampoline_kernelINS0_14default_configENS1_25transform_config_selectorItLb0EEEZNS1_14transform_implILb0ES3_S5_NS0_18transform_iteratorINS0_17counting_iteratorImlEEZNS1_24adjacent_difference_implIS3_Lb1ELb0EPtSB_N6thrust23THRUST_200600_302600_NS4plusItEEEE10hipError_tPvRmT2_T3_mT4_P12ihipStream_tbEUlmE_tEESB_NS0_8identityIvEEEESG_SJ_SK_mSL_SN_bEUlT_E_NS1_11comp_targetILNS1_3genE2ELNS1_11target_archE906ELNS1_3gpuE6ELNS1_3repE0EEENS1_30default_config_static_selectorELNS0_4arch9wavefront6targetE0EEEvT1_,"axG",@progbits,_ZN7rocprim17ROCPRIM_400000_NS6detail17trampoline_kernelINS0_14default_configENS1_25transform_config_selectorItLb0EEEZNS1_14transform_implILb0ES3_S5_NS0_18transform_iteratorINS0_17counting_iteratorImlEEZNS1_24adjacent_difference_implIS3_Lb1ELb0EPtSB_N6thrust23THRUST_200600_302600_NS4plusItEEEE10hipError_tPvRmT2_T3_mT4_P12ihipStream_tbEUlmE_tEESB_NS0_8identityIvEEEESG_SJ_SK_mSL_SN_bEUlT_E_NS1_11comp_targetILNS1_3genE2ELNS1_11target_archE906ELNS1_3gpuE6ELNS1_3repE0EEENS1_30default_config_static_selectorELNS0_4arch9wavefront6targetE0EEEvT1_,comdat
.Lfunc_end243:
	.size	_ZN7rocprim17ROCPRIM_400000_NS6detail17trampoline_kernelINS0_14default_configENS1_25transform_config_selectorItLb0EEEZNS1_14transform_implILb0ES3_S5_NS0_18transform_iteratorINS0_17counting_iteratorImlEEZNS1_24adjacent_difference_implIS3_Lb1ELb0EPtSB_N6thrust23THRUST_200600_302600_NS4plusItEEEE10hipError_tPvRmT2_T3_mT4_P12ihipStream_tbEUlmE_tEESB_NS0_8identityIvEEEESG_SJ_SK_mSL_SN_bEUlT_E_NS1_11comp_targetILNS1_3genE2ELNS1_11target_archE906ELNS1_3gpuE6ELNS1_3repE0EEENS1_30default_config_static_selectorELNS0_4arch9wavefront6targetE0EEEvT1_, .Lfunc_end243-_ZN7rocprim17ROCPRIM_400000_NS6detail17trampoline_kernelINS0_14default_configENS1_25transform_config_selectorItLb0EEEZNS1_14transform_implILb0ES3_S5_NS0_18transform_iteratorINS0_17counting_iteratorImlEEZNS1_24adjacent_difference_implIS3_Lb1ELb0EPtSB_N6thrust23THRUST_200600_302600_NS4plusItEEEE10hipError_tPvRmT2_T3_mT4_P12ihipStream_tbEUlmE_tEESB_NS0_8identityIvEEEESG_SJ_SK_mSL_SN_bEUlT_E_NS1_11comp_targetILNS1_3genE2ELNS1_11target_archE906ELNS1_3gpuE6ELNS1_3repE0EEENS1_30default_config_static_selectorELNS0_4arch9wavefront6targetE0EEEvT1_
                                        ; -- End function
	.section	.AMDGPU.csdata,"",@progbits
; Kernel info:
; codeLenInByte = 0
; NumSgprs: 0
; NumVgprs: 0
; ScratchSize: 0
; MemoryBound: 0
; FloatMode: 240
; IeeeMode: 1
; LDSByteSize: 0 bytes/workgroup (compile time only)
; SGPRBlocks: 0
; VGPRBlocks: 0
; NumSGPRsForWavesPerEU: 1
; NumVGPRsForWavesPerEU: 1
; Occupancy: 16
; WaveLimiterHint : 0
; COMPUTE_PGM_RSRC2:SCRATCH_EN: 0
; COMPUTE_PGM_RSRC2:USER_SGPR: 15
; COMPUTE_PGM_RSRC2:TRAP_HANDLER: 0
; COMPUTE_PGM_RSRC2:TGID_X_EN: 1
; COMPUTE_PGM_RSRC2:TGID_Y_EN: 0
; COMPUTE_PGM_RSRC2:TGID_Z_EN: 0
; COMPUTE_PGM_RSRC2:TIDIG_COMP_CNT: 0
	.section	.text._ZN7rocprim17ROCPRIM_400000_NS6detail17trampoline_kernelINS0_14default_configENS1_25transform_config_selectorItLb0EEEZNS1_14transform_implILb0ES3_S5_NS0_18transform_iteratorINS0_17counting_iteratorImlEEZNS1_24adjacent_difference_implIS3_Lb1ELb0EPtSB_N6thrust23THRUST_200600_302600_NS4plusItEEEE10hipError_tPvRmT2_T3_mT4_P12ihipStream_tbEUlmE_tEESB_NS0_8identityIvEEEESG_SJ_SK_mSL_SN_bEUlT_E_NS1_11comp_targetILNS1_3genE10ELNS1_11target_archE1201ELNS1_3gpuE5ELNS1_3repE0EEENS1_30default_config_static_selectorELNS0_4arch9wavefront6targetE0EEEvT1_,"axG",@progbits,_ZN7rocprim17ROCPRIM_400000_NS6detail17trampoline_kernelINS0_14default_configENS1_25transform_config_selectorItLb0EEEZNS1_14transform_implILb0ES3_S5_NS0_18transform_iteratorINS0_17counting_iteratorImlEEZNS1_24adjacent_difference_implIS3_Lb1ELb0EPtSB_N6thrust23THRUST_200600_302600_NS4plusItEEEE10hipError_tPvRmT2_T3_mT4_P12ihipStream_tbEUlmE_tEESB_NS0_8identityIvEEEESG_SJ_SK_mSL_SN_bEUlT_E_NS1_11comp_targetILNS1_3genE10ELNS1_11target_archE1201ELNS1_3gpuE5ELNS1_3repE0EEENS1_30default_config_static_selectorELNS0_4arch9wavefront6targetE0EEEvT1_,comdat
	.protected	_ZN7rocprim17ROCPRIM_400000_NS6detail17trampoline_kernelINS0_14default_configENS1_25transform_config_selectorItLb0EEEZNS1_14transform_implILb0ES3_S5_NS0_18transform_iteratorINS0_17counting_iteratorImlEEZNS1_24adjacent_difference_implIS3_Lb1ELb0EPtSB_N6thrust23THRUST_200600_302600_NS4plusItEEEE10hipError_tPvRmT2_T3_mT4_P12ihipStream_tbEUlmE_tEESB_NS0_8identityIvEEEESG_SJ_SK_mSL_SN_bEUlT_E_NS1_11comp_targetILNS1_3genE10ELNS1_11target_archE1201ELNS1_3gpuE5ELNS1_3repE0EEENS1_30default_config_static_selectorELNS0_4arch9wavefront6targetE0EEEvT1_ ; -- Begin function _ZN7rocprim17ROCPRIM_400000_NS6detail17trampoline_kernelINS0_14default_configENS1_25transform_config_selectorItLb0EEEZNS1_14transform_implILb0ES3_S5_NS0_18transform_iteratorINS0_17counting_iteratorImlEEZNS1_24adjacent_difference_implIS3_Lb1ELb0EPtSB_N6thrust23THRUST_200600_302600_NS4plusItEEEE10hipError_tPvRmT2_T3_mT4_P12ihipStream_tbEUlmE_tEESB_NS0_8identityIvEEEESG_SJ_SK_mSL_SN_bEUlT_E_NS1_11comp_targetILNS1_3genE10ELNS1_11target_archE1201ELNS1_3gpuE5ELNS1_3repE0EEENS1_30default_config_static_selectorELNS0_4arch9wavefront6targetE0EEEvT1_
	.globl	_ZN7rocprim17ROCPRIM_400000_NS6detail17trampoline_kernelINS0_14default_configENS1_25transform_config_selectorItLb0EEEZNS1_14transform_implILb0ES3_S5_NS0_18transform_iteratorINS0_17counting_iteratorImlEEZNS1_24adjacent_difference_implIS3_Lb1ELb0EPtSB_N6thrust23THRUST_200600_302600_NS4plusItEEEE10hipError_tPvRmT2_T3_mT4_P12ihipStream_tbEUlmE_tEESB_NS0_8identityIvEEEESG_SJ_SK_mSL_SN_bEUlT_E_NS1_11comp_targetILNS1_3genE10ELNS1_11target_archE1201ELNS1_3gpuE5ELNS1_3repE0EEENS1_30default_config_static_selectorELNS0_4arch9wavefront6targetE0EEEvT1_
	.p2align	8
	.type	_ZN7rocprim17ROCPRIM_400000_NS6detail17trampoline_kernelINS0_14default_configENS1_25transform_config_selectorItLb0EEEZNS1_14transform_implILb0ES3_S5_NS0_18transform_iteratorINS0_17counting_iteratorImlEEZNS1_24adjacent_difference_implIS3_Lb1ELb0EPtSB_N6thrust23THRUST_200600_302600_NS4plusItEEEE10hipError_tPvRmT2_T3_mT4_P12ihipStream_tbEUlmE_tEESB_NS0_8identityIvEEEESG_SJ_SK_mSL_SN_bEUlT_E_NS1_11comp_targetILNS1_3genE10ELNS1_11target_archE1201ELNS1_3gpuE5ELNS1_3repE0EEENS1_30default_config_static_selectorELNS0_4arch9wavefront6targetE0EEEvT1_,@function
_ZN7rocprim17ROCPRIM_400000_NS6detail17trampoline_kernelINS0_14default_configENS1_25transform_config_selectorItLb0EEEZNS1_14transform_implILb0ES3_S5_NS0_18transform_iteratorINS0_17counting_iteratorImlEEZNS1_24adjacent_difference_implIS3_Lb1ELb0EPtSB_N6thrust23THRUST_200600_302600_NS4plusItEEEE10hipError_tPvRmT2_T3_mT4_P12ihipStream_tbEUlmE_tEESB_NS0_8identityIvEEEESG_SJ_SK_mSL_SN_bEUlT_E_NS1_11comp_targetILNS1_3genE10ELNS1_11target_archE1201ELNS1_3gpuE5ELNS1_3repE0EEENS1_30default_config_static_selectorELNS0_4arch9wavefront6targetE0EEEvT1_: ; @_ZN7rocprim17ROCPRIM_400000_NS6detail17trampoline_kernelINS0_14default_configENS1_25transform_config_selectorItLb0EEEZNS1_14transform_implILb0ES3_S5_NS0_18transform_iteratorINS0_17counting_iteratorImlEEZNS1_24adjacent_difference_implIS3_Lb1ELb0EPtSB_N6thrust23THRUST_200600_302600_NS4plusItEEEE10hipError_tPvRmT2_T3_mT4_P12ihipStream_tbEUlmE_tEESB_NS0_8identityIvEEEESG_SJ_SK_mSL_SN_bEUlT_E_NS1_11comp_targetILNS1_3genE10ELNS1_11target_archE1201ELNS1_3gpuE5ELNS1_3repE0EEENS1_30default_config_static_selectorELNS0_4arch9wavefront6targetE0EEEvT1_
; %bb.0:
	.section	.rodata,"a",@progbits
	.p2align	6, 0x0
	.amdhsa_kernel _ZN7rocprim17ROCPRIM_400000_NS6detail17trampoline_kernelINS0_14default_configENS1_25transform_config_selectorItLb0EEEZNS1_14transform_implILb0ES3_S5_NS0_18transform_iteratorINS0_17counting_iteratorImlEEZNS1_24adjacent_difference_implIS3_Lb1ELb0EPtSB_N6thrust23THRUST_200600_302600_NS4plusItEEEE10hipError_tPvRmT2_T3_mT4_P12ihipStream_tbEUlmE_tEESB_NS0_8identityIvEEEESG_SJ_SK_mSL_SN_bEUlT_E_NS1_11comp_targetILNS1_3genE10ELNS1_11target_archE1201ELNS1_3gpuE5ELNS1_3repE0EEENS1_30default_config_static_selectorELNS0_4arch9wavefront6targetE0EEEvT1_
		.amdhsa_group_segment_fixed_size 0
		.amdhsa_private_segment_fixed_size 0
		.amdhsa_kernarg_size 56
		.amdhsa_user_sgpr_count 15
		.amdhsa_user_sgpr_dispatch_ptr 0
		.amdhsa_user_sgpr_queue_ptr 0
		.amdhsa_user_sgpr_kernarg_segment_ptr 1
		.amdhsa_user_sgpr_dispatch_id 0
		.amdhsa_user_sgpr_private_segment_size 0
		.amdhsa_wavefront_size32 1
		.amdhsa_uses_dynamic_stack 0
		.amdhsa_enable_private_segment 0
		.amdhsa_system_sgpr_workgroup_id_x 1
		.amdhsa_system_sgpr_workgroup_id_y 0
		.amdhsa_system_sgpr_workgroup_id_z 0
		.amdhsa_system_sgpr_workgroup_info 0
		.amdhsa_system_vgpr_workitem_id 0
		.amdhsa_next_free_vgpr 1
		.amdhsa_next_free_sgpr 1
		.amdhsa_reserve_vcc 0
		.amdhsa_float_round_mode_32 0
		.amdhsa_float_round_mode_16_64 0
		.amdhsa_float_denorm_mode_32 3
		.amdhsa_float_denorm_mode_16_64 3
		.amdhsa_dx10_clamp 1
		.amdhsa_ieee_mode 1
		.amdhsa_fp16_overflow 0
		.amdhsa_workgroup_processor_mode 1
		.amdhsa_memory_ordered 1
		.amdhsa_forward_progress 0
		.amdhsa_shared_vgpr_count 0
		.amdhsa_exception_fp_ieee_invalid_op 0
		.amdhsa_exception_fp_denorm_src 0
		.amdhsa_exception_fp_ieee_div_zero 0
		.amdhsa_exception_fp_ieee_overflow 0
		.amdhsa_exception_fp_ieee_underflow 0
		.amdhsa_exception_fp_ieee_inexact 0
		.amdhsa_exception_int_div_zero 0
	.end_amdhsa_kernel
	.section	.text._ZN7rocprim17ROCPRIM_400000_NS6detail17trampoline_kernelINS0_14default_configENS1_25transform_config_selectorItLb0EEEZNS1_14transform_implILb0ES3_S5_NS0_18transform_iteratorINS0_17counting_iteratorImlEEZNS1_24adjacent_difference_implIS3_Lb1ELb0EPtSB_N6thrust23THRUST_200600_302600_NS4plusItEEEE10hipError_tPvRmT2_T3_mT4_P12ihipStream_tbEUlmE_tEESB_NS0_8identityIvEEEESG_SJ_SK_mSL_SN_bEUlT_E_NS1_11comp_targetILNS1_3genE10ELNS1_11target_archE1201ELNS1_3gpuE5ELNS1_3repE0EEENS1_30default_config_static_selectorELNS0_4arch9wavefront6targetE0EEEvT1_,"axG",@progbits,_ZN7rocprim17ROCPRIM_400000_NS6detail17trampoline_kernelINS0_14default_configENS1_25transform_config_selectorItLb0EEEZNS1_14transform_implILb0ES3_S5_NS0_18transform_iteratorINS0_17counting_iteratorImlEEZNS1_24adjacent_difference_implIS3_Lb1ELb0EPtSB_N6thrust23THRUST_200600_302600_NS4plusItEEEE10hipError_tPvRmT2_T3_mT4_P12ihipStream_tbEUlmE_tEESB_NS0_8identityIvEEEESG_SJ_SK_mSL_SN_bEUlT_E_NS1_11comp_targetILNS1_3genE10ELNS1_11target_archE1201ELNS1_3gpuE5ELNS1_3repE0EEENS1_30default_config_static_selectorELNS0_4arch9wavefront6targetE0EEEvT1_,comdat
.Lfunc_end244:
	.size	_ZN7rocprim17ROCPRIM_400000_NS6detail17trampoline_kernelINS0_14default_configENS1_25transform_config_selectorItLb0EEEZNS1_14transform_implILb0ES3_S5_NS0_18transform_iteratorINS0_17counting_iteratorImlEEZNS1_24adjacent_difference_implIS3_Lb1ELb0EPtSB_N6thrust23THRUST_200600_302600_NS4plusItEEEE10hipError_tPvRmT2_T3_mT4_P12ihipStream_tbEUlmE_tEESB_NS0_8identityIvEEEESG_SJ_SK_mSL_SN_bEUlT_E_NS1_11comp_targetILNS1_3genE10ELNS1_11target_archE1201ELNS1_3gpuE5ELNS1_3repE0EEENS1_30default_config_static_selectorELNS0_4arch9wavefront6targetE0EEEvT1_, .Lfunc_end244-_ZN7rocprim17ROCPRIM_400000_NS6detail17trampoline_kernelINS0_14default_configENS1_25transform_config_selectorItLb0EEEZNS1_14transform_implILb0ES3_S5_NS0_18transform_iteratorINS0_17counting_iteratorImlEEZNS1_24adjacent_difference_implIS3_Lb1ELb0EPtSB_N6thrust23THRUST_200600_302600_NS4plusItEEEE10hipError_tPvRmT2_T3_mT4_P12ihipStream_tbEUlmE_tEESB_NS0_8identityIvEEEESG_SJ_SK_mSL_SN_bEUlT_E_NS1_11comp_targetILNS1_3genE10ELNS1_11target_archE1201ELNS1_3gpuE5ELNS1_3repE0EEENS1_30default_config_static_selectorELNS0_4arch9wavefront6targetE0EEEvT1_
                                        ; -- End function
	.section	.AMDGPU.csdata,"",@progbits
; Kernel info:
; codeLenInByte = 0
; NumSgprs: 0
; NumVgprs: 0
; ScratchSize: 0
; MemoryBound: 0
; FloatMode: 240
; IeeeMode: 1
; LDSByteSize: 0 bytes/workgroup (compile time only)
; SGPRBlocks: 0
; VGPRBlocks: 0
; NumSGPRsForWavesPerEU: 1
; NumVGPRsForWavesPerEU: 1
; Occupancy: 16
; WaveLimiterHint : 0
; COMPUTE_PGM_RSRC2:SCRATCH_EN: 0
; COMPUTE_PGM_RSRC2:USER_SGPR: 15
; COMPUTE_PGM_RSRC2:TRAP_HANDLER: 0
; COMPUTE_PGM_RSRC2:TGID_X_EN: 1
; COMPUTE_PGM_RSRC2:TGID_Y_EN: 0
; COMPUTE_PGM_RSRC2:TGID_Z_EN: 0
; COMPUTE_PGM_RSRC2:TIDIG_COMP_CNT: 0
	.section	.text._ZN7rocprim17ROCPRIM_400000_NS6detail17trampoline_kernelINS0_14default_configENS1_25transform_config_selectorItLb0EEEZNS1_14transform_implILb0ES3_S5_NS0_18transform_iteratorINS0_17counting_iteratorImlEEZNS1_24adjacent_difference_implIS3_Lb1ELb0EPtSB_N6thrust23THRUST_200600_302600_NS4plusItEEEE10hipError_tPvRmT2_T3_mT4_P12ihipStream_tbEUlmE_tEESB_NS0_8identityIvEEEESG_SJ_SK_mSL_SN_bEUlT_E_NS1_11comp_targetILNS1_3genE10ELNS1_11target_archE1200ELNS1_3gpuE4ELNS1_3repE0EEENS1_30default_config_static_selectorELNS0_4arch9wavefront6targetE0EEEvT1_,"axG",@progbits,_ZN7rocprim17ROCPRIM_400000_NS6detail17trampoline_kernelINS0_14default_configENS1_25transform_config_selectorItLb0EEEZNS1_14transform_implILb0ES3_S5_NS0_18transform_iteratorINS0_17counting_iteratorImlEEZNS1_24adjacent_difference_implIS3_Lb1ELb0EPtSB_N6thrust23THRUST_200600_302600_NS4plusItEEEE10hipError_tPvRmT2_T3_mT4_P12ihipStream_tbEUlmE_tEESB_NS0_8identityIvEEEESG_SJ_SK_mSL_SN_bEUlT_E_NS1_11comp_targetILNS1_3genE10ELNS1_11target_archE1200ELNS1_3gpuE4ELNS1_3repE0EEENS1_30default_config_static_selectorELNS0_4arch9wavefront6targetE0EEEvT1_,comdat
	.protected	_ZN7rocprim17ROCPRIM_400000_NS6detail17trampoline_kernelINS0_14default_configENS1_25transform_config_selectorItLb0EEEZNS1_14transform_implILb0ES3_S5_NS0_18transform_iteratorINS0_17counting_iteratorImlEEZNS1_24adjacent_difference_implIS3_Lb1ELb0EPtSB_N6thrust23THRUST_200600_302600_NS4plusItEEEE10hipError_tPvRmT2_T3_mT4_P12ihipStream_tbEUlmE_tEESB_NS0_8identityIvEEEESG_SJ_SK_mSL_SN_bEUlT_E_NS1_11comp_targetILNS1_3genE10ELNS1_11target_archE1200ELNS1_3gpuE4ELNS1_3repE0EEENS1_30default_config_static_selectorELNS0_4arch9wavefront6targetE0EEEvT1_ ; -- Begin function _ZN7rocprim17ROCPRIM_400000_NS6detail17trampoline_kernelINS0_14default_configENS1_25transform_config_selectorItLb0EEEZNS1_14transform_implILb0ES3_S5_NS0_18transform_iteratorINS0_17counting_iteratorImlEEZNS1_24adjacent_difference_implIS3_Lb1ELb0EPtSB_N6thrust23THRUST_200600_302600_NS4plusItEEEE10hipError_tPvRmT2_T3_mT4_P12ihipStream_tbEUlmE_tEESB_NS0_8identityIvEEEESG_SJ_SK_mSL_SN_bEUlT_E_NS1_11comp_targetILNS1_3genE10ELNS1_11target_archE1200ELNS1_3gpuE4ELNS1_3repE0EEENS1_30default_config_static_selectorELNS0_4arch9wavefront6targetE0EEEvT1_
	.globl	_ZN7rocprim17ROCPRIM_400000_NS6detail17trampoline_kernelINS0_14default_configENS1_25transform_config_selectorItLb0EEEZNS1_14transform_implILb0ES3_S5_NS0_18transform_iteratorINS0_17counting_iteratorImlEEZNS1_24adjacent_difference_implIS3_Lb1ELb0EPtSB_N6thrust23THRUST_200600_302600_NS4plusItEEEE10hipError_tPvRmT2_T3_mT4_P12ihipStream_tbEUlmE_tEESB_NS0_8identityIvEEEESG_SJ_SK_mSL_SN_bEUlT_E_NS1_11comp_targetILNS1_3genE10ELNS1_11target_archE1200ELNS1_3gpuE4ELNS1_3repE0EEENS1_30default_config_static_selectorELNS0_4arch9wavefront6targetE0EEEvT1_
	.p2align	8
	.type	_ZN7rocprim17ROCPRIM_400000_NS6detail17trampoline_kernelINS0_14default_configENS1_25transform_config_selectorItLb0EEEZNS1_14transform_implILb0ES3_S5_NS0_18transform_iteratorINS0_17counting_iteratorImlEEZNS1_24adjacent_difference_implIS3_Lb1ELb0EPtSB_N6thrust23THRUST_200600_302600_NS4plusItEEEE10hipError_tPvRmT2_T3_mT4_P12ihipStream_tbEUlmE_tEESB_NS0_8identityIvEEEESG_SJ_SK_mSL_SN_bEUlT_E_NS1_11comp_targetILNS1_3genE10ELNS1_11target_archE1200ELNS1_3gpuE4ELNS1_3repE0EEENS1_30default_config_static_selectorELNS0_4arch9wavefront6targetE0EEEvT1_,@function
_ZN7rocprim17ROCPRIM_400000_NS6detail17trampoline_kernelINS0_14default_configENS1_25transform_config_selectorItLb0EEEZNS1_14transform_implILb0ES3_S5_NS0_18transform_iteratorINS0_17counting_iteratorImlEEZNS1_24adjacent_difference_implIS3_Lb1ELb0EPtSB_N6thrust23THRUST_200600_302600_NS4plusItEEEE10hipError_tPvRmT2_T3_mT4_P12ihipStream_tbEUlmE_tEESB_NS0_8identityIvEEEESG_SJ_SK_mSL_SN_bEUlT_E_NS1_11comp_targetILNS1_3genE10ELNS1_11target_archE1200ELNS1_3gpuE4ELNS1_3repE0EEENS1_30default_config_static_selectorELNS0_4arch9wavefront6targetE0EEEvT1_: ; @_ZN7rocprim17ROCPRIM_400000_NS6detail17trampoline_kernelINS0_14default_configENS1_25transform_config_selectorItLb0EEEZNS1_14transform_implILb0ES3_S5_NS0_18transform_iteratorINS0_17counting_iteratorImlEEZNS1_24adjacent_difference_implIS3_Lb1ELb0EPtSB_N6thrust23THRUST_200600_302600_NS4plusItEEEE10hipError_tPvRmT2_T3_mT4_P12ihipStream_tbEUlmE_tEESB_NS0_8identityIvEEEESG_SJ_SK_mSL_SN_bEUlT_E_NS1_11comp_targetILNS1_3genE10ELNS1_11target_archE1200ELNS1_3gpuE4ELNS1_3repE0EEENS1_30default_config_static_selectorELNS0_4arch9wavefront6targetE0EEEvT1_
; %bb.0:
	.section	.rodata,"a",@progbits
	.p2align	6, 0x0
	.amdhsa_kernel _ZN7rocprim17ROCPRIM_400000_NS6detail17trampoline_kernelINS0_14default_configENS1_25transform_config_selectorItLb0EEEZNS1_14transform_implILb0ES3_S5_NS0_18transform_iteratorINS0_17counting_iteratorImlEEZNS1_24adjacent_difference_implIS3_Lb1ELb0EPtSB_N6thrust23THRUST_200600_302600_NS4plusItEEEE10hipError_tPvRmT2_T3_mT4_P12ihipStream_tbEUlmE_tEESB_NS0_8identityIvEEEESG_SJ_SK_mSL_SN_bEUlT_E_NS1_11comp_targetILNS1_3genE10ELNS1_11target_archE1200ELNS1_3gpuE4ELNS1_3repE0EEENS1_30default_config_static_selectorELNS0_4arch9wavefront6targetE0EEEvT1_
		.amdhsa_group_segment_fixed_size 0
		.amdhsa_private_segment_fixed_size 0
		.amdhsa_kernarg_size 56
		.amdhsa_user_sgpr_count 15
		.amdhsa_user_sgpr_dispatch_ptr 0
		.amdhsa_user_sgpr_queue_ptr 0
		.amdhsa_user_sgpr_kernarg_segment_ptr 1
		.amdhsa_user_sgpr_dispatch_id 0
		.amdhsa_user_sgpr_private_segment_size 0
		.amdhsa_wavefront_size32 1
		.amdhsa_uses_dynamic_stack 0
		.amdhsa_enable_private_segment 0
		.amdhsa_system_sgpr_workgroup_id_x 1
		.amdhsa_system_sgpr_workgroup_id_y 0
		.amdhsa_system_sgpr_workgroup_id_z 0
		.amdhsa_system_sgpr_workgroup_info 0
		.amdhsa_system_vgpr_workitem_id 0
		.amdhsa_next_free_vgpr 1
		.amdhsa_next_free_sgpr 1
		.amdhsa_reserve_vcc 0
		.amdhsa_float_round_mode_32 0
		.amdhsa_float_round_mode_16_64 0
		.amdhsa_float_denorm_mode_32 3
		.amdhsa_float_denorm_mode_16_64 3
		.amdhsa_dx10_clamp 1
		.amdhsa_ieee_mode 1
		.amdhsa_fp16_overflow 0
		.amdhsa_workgroup_processor_mode 1
		.amdhsa_memory_ordered 1
		.amdhsa_forward_progress 0
		.amdhsa_shared_vgpr_count 0
		.amdhsa_exception_fp_ieee_invalid_op 0
		.amdhsa_exception_fp_denorm_src 0
		.amdhsa_exception_fp_ieee_div_zero 0
		.amdhsa_exception_fp_ieee_overflow 0
		.amdhsa_exception_fp_ieee_underflow 0
		.amdhsa_exception_fp_ieee_inexact 0
		.amdhsa_exception_int_div_zero 0
	.end_amdhsa_kernel
	.section	.text._ZN7rocprim17ROCPRIM_400000_NS6detail17trampoline_kernelINS0_14default_configENS1_25transform_config_selectorItLb0EEEZNS1_14transform_implILb0ES3_S5_NS0_18transform_iteratorINS0_17counting_iteratorImlEEZNS1_24adjacent_difference_implIS3_Lb1ELb0EPtSB_N6thrust23THRUST_200600_302600_NS4plusItEEEE10hipError_tPvRmT2_T3_mT4_P12ihipStream_tbEUlmE_tEESB_NS0_8identityIvEEEESG_SJ_SK_mSL_SN_bEUlT_E_NS1_11comp_targetILNS1_3genE10ELNS1_11target_archE1200ELNS1_3gpuE4ELNS1_3repE0EEENS1_30default_config_static_selectorELNS0_4arch9wavefront6targetE0EEEvT1_,"axG",@progbits,_ZN7rocprim17ROCPRIM_400000_NS6detail17trampoline_kernelINS0_14default_configENS1_25transform_config_selectorItLb0EEEZNS1_14transform_implILb0ES3_S5_NS0_18transform_iteratorINS0_17counting_iteratorImlEEZNS1_24adjacent_difference_implIS3_Lb1ELb0EPtSB_N6thrust23THRUST_200600_302600_NS4plusItEEEE10hipError_tPvRmT2_T3_mT4_P12ihipStream_tbEUlmE_tEESB_NS0_8identityIvEEEESG_SJ_SK_mSL_SN_bEUlT_E_NS1_11comp_targetILNS1_3genE10ELNS1_11target_archE1200ELNS1_3gpuE4ELNS1_3repE0EEENS1_30default_config_static_selectorELNS0_4arch9wavefront6targetE0EEEvT1_,comdat
.Lfunc_end245:
	.size	_ZN7rocprim17ROCPRIM_400000_NS6detail17trampoline_kernelINS0_14default_configENS1_25transform_config_selectorItLb0EEEZNS1_14transform_implILb0ES3_S5_NS0_18transform_iteratorINS0_17counting_iteratorImlEEZNS1_24adjacent_difference_implIS3_Lb1ELb0EPtSB_N6thrust23THRUST_200600_302600_NS4plusItEEEE10hipError_tPvRmT2_T3_mT4_P12ihipStream_tbEUlmE_tEESB_NS0_8identityIvEEEESG_SJ_SK_mSL_SN_bEUlT_E_NS1_11comp_targetILNS1_3genE10ELNS1_11target_archE1200ELNS1_3gpuE4ELNS1_3repE0EEENS1_30default_config_static_selectorELNS0_4arch9wavefront6targetE0EEEvT1_, .Lfunc_end245-_ZN7rocprim17ROCPRIM_400000_NS6detail17trampoline_kernelINS0_14default_configENS1_25transform_config_selectorItLb0EEEZNS1_14transform_implILb0ES3_S5_NS0_18transform_iteratorINS0_17counting_iteratorImlEEZNS1_24adjacent_difference_implIS3_Lb1ELb0EPtSB_N6thrust23THRUST_200600_302600_NS4plusItEEEE10hipError_tPvRmT2_T3_mT4_P12ihipStream_tbEUlmE_tEESB_NS0_8identityIvEEEESG_SJ_SK_mSL_SN_bEUlT_E_NS1_11comp_targetILNS1_3genE10ELNS1_11target_archE1200ELNS1_3gpuE4ELNS1_3repE0EEENS1_30default_config_static_selectorELNS0_4arch9wavefront6targetE0EEEvT1_
                                        ; -- End function
	.section	.AMDGPU.csdata,"",@progbits
; Kernel info:
; codeLenInByte = 0
; NumSgprs: 0
; NumVgprs: 0
; ScratchSize: 0
; MemoryBound: 0
; FloatMode: 240
; IeeeMode: 1
; LDSByteSize: 0 bytes/workgroup (compile time only)
; SGPRBlocks: 0
; VGPRBlocks: 0
; NumSGPRsForWavesPerEU: 1
; NumVGPRsForWavesPerEU: 1
; Occupancy: 16
; WaveLimiterHint : 0
; COMPUTE_PGM_RSRC2:SCRATCH_EN: 0
; COMPUTE_PGM_RSRC2:USER_SGPR: 15
; COMPUTE_PGM_RSRC2:TRAP_HANDLER: 0
; COMPUTE_PGM_RSRC2:TGID_X_EN: 1
; COMPUTE_PGM_RSRC2:TGID_Y_EN: 0
; COMPUTE_PGM_RSRC2:TGID_Z_EN: 0
; COMPUTE_PGM_RSRC2:TIDIG_COMP_CNT: 0
	.section	.text._ZN7rocprim17ROCPRIM_400000_NS6detail17trampoline_kernelINS0_14default_configENS1_25transform_config_selectorItLb0EEEZNS1_14transform_implILb0ES3_S5_NS0_18transform_iteratorINS0_17counting_iteratorImlEEZNS1_24adjacent_difference_implIS3_Lb1ELb0EPtSB_N6thrust23THRUST_200600_302600_NS4plusItEEEE10hipError_tPvRmT2_T3_mT4_P12ihipStream_tbEUlmE_tEESB_NS0_8identityIvEEEESG_SJ_SK_mSL_SN_bEUlT_E_NS1_11comp_targetILNS1_3genE9ELNS1_11target_archE1100ELNS1_3gpuE3ELNS1_3repE0EEENS1_30default_config_static_selectorELNS0_4arch9wavefront6targetE0EEEvT1_,"axG",@progbits,_ZN7rocprim17ROCPRIM_400000_NS6detail17trampoline_kernelINS0_14default_configENS1_25transform_config_selectorItLb0EEEZNS1_14transform_implILb0ES3_S5_NS0_18transform_iteratorINS0_17counting_iteratorImlEEZNS1_24adjacent_difference_implIS3_Lb1ELb0EPtSB_N6thrust23THRUST_200600_302600_NS4plusItEEEE10hipError_tPvRmT2_T3_mT4_P12ihipStream_tbEUlmE_tEESB_NS0_8identityIvEEEESG_SJ_SK_mSL_SN_bEUlT_E_NS1_11comp_targetILNS1_3genE9ELNS1_11target_archE1100ELNS1_3gpuE3ELNS1_3repE0EEENS1_30default_config_static_selectorELNS0_4arch9wavefront6targetE0EEEvT1_,comdat
	.protected	_ZN7rocprim17ROCPRIM_400000_NS6detail17trampoline_kernelINS0_14default_configENS1_25transform_config_selectorItLb0EEEZNS1_14transform_implILb0ES3_S5_NS0_18transform_iteratorINS0_17counting_iteratorImlEEZNS1_24adjacent_difference_implIS3_Lb1ELb0EPtSB_N6thrust23THRUST_200600_302600_NS4plusItEEEE10hipError_tPvRmT2_T3_mT4_P12ihipStream_tbEUlmE_tEESB_NS0_8identityIvEEEESG_SJ_SK_mSL_SN_bEUlT_E_NS1_11comp_targetILNS1_3genE9ELNS1_11target_archE1100ELNS1_3gpuE3ELNS1_3repE0EEENS1_30default_config_static_selectorELNS0_4arch9wavefront6targetE0EEEvT1_ ; -- Begin function _ZN7rocprim17ROCPRIM_400000_NS6detail17trampoline_kernelINS0_14default_configENS1_25transform_config_selectorItLb0EEEZNS1_14transform_implILb0ES3_S5_NS0_18transform_iteratorINS0_17counting_iteratorImlEEZNS1_24adjacent_difference_implIS3_Lb1ELb0EPtSB_N6thrust23THRUST_200600_302600_NS4plusItEEEE10hipError_tPvRmT2_T3_mT4_P12ihipStream_tbEUlmE_tEESB_NS0_8identityIvEEEESG_SJ_SK_mSL_SN_bEUlT_E_NS1_11comp_targetILNS1_3genE9ELNS1_11target_archE1100ELNS1_3gpuE3ELNS1_3repE0EEENS1_30default_config_static_selectorELNS0_4arch9wavefront6targetE0EEEvT1_
	.globl	_ZN7rocprim17ROCPRIM_400000_NS6detail17trampoline_kernelINS0_14default_configENS1_25transform_config_selectorItLb0EEEZNS1_14transform_implILb0ES3_S5_NS0_18transform_iteratorINS0_17counting_iteratorImlEEZNS1_24adjacent_difference_implIS3_Lb1ELb0EPtSB_N6thrust23THRUST_200600_302600_NS4plusItEEEE10hipError_tPvRmT2_T3_mT4_P12ihipStream_tbEUlmE_tEESB_NS0_8identityIvEEEESG_SJ_SK_mSL_SN_bEUlT_E_NS1_11comp_targetILNS1_3genE9ELNS1_11target_archE1100ELNS1_3gpuE3ELNS1_3repE0EEENS1_30default_config_static_selectorELNS0_4arch9wavefront6targetE0EEEvT1_
	.p2align	8
	.type	_ZN7rocprim17ROCPRIM_400000_NS6detail17trampoline_kernelINS0_14default_configENS1_25transform_config_selectorItLb0EEEZNS1_14transform_implILb0ES3_S5_NS0_18transform_iteratorINS0_17counting_iteratorImlEEZNS1_24adjacent_difference_implIS3_Lb1ELb0EPtSB_N6thrust23THRUST_200600_302600_NS4plusItEEEE10hipError_tPvRmT2_T3_mT4_P12ihipStream_tbEUlmE_tEESB_NS0_8identityIvEEEESG_SJ_SK_mSL_SN_bEUlT_E_NS1_11comp_targetILNS1_3genE9ELNS1_11target_archE1100ELNS1_3gpuE3ELNS1_3repE0EEENS1_30default_config_static_selectorELNS0_4arch9wavefront6targetE0EEEvT1_,@function
_ZN7rocprim17ROCPRIM_400000_NS6detail17trampoline_kernelINS0_14default_configENS1_25transform_config_selectorItLb0EEEZNS1_14transform_implILb0ES3_S5_NS0_18transform_iteratorINS0_17counting_iteratorImlEEZNS1_24adjacent_difference_implIS3_Lb1ELb0EPtSB_N6thrust23THRUST_200600_302600_NS4plusItEEEE10hipError_tPvRmT2_T3_mT4_P12ihipStream_tbEUlmE_tEESB_NS0_8identityIvEEEESG_SJ_SK_mSL_SN_bEUlT_E_NS1_11comp_targetILNS1_3genE9ELNS1_11target_archE1100ELNS1_3gpuE3ELNS1_3repE0EEENS1_30default_config_static_selectorELNS0_4arch9wavefront6targetE0EEEvT1_: ; @_ZN7rocprim17ROCPRIM_400000_NS6detail17trampoline_kernelINS0_14default_configENS1_25transform_config_selectorItLb0EEEZNS1_14transform_implILb0ES3_S5_NS0_18transform_iteratorINS0_17counting_iteratorImlEEZNS1_24adjacent_difference_implIS3_Lb1ELb0EPtSB_N6thrust23THRUST_200600_302600_NS4plusItEEEE10hipError_tPvRmT2_T3_mT4_P12ihipStream_tbEUlmE_tEESB_NS0_8identityIvEEEESG_SJ_SK_mSL_SN_bEUlT_E_NS1_11comp_targetILNS1_3genE9ELNS1_11target_archE1100ELNS1_3gpuE3ELNS1_3repE0EEENS1_30default_config_static_selectorELNS0_4arch9wavefront6targetE0EEEvT1_
; %bb.0:
	s_clause 0x4
	s_load_b128 s[8:11], s[0:1], 0x18
	s_load_b64 s[16:17], s[0:1], 0x28
	s_load_b32 s13, s[0:1], 0x38
	s_load_b128 s[4:7], s[0:1], 0x0
	s_load_b32 s12, s[0:1], 0x10
	v_lshlrev_b32_e32 v3, 1, v0
	s_mov_b32 s3, 0
	s_waitcnt lgkmcnt(0)
	s_lshl_b64 s[0:1], s[8:9], 1
	s_delay_alu instid0(SALU_CYCLE_1)
	s_add_u32 s11, s16, s0
	s_addc_u32 s14, s17, s1
	s_lshl_b32 s2, s15, 11
	s_add_i32 s13, s13, -1
	s_add_u32 s0, s4, s2
	s_addc_u32 s4, s5, 0
	s_add_u32 s1, s0, s8
	s_addc_u32 s5, s4, s9
	s_cmp_lg_u32 s15, s13
	s_mov_b32 s13, -1
	s_cbranch_scc0 .LBB246_2
; %bb.1:
	v_add_co_u32 v4, s0, s1, v0
	s_delay_alu instid0(VALU_DEP_1) | instskip(SKIP_1) | instid1(VALU_DEP_2)
	v_add_co_ci_u32_e64 v6, null, s5, 0, s0
	s_mov_b32 s13, 0
	v_mad_u64_u32 v[1:2], null, v4, s12, 0
	s_lshl_b64 s[8:9], s[12:13], 11
	s_mov_b32 s4, -1
	s_delay_alu instid0(VALU_DEP_1) | instskip(NEXT) | instid1(VALU_DEP_1)
	v_mad_u64_u32 v[4:5], null, v6, s12, v[2:3]
	v_mov_b32_e32 v2, v4
	s_delay_alu instid0(VALU_DEP_1) | instskip(NEXT) | instid1(VALU_DEP_1)
	v_lshlrev_b64 v[1:2], 1, v[1:2]
	v_add_co_u32 v1, vcc_lo, s6, v1
	s_delay_alu instid0(VALU_DEP_2) | instskip(NEXT) | instid1(VALU_DEP_2)
	v_add_co_ci_u32_e32 v2, vcc_lo, s7, v2, vcc_lo
	v_add_co_u32 v4, vcc_lo, v1, s8
	s_delay_alu instid0(VALU_DEP_2)
	v_add_co_ci_u32_e32 v5, vcc_lo, s9, v2, vcc_lo
	s_lshl_b64 s[8:9], s[2:3], 1
	s_clause 0x1
	global_load_u16 v6, v[1:2], off
	global_load_u16 v4, v[4:5], off
	s_add_u32 s8, s11, s8
	s_addc_u32 s9, s14, s9
	v_add_co_u32 v1, s0, s8, v3
	s_delay_alu instid0(VALU_DEP_1)
	v_add_co_ci_u32_e64 v2, null, s9, 0, s0
	s_waitcnt vmcnt(1)
	global_store_b16 v3, v6, s[8:9]
	s_cbranch_execz .LBB246_3
	s_branch .LBB246_12
.LBB246_2:
	s_mov_b32 s4, s3
                                        ; implicit-def: $vgpr4
                                        ; implicit-def: $vgpr1_vgpr2
	s_and_not1_b32 vcc_lo, exec_lo, s13
	s_cbranch_vccnz .LBB246_12
.LBB246_3:
	s_sub_i32 s8, s10, s2
                                        ; implicit-def: $vgpr5
	s_delay_alu instid0(SALU_CYCLE_1)
	v_cmp_gt_u32_e32 vcc_lo, s8, v0
	s_and_saveexec_b32 s9, vcc_lo
	s_cbranch_execz .LBB246_5
; %bb.4:
	s_waitcnt vmcnt(0)
	v_add_co_u32 v4, s0, s1, v0
	s_delay_alu instid0(VALU_DEP_1) | instskip(NEXT) | instid1(VALU_DEP_2)
	v_add_co_ci_u32_e64 v6, null, s5, 0, s0
	v_mad_u64_u32 v[1:2], null, v4, s12, 0
	s_delay_alu instid0(VALU_DEP_1) | instskip(NEXT) | instid1(VALU_DEP_1)
	v_mad_u64_u32 v[4:5], null, v6, s12, v[2:3]
	v_mov_b32_e32 v2, v4
	s_delay_alu instid0(VALU_DEP_1) | instskip(NEXT) | instid1(VALU_DEP_1)
	v_lshlrev_b64 v[1:2], 1, v[1:2]
	v_add_co_u32 v1, s0, s6, v1
	s_delay_alu instid0(VALU_DEP_1)
	v_add_co_ci_u32_e64 v2, s0, s7, v2, s0
	global_load_d16_b16 v5, v[1:2], off
.LBB246_5:
	s_or_b32 exec_lo, exec_lo, s9
	v_or_b32_e32 v0, 0x400, v0
	s_delay_alu instid0(VALU_DEP_1) | instskip(NEXT) | instid1(VALU_DEP_1)
	v_cmp_gt_u32_e64 s0, s8, v0
	s_and_saveexec_b32 s8, s0
	s_cbranch_execz .LBB246_7
; %bb.6:
	v_add_co_u32 v2, s1, s1, v0
	s_waitcnt vmcnt(0)
	v_add_co_ci_u32_e64 v4, null, s5, 0, s1
	s_delay_alu instid0(VALU_DEP_2) | instskip(NEXT) | instid1(VALU_DEP_1)
	v_mad_u64_u32 v[0:1], null, v2, s12, 0
	v_mad_u64_u32 v[6:7], null, v4, s12, v[1:2]
	s_delay_alu instid0(VALU_DEP_1) | instskip(NEXT) | instid1(VALU_DEP_1)
	v_mov_b32_e32 v1, v6
	v_lshlrev_b64 v[0:1], 1, v[0:1]
	s_delay_alu instid0(VALU_DEP_1) | instskip(NEXT) | instid1(VALU_DEP_1)
	v_add_co_u32 v0, s1, s6, v0
	v_add_co_ci_u32_e64 v1, s1, s7, v1, s1
	global_load_d16_hi_b16 v5, v[0:1], off
.LBB246_7:
	s_or_b32 exec_lo, exec_lo, s8
	s_lshl_b64 s[2:3], s[2:3], 1
	s_delay_alu instid0(SALU_CYCLE_1) | instskip(SKIP_2) | instid1(VALU_DEP_1)
	s_add_u32 s1, s11, s2
	s_addc_u32 s2, s14, s3
	v_add_co_u32 v1, s1, s1, v3
	v_add_co_ci_u32_e64 v2, null, s2, 0, s1
	s_and_saveexec_b32 s1, vcc_lo
	s_cbranch_execz .LBB246_9
; %bb.8:
	s_waitcnt vmcnt(0)
	global_store_b16 v[1:2], v5, off
.LBB246_9:
	s_or_b32 exec_lo, exec_lo, s1
                                        ; implicit-def: $vgpr4
	s_and_saveexec_b32 s1, s0
	s_cbranch_execz .LBB246_11
; %bb.10:
	s_waitcnt vmcnt(0)
	v_lshrrev_b32_e32 v4, 16, v5
	s_or_b32 s4, s4, exec_lo
.LBB246_11:
	s_or_b32 exec_lo, exec_lo, s1
.LBB246_12:
	s_and_saveexec_b32 s0, s4
	s_cbranch_execnz .LBB246_14
; %bb.13:
	s_nop 0
	s_sendmsg sendmsg(MSG_DEALLOC_VGPRS)
	s_endpgm
.LBB246_14:
	s_waitcnt vmcnt(0)
	global_store_b16 v[1:2], v4, off offset:2048
	s_nop 0
	s_sendmsg sendmsg(MSG_DEALLOC_VGPRS)
	s_endpgm
	.section	.rodata,"a",@progbits
	.p2align	6, 0x0
	.amdhsa_kernel _ZN7rocprim17ROCPRIM_400000_NS6detail17trampoline_kernelINS0_14default_configENS1_25transform_config_selectorItLb0EEEZNS1_14transform_implILb0ES3_S5_NS0_18transform_iteratorINS0_17counting_iteratorImlEEZNS1_24adjacent_difference_implIS3_Lb1ELb0EPtSB_N6thrust23THRUST_200600_302600_NS4plusItEEEE10hipError_tPvRmT2_T3_mT4_P12ihipStream_tbEUlmE_tEESB_NS0_8identityIvEEEESG_SJ_SK_mSL_SN_bEUlT_E_NS1_11comp_targetILNS1_3genE9ELNS1_11target_archE1100ELNS1_3gpuE3ELNS1_3repE0EEENS1_30default_config_static_selectorELNS0_4arch9wavefront6targetE0EEEvT1_
		.amdhsa_group_segment_fixed_size 0
		.amdhsa_private_segment_fixed_size 0
		.amdhsa_kernarg_size 312
		.amdhsa_user_sgpr_count 15
		.amdhsa_user_sgpr_dispatch_ptr 0
		.amdhsa_user_sgpr_queue_ptr 0
		.amdhsa_user_sgpr_kernarg_segment_ptr 1
		.amdhsa_user_sgpr_dispatch_id 0
		.amdhsa_user_sgpr_private_segment_size 0
		.amdhsa_wavefront_size32 1
		.amdhsa_uses_dynamic_stack 0
		.amdhsa_enable_private_segment 0
		.amdhsa_system_sgpr_workgroup_id_x 1
		.amdhsa_system_sgpr_workgroup_id_y 0
		.amdhsa_system_sgpr_workgroup_id_z 0
		.amdhsa_system_sgpr_workgroup_info 0
		.amdhsa_system_vgpr_workitem_id 0
		.amdhsa_next_free_vgpr 8
		.amdhsa_next_free_sgpr 18
		.amdhsa_reserve_vcc 1
		.amdhsa_float_round_mode_32 0
		.amdhsa_float_round_mode_16_64 0
		.amdhsa_float_denorm_mode_32 3
		.amdhsa_float_denorm_mode_16_64 3
		.amdhsa_dx10_clamp 1
		.amdhsa_ieee_mode 1
		.amdhsa_fp16_overflow 0
		.amdhsa_workgroup_processor_mode 1
		.amdhsa_memory_ordered 1
		.amdhsa_forward_progress 0
		.amdhsa_shared_vgpr_count 0
		.amdhsa_exception_fp_ieee_invalid_op 0
		.amdhsa_exception_fp_denorm_src 0
		.amdhsa_exception_fp_ieee_div_zero 0
		.amdhsa_exception_fp_ieee_overflow 0
		.amdhsa_exception_fp_ieee_underflow 0
		.amdhsa_exception_fp_ieee_inexact 0
		.amdhsa_exception_int_div_zero 0
	.end_amdhsa_kernel
	.section	.text._ZN7rocprim17ROCPRIM_400000_NS6detail17trampoline_kernelINS0_14default_configENS1_25transform_config_selectorItLb0EEEZNS1_14transform_implILb0ES3_S5_NS0_18transform_iteratorINS0_17counting_iteratorImlEEZNS1_24adjacent_difference_implIS3_Lb1ELb0EPtSB_N6thrust23THRUST_200600_302600_NS4plusItEEEE10hipError_tPvRmT2_T3_mT4_P12ihipStream_tbEUlmE_tEESB_NS0_8identityIvEEEESG_SJ_SK_mSL_SN_bEUlT_E_NS1_11comp_targetILNS1_3genE9ELNS1_11target_archE1100ELNS1_3gpuE3ELNS1_3repE0EEENS1_30default_config_static_selectorELNS0_4arch9wavefront6targetE0EEEvT1_,"axG",@progbits,_ZN7rocprim17ROCPRIM_400000_NS6detail17trampoline_kernelINS0_14default_configENS1_25transform_config_selectorItLb0EEEZNS1_14transform_implILb0ES3_S5_NS0_18transform_iteratorINS0_17counting_iteratorImlEEZNS1_24adjacent_difference_implIS3_Lb1ELb0EPtSB_N6thrust23THRUST_200600_302600_NS4plusItEEEE10hipError_tPvRmT2_T3_mT4_P12ihipStream_tbEUlmE_tEESB_NS0_8identityIvEEEESG_SJ_SK_mSL_SN_bEUlT_E_NS1_11comp_targetILNS1_3genE9ELNS1_11target_archE1100ELNS1_3gpuE3ELNS1_3repE0EEENS1_30default_config_static_selectorELNS0_4arch9wavefront6targetE0EEEvT1_,comdat
.Lfunc_end246:
	.size	_ZN7rocprim17ROCPRIM_400000_NS6detail17trampoline_kernelINS0_14default_configENS1_25transform_config_selectorItLb0EEEZNS1_14transform_implILb0ES3_S5_NS0_18transform_iteratorINS0_17counting_iteratorImlEEZNS1_24adjacent_difference_implIS3_Lb1ELb0EPtSB_N6thrust23THRUST_200600_302600_NS4plusItEEEE10hipError_tPvRmT2_T3_mT4_P12ihipStream_tbEUlmE_tEESB_NS0_8identityIvEEEESG_SJ_SK_mSL_SN_bEUlT_E_NS1_11comp_targetILNS1_3genE9ELNS1_11target_archE1100ELNS1_3gpuE3ELNS1_3repE0EEENS1_30default_config_static_selectorELNS0_4arch9wavefront6targetE0EEEvT1_, .Lfunc_end246-_ZN7rocprim17ROCPRIM_400000_NS6detail17trampoline_kernelINS0_14default_configENS1_25transform_config_selectorItLb0EEEZNS1_14transform_implILb0ES3_S5_NS0_18transform_iteratorINS0_17counting_iteratorImlEEZNS1_24adjacent_difference_implIS3_Lb1ELb0EPtSB_N6thrust23THRUST_200600_302600_NS4plusItEEEE10hipError_tPvRmT2_T3_mT4_P12ihipStream_tbEUlmE_tEESB_NS0_8identityIvEEEESG_SJ_SK_mSL_SN_bEUlT_E_NS1_11comp_targetILNS1_3genE9ELNS1_11target_archE1100ELNS1_3gpuE3ELNS1_3repE0EEENS1_30default_config_static_selectorELNS0_4arch9wavefront6targetE0EEEvT1_
                                        ; -- End function
	.section	.AMDGPU.csdata,"",@progbits
; Kernel info:
; codeLenInByte = 644
; NumSgprs: 20
; NumVgprs: 8
; ScratchSize: 0
; MemoryBound: 0
; FloatMode: 240
; IeeeMode: 1
; LDSByteSize: 0 bytes/workgroup (compile time only)
; SGPRBlocks: 2
; VGPRBlocks: 0
; NumSGPRsForWavesPerEU: 20
; NumVGPRsForWavesPerEU: 8
; Occupancy: 16
; WaveLimiterHint : 0
; COMPUTE_PGM_RSRC2:SCRATCH_EN: 0
; COMPUTE_PGM_RSRC2:USER_SGPR: 15
; COMPUTE_PGM_RSRC2:TRAP_HANDLER: 0
; COMPUTE_PGM_RSRC2:TGID_X_EN: 1
; COMPUTE_PGM_RSRC2:TGID_Y_EN: 0
; COMPUTE_PGM_RSRC2:TGID_Z_EN: 0
; COMPUTE_PGM_RSRC2:TIDIG_COMP_CNT: 0
	.section	.text._ZN7rocprim17ROCPRIM_400000_NS6detail17trampoline_kernelINS0_14default_configENS1_25transform_config_selectorItLb0EEEZNS1_14transform_implILb0ES3_S5_NS0_18transform_iteratorINS0_17counting_iteratorImlEEZNS1_24adjacent_difference_implIS3_Lb1ELb0EPtSB_N6thrust23THRUST_200600_302600_NS4plusItEEEE10hipError_tPvRmT2_T3_mT4_P12ihipStream_tbEUlmE_tEESB_NS0_8identityIvEEEESG_SJ_SK_mSL_SN_bEUlT_E_NS1_11comp_targetILNS1_3genE8ELNS1_11target_archE1030ELNS1_3gpuE2ELNS1_3repE0EEENS1_30default_config_static_selectorELNS0_4arch9wavefront6targetE0EEEvT1_,"axG",@progbits,_ZN7rocprim17ROCPRIM_400000_NS6detail17trampoline_kernelINS0_14default_configENS1_25transform_config_selectorItLb0EEEZNS1_14transform_implILb0ES3_S5_NS0_18transform_iteratorINS0_17counting_iteratorImlEEZNS1_24adjacent_difference_implIS3_Lb1ELb0EPtSB_N6thrust23THRUST_200600_302600_NS4plusItEEEE10hipError_tPvRmT2_T3_mT4_P12ihipStream_tbEUlmE_tEESB_NS0_8identityIvEEEESG_SJ_SK_mSL_SN_bEUlT_E_NS1_11comp_targetILNS1_3genE8ELNS1_11target_archE1030ELNS1_3gpuE2ELNS1_3repE0EEENS1_30default_config_static_selectorELNS0_4arch9wavefront6targetE0EEEvT1_,comdat
	.protected	_ZN7rocprim17ROCPRIM_400000_NS6detail17trampoline_kernelINS0_14default_configENS1_25transform_config_selectorItLb0EEEZNS1_14transform_implILb0ES3_S5_NS0_18transform_iteratorINS0_17counting_iteratorImlEEZNS1_24adjacent_difference_implIS3_Lb1ELb0EPtSB_N6thrust23THRUST_200600_302600_NS4plusItEEEE10hipError_tPvRmT2_T3_mT4_P12ihipStream_tbEUlmE_tEESB_NS0_8identityIvEEEESG_SJ_SK_mSL_SN_bEUlT_E_NS1_11comp_targetILNS1_3genE8ELNS1_11target_archE1030ELNS1_3gpuE2ELNS1_3repE0EEENS1_30default_config_static_selectorELNS0_4arch9wavefront6targetE0EEEvT1_ ; -- Begin function _ZN7rocprim17ROCPRIM_400000_NS6detail17trampoline_kernelINS0_14default_configENS1_25transform_config_selectorItLb0EEEZNS1_14transform_implILb0ES3_S5_NS0_18transform_iteratorINS0_17counting_iteratorImlEEZNS1_24adjacent_difference_implIS3_Lb1ELb0EPtSB_N6thrust23THRUST_200600_302600_NS4plusItEEEE10hipError_tPvRmT2_T3_mT4_P12ihipStream_tbEUlmE_tEESB_NS0_8identityIvEEEESG_SJ_SK_mSL_SN_bEUlT_E_NS1_11comp_targetILNS1_3genE8ELNS1_11target_archE1030ELNS1_3gpuE2ELNS1_3repE0EEENS1_30default_config_static_selectorELNS0_4arch9wavefront6targetE0EEEvT1_
	.globl	_ZN7rocprim17ROCPRIM_400000_NS6detail17trampoline_kernelINS0_14default_configENS1_25transform_config_selectorItLb0EEEZNS1_14transform_implILb0ES3_S5_NS0_18transform_iteratorINS0_17counting_iteratorImlEEZNS1_24adjacent_difference_implIS3_Lb1ELb0EPtSB_N6thrust23THRUST_200600_302600_NS4plusItEEEE10hipError_tPvRmT2_T3_mT4_P12ihipStream_tbEUlmE_tEESB_NS0_8identityIvEEEESG_SJ_SK_mSL_SN_bEUlT_E_NS1_11comp_targetILNS1_3genE8ELNS1_11target_archE1030ELNS1_3gpuE2ELNS1_3repE0EEENS1_30default_config_static_selectorELNS0_4arch9wavefront6targetE0EEEvT1_
	.p2align	8
	.type	_ZN7rocprim17ROCPRIM_400000_NS6detail17trampoline_kernelINS0_14default_configENS1_25transform_config_selectorItLb0EEEZNS1_14transform_implILb0ES3_S5_NS0_18transform_iteratorINS0_17counting_iteratorImlEEZNS1_24adjacent_difference_implIS3_Lb1ELb0EPtSB_N6thrust23THRUST_200600_302600_NS4plusItEEEE10hipError_tPvRmT2_T3_mT4_P12ihipStream_tbEUlmE_tEESB_NS0_8identityIvEEEESG_SJ_SK_mSL_SN_bEUlT_E_NS1_11comp_targetILNS1_3genE8ELNS1_11target_archE1030ELNS1_3gpuE2ELNS1_3repE0EEENS1_30default_config_static_selectorELNS0_4arch9wavefront6targetE0EEEvT1_,@function
_ZN7rocprim17ROCPRIM_400000_NS6detail17trampoline_kernelINS0_14default_configENS1_25transform_config_selectorItLb0EEEZNS1_14transform_implILb0ES3_S5_NS0_18transform_iteratorINS0_17counting_iteratorImlEEZNS1_24adjacent_difference_implIS3_Lb1ELb0EPtSB_N6thrust23THRUST_200600_302600_NS4plusItEEEE10hipError_tPvRmT2_T3_mT4_P12ihipStream_tbEUlmE_tEESB_NS0_8identityIvEEEESG_SJ_SK_mSL_SN_bEUlT_E_NS1_11comp_targetILNS1_3genE8ELNS1_11target_archE1030ELNS1_3gpuE2ELNS1_3repE0EEENS1_30default_config_static_selectorELNS0_4arch9wavefront6targetE0EEEvT1_: ; @_ZN7rocprim17ROCPRIM_400000_NS6detail17trampoline_kernelINS0_14default_configENS1_25transform_config_selectorItLb0EEEZNS1_14transform_implILb0ES3_S5_NS0_18transform_iteratorINS0_17counting_iteratorImlEEZNS1_24adjacent_difference_implIS3_Lb1ELb0EPtSB_N6thrust23THRUST_200600_302600_NS4plusItEEEE10hipError_tPvRmT2_T3_mT4_P12ihipStream_tbEUlmE_tEESB_NS0_8identityIvEEEESG_SJ_SK_mSL_SN_bEUlT_E_NS1_11comp_targetILNS1_3genE8ELNS1_11target_archE1030ELNS1_3gpuE2ELNS1_3repE0EEENS1_30default_config_static_selectorELNS0_4arch9wavefront6targetE0EEEvT1_
; %bb.0:
	.section	.rodata,"a",@progbits
	.p2align	6, 0x0
	.amdhsa_kernel _ZN7rocprim17ROCPRIM_400000_NS6detail17trampoline_kernelINS0_14default_configENS1_25transform_config_selectorItLb0EEEZNS1_14transform_implILb0ES3_S5_NS0_18transform_iteratorINS0_17counting_iteratorImlEEZNS1_24adjacent_difference_implIS3_Lb1ELb0EPtSB_N6thrust23THRUST_200600_302600_NS4plusItEEEE10hipError_tPvRmT2_T3_mT4_P12ihipStream_tbEUlmE_tEESB_NS0_8identityIvEEEESG_SJ_SK_mSL_SN_bEUlT_E_NS1_11comp_targetILNS1_3genE8ELNS1_11target_archE1030ELNS1_3gpuE2ELNS1_3repE0EEENS1_30default_config_static_selectorELNS0_4arch9wavefront6targetE0EEEvT1_
		.amdhsa_group_segment_fixed_size 0
		.amdhsa_private_segment_fixed_size 0
		.amdhsa_kernarg_size 56
		.amdhsa_user_sgpr_count 15
		.amdhsa_user_sgpr_dispatch_ptr 0
		.amdhsa_user_sgpr_queue_ptr 0
		.amdhsa_user_sgpr_kernarg_segment_ptr 1
		.amdhsa_user_sgpr_dispatch_id 0
		.amdhsa_user_sgpr_private_segment_size 0
		.amdhsa_wavefront_size32 1
		.amdhsa_uses_dynamic_stack 0
		.amdhsa_enable_private_segment 0
		.amdhsa_system_sgpr_workgroup_id_x 1
		.amdhsa_system_sgpr_workgroup_id_y 0
		.amdhsa_system_sgpr_workgroup_id_z 0
		.amdhsa_system_sgpr_workgroup_info 0
		.amdhsa_system_vgpr_workitem_id 0
		.amdhsa_next_free_vgpr 1
		.amdhsa_next_free_sgpr 1
		.amdhsa_reserve_vcc 0
		.amdhsa_float_round_mode_32 0
		.amdhsa_float_round_mode_16_64 0
		.amdhsa_float_denorm_mode_32 3
		.amdhsa_float_denorm_mode_16_64 3
		.amdhsa_dx10_clamp 1
		.amdhsa_ieee_mode 1
		.amdhsa_fp16_overflow 0
		.amdhsa_workgroup_processor_mode 1
		.amdhsa_memory_ordered 1
		.amdhsa_forward_progress 0
		.amdhsa_shared_vgpr_count 0
		.amdhsa_exception_fp_ieee_invalid_op 0
		.amdhsa_exception_fp_denorm_src 0
		.amdhsa_exception_fp_ieee_div_zero 0
		.amdhsa_exception_fp_ieee_overflow 0
		.amdhsa_exception_fp_ieee_underflow 0
		.amdhsa_exception_fp_ieee_inexact 0
		.amdhsa_exception_int_div_zero 0
	.end_amdhsa_kernel
	.section	.text._ZN7rocprim17ROCPRIM_400000_NS6detail17trampoline_kernelINS0_14default_configENS1_25transform_config_selectorItLb0EEEZNS1_14transform_implILb0ES3_S5_NS0_18transform_iteratorINS0_17counting_iteratorImlEEZNS1_24adjacent_difference_implIS3_Lb1ELb0EPtSB_N6thrust23THRUST_200600_302600_NS4plusItEEEE10hipError_tPvRmT2_T3_mT4_P12ihipStream_tbEUlmE_tEESB_NS0_8identityIvEEEESG_SJ_SK_mSL_SN_bEUlT_E_NS1_11comp_targetILNS1_3genE8ELNS1_11target_archE1030ELNS1_3gpuE2ELNS1_3repE0EEENS1_30default_config_static_selectorELNS0_4arch9wavefront6targetE0EEEvT1_,"axG",@progbits,_ZN7rocprim17ROCPRIM_400000_NS6detail17trampoline_kernelINS0_14default_configENS1_25transform_config_selectorItLb0EEEZNS1_14transform_implILb0ES3_S5_NS0_18transform_iteratorINS0_17counting_iteratorImlEEZNS1_24adjacent_difference_implIS3_Lb1ELb0EPtSB_N6thrust23THRUST_200600_302600_NS4plusItEEEE10hipError_tPvRmT2_T3_mT4_P12ihipStream_tbEUlmE_tEESB_NS0_8identityIvEEEESG_SJ_SK_mSL_SN_bEUlT_E_NS1_11comp_targetILNS1_3genE8ELNS1_11target_archE1030ELNS1_3gpuE2ELNS1_3repE0EEENS1_30default_config_static_selectorELNS0_4arch9wavefront6targetE0EEEvT1_,comdat
.Lfunc_end247:
	.size	_ZN7rocprim17ROCPRIM_400000_NS6detail17trampoline_kernelINS0_14default_configENS1_25transform_config_selectorItLb0EEEZNS1_14transform_implILb0ES3_S5_NS0_18transform_iteratorINS0_17counting_iteratorImlEEZNS1_24adjacent_difference_implIS3_Lb1ELb0EPtSB_N6thrust23THRUST_200600_302600_NS4plusItEEEE10hipError_tPvRmT2_T3_mT4_P12ihipStream_tbEUlmE_tEESB_NS0_8identityIvEEEESG_SJ_SK_mSL_SN_bEUlT_E_NS1_11comp_targetILNS1_3genE8ELNS1_11target_archE1030ELNS1_3gpuE2ELNS1_3repE0EEENS1_30default_config_static_selectorELNS0_4arch9wavefront6targetE0EEEvT1_, .Lfunc_end247-_ZN7rocprim17ROCPRIM_400000_NS6detail17trampoline_kernelINS0_14default_configENS1_25transform_config_selectorItLb0EEEZNS1_14transform_implILb0ES3_S5_NS0_18transform_iteratorINS0_17counting_iteratorImlEEZNS1_24adjacent_difference_implIS3_Lb1ELb0EPtSB_N6thrust23THRUST_200600_302600_NS4plusItEEEE10hipError_tPvRmT2_T3_mT4_P12ihipStream_tbEUlmE_tEESB_NS0_8identityIvEEEESG_SJ_SK_mSL_SN_bEUlT_E_NS1_11comp_targetILNS1_3genE8ELNS1_11target_archE1030ELNS1_3gpuE2ELNS1_3repE0EEENS1_30default_config_static_selectorELNS0_4arch9wavefront6targetE0EEEvT1_
                                        ; -- End function
	.section	.AMDGPU.csdata,"",@progbits
; Kernel info:
; codeLenInByte = 0
; NumSgprs: 0
; NumVgprs: 0
; ScratchSize: 0
; MemoryBound: 0
; FloatMode: 240
; IeeeMode: 1
; LDSByteSize: 0 bytes/workgroup (compile time only)
; SGPRBlocks: 0
; VGPRBlocks: 0
; NumSGPRsForWavesPerEU: 1
; NumVGPRsForWavesPerEU: 1
; Occupancy: 16
; WaveLimiterHint : 0
; COMPUTE_PGM_RSRC2:SCRATCH_EN: 0
; COMPUTE_PGM_RSRC2:USER_SGPR: 15
; COMPUTE_PGM_RSRC2:TRAP_HANDLER: 0
; COMPUTE_PGM_RSRC2:TGID_X_EN: 1
; COMPUTE_PGM_RSRC2:TGID_Y_EN: 0
; COMPUTE_PGM_RSRC2:TGID_Z_EN: 0
; COMPUTE_PGM_RSRC2:TIDIG_COMP_CNT: 0
	.section	.text._ZN7rocprim17ROCPRIM_400000_NS6detail17trampoline_kernelINS0_14default_configENS1_35adjacent_difference_config_selectorILb1EtEEZNS1_24adjacent_difference_implIS3_Lb1ELb0EPtS7_N6thrust23THRUST_200600_302600_NS4plusItEEEE10hipError_tPvRmT2_T3_mT4_P12ihipStream_tbEUlT_E_NS1_11comp_targetILNS1_3genE0ELNS1_11target_archE4294967295ELNS1_3gpuE0ELNS1_3repE0EEENS1_30default_config_static_selectorELNS0_4arch9wavefront6targetE0EEEvT1_,"axG",@progbits,_ZN7rocprim17ROCPRIM_400000_NS6detail17trampoline_kernelINS0_14default_configENS1_35adjacent_difference_config_selectorILb1EtEEZNS1_24adjacent_difference_implIS3_Lb1ELb0EPtS7_N6thrust23THRUST_200600_302600_NS4plusItEEEE10hipError_tPvRmT2_T3_mT4_P12ihipStream_tbEUlT_E_NS1_11comp_targetILNS1_3genE0ELNS1_11target_archE4294967295ELNS1_3gpuE0ELNS1_3repE0EEENS1_30default_config_static_selectorELNS0_4arch9wavefront6targetE0EEEvT1_,comdat
	.protected	_ZN7rocprim17ROCPRIM_400000_NS6detail17trampoline_kernelINS0_14default_configENS1_35adjacent_difference_config_selectorILb1EtEEZNS1_24adjacent_difference_implIS3_Lb1ELb0EPtS7_N6thrust23THRUST_200600_302600_NS4plusItEEEE10hipError_tPvRmT2_T3_mT4_P12ihipStream_tbEUlT_E_NS1_11comp_targetILNS1_3genE0ELNS1_11target_archE4294967295ELNS1_3gpuE0ELNS1_3repE0EEENS1_30default_config_static_selectorELNS0_4arch9wavefront6targetE0EEEvT1_ ; -- Begin function _ZN7rocprim17ROCPRIM_400000_NS6detail17trampoline_kernelINS0_14default_configENS1_35adjacent_difference_config_selectorILb1EtEEZNS1_24adjacent_difference_implIS3_Lb1ELb0EPtS7_N6thrust23THRUST_200600_302600_NS4plusItEEEE10hipError_tPvRmT2_T3_mT4_P12ihipStream_tbEUlT_E_NS1_11comp_targetILNS1_3genE0ELNS1_11target_archE4294967295ELNS1_3gpuE0ELNS1_3repE0EEENS1_30default_config_static_selectorELNS0_4arch9wavefront6targetE0EEEvT1_
	.globl	_ZN7rocprim17ROCPRIM_400000_NS6detail17trampoline_kernelINS0_14default_configENS1_35adjacent_difference_config_selectorILb1EtEEZNS1_24adjacent_difference_implIS3_Lb1ELb0EPtS7_N6thrust23THRUST_200600_302600_NS4plusItEEEE10hipError_tPvRmT2_T3_mT4_P12ihipStream_tbEUlT_E_NS1_11comp_targetILNS1_3genE0ELNS1_11target_archE4294967295ELNS1_3gpuE0ELNS1_3repE0EEENS1_30default_config_static_selectorELNS0_4arch9wavefront6targetE0EEEvT1_
	.p2align	8
	.type	_ZN7rocprim17ROCPRIM_400000_NS6detail17trampoline_kernelINS0_14default_configENS1_35adjacent_difference_config_selectorILb1EtEEZNS1_24adjacent_difference_implIS3_Lb1ELb0EPtS7_N6thrust23THRUST_200600_302600_NS4plusItEEEE10hipError_tPvRmT2_T3_mT4_P12ihipStream_tbEUlT_E_NS1_11comp_targetILNS1_3genE0ELNS1_11target_archE4294967295ELNS1_3gpuE0ELNS1_3repE0EEENS1_30default_config_static_selectorELNS0_4arch9wavefront6targetE0EEEvT1_,@function
_ZN7rocprim17ROCPRIM_400000_NS6detail17trampoline_kernelINS0_14default_configENS1_35adjacent_difference_config_selectorILb1EtEEZNS1_24adjacent_difference_implIS3_Lb1ELb0EPtS7_N6thrust23THRUST_200600_302600_NS4plusItEEEE10hipError_tPvRmT2_T3_mT4_P12ihipStream_tbEUlT_E_NS1_11comp_targetILNS1_3genE0ELNS1_11target_archE4294967295ELNS1_3gpuE0ELNS1_3repE0EEENS1_30default_config_static_selectorELNS0_4arch9wavefront6targetE0EEEvT1_: ; @_ZN7rocprim17ROCPRIM_400000_NS6detail17trampoline_kernelINS0_14default_configENS1_35adjacent_difference_config_selectorILb1EtEEZNS1_24adjacent_difference_implIS3_Lb1ELb0EPtS7_N6thrust23THRUST_200600_302600_NS4plusItEEEE10hipError_tPvRmT2_T3_mT4_P12ihipStream_tbEUlT_E_NS1_11comp_targetILNS1_3genE0ELNS1_11target_archE4294967295ELNS1_3gpuE0ELNS1_3repE0EEENS1_30default_config_static_selectorELNS0_4arch9wavefront6targetE0EEEvT1_
; %bb.0:
	.section	.rodata,"a",@progbits
	.p2align	6, 0x0
	.amdhsa_kernel _ZN7rocprim17ROCPRIM_400000_NS6detail17trampoline_kernelINS0_14default_configENS1_35adjacent_difference_config_selectorILb1EtEEZNS1_24adjacent_difference_implIS3_Lb1ELb0EPtS7_N6thrust23THRUST_200600_302600_NS4plusItEEEE10hipError_tPvRmT2_T3_mT4_P12ihipStream_tbEUlT_E_NS1_11comp_targetILNS1_3genE0ELNS1_11target_archE4294967295ELNS1_3gpuE0ELNS1_3repE0EEENS1_30default_config_static_selectorELNS0_4arch9wavefront6targetE0EEEvT1_
		.amdhsa_group_segment_fixed_size 0
		.amdhsa_private_segment_fixed_size 0
		.amdhsa_kernarg_size 56
		.amdhsa_user_sgpr_count 15
		.amdhsa_user_sgpr_dispatch_ptr 0
		.amdhsa_user_sgpr_queue_ptr 0
		.amdhsa_user_sgpr_kernarg_segment_ptr 1
		.amdhsa_user_sgpr_dispatch_id 0
		.amdhsa_user_sgpr_private_segment_size 0
		.amdhsa_wavefront_size32 1
		.amdhsa_uses_dynamic_stack 0
		.amdhsa_enable_private_segment 0
		.amdhsa_system_sgpr_workgroup_id_x 1
		.amdhsa_system_sgpr_workgroup_id_y 0
		.amdhsa_system_sgpr_workgroup_id_z 0
		.amdhsa_system_sgpr_workgroup_info 0
		.amdhsa_system_vgpr_workitem_id 0
		.amdhsa_next_free_vgpr 1
		.amdhsa_next_free_sgpr 1
		.amdhsa_reserve_vcc 0
		.amdhsa_float_round_mode_32 0
		.amdhsa_float_round_mode_16_64 0
		.amdhsa_float_denorm_mode_32 3
		.amdhsa_float_denorm_mode_16_64 3
		.amdhsa_dx10_clamp 1
		.amdhsa_ieee_mode 1
		.amdhsa_fp16_overflow 0
		.amdhsa_workgroup_processor_mode 1
		.amdhsa_memory_ordered 1
		.amdhsa_forward_progress 0
		.amdhsa_shared_vgpr_count 0
		.amdhsa_exception_fp_ieee_invalid_op 0
		.amdhsa_exception_fp_denorm_src 0
		.amdhsa_exception_fp_ieee_div_zero 0
		.amdhsa_exception_fp_ieee_overflow 0
		.amdhsa_exception_fp_ieee_underflow 0
		.amdhsa_exception_fp_ieee_inexact 0
		.amdhsa_exception_int_div_zero 0
	.end_amdhsa_kernel
	.section	.text._ZN7rocprim17ROCPRIM_400000_NS6detail17trampoline_kernelINS0_14default_configENS1_35adjacent_difference_config_selectorILb1EtEEZNS1_24adjacent_difference_implIS3_Lb1ELb0EPtS7_N6thrust23THRUST_200600_302600_NS4plusItEEEE10hipError_tPvRmT2_T3_mT4_P12ihipStream_tbEUlT_E_NS1_11comp_targetILNS1_3genE0ELNS1_11target_archE4294967295ELNS1_3gpuE0ELNS1_3repE0EEENS1_30default_config_static_selectorELNS0_4arch9wavefront6targetE0EEEvT1_,"axG",@progbits,_ZN7rocprim17ROCPRIM_400000_NS6detail17trampoline_kernelINS0_14default_configENS1_35adjacent_difference_config_selectorILb1EtEEZNS1_24adjacent_difference_implIS3_Lb1ELb0EPtS7_N6thrust23THRUST_200600_302600_NS4plusItEEEE10hipError_tPvRmT2_T3_mT4_P12ihipStream_tbEUlT_E_NS1_11comp_targetILNS1_3genE0ELNS1_11target_archE4294967295ELNS1_3gpuE0ELNS1_3repE0EEENS1_30default_config_static_selectorELNS0_4arch9wavefront6targetE0EEEvT1_,comdat
.Lfunc_end248:
	.size	_ZN7rocprim17ROCPRIM_400000_NS6detail17trampoline_kernelINS0_14default_configENS1_35adjacent_difference_config_selectorILb1EtEEZNS1_24adjacent_difference_implIS3_Lb1ELb0EPtS7_N6thrust23THRUST_200600_302600_NS4plusItEEEE10hipError_tPvRmT2_T3_mT4_P12ihipStream_tbEUlT_E_NS1_11comp_targetILNS1_3genE0ELNS1_11target_archE4294967295ELNS1_3gpuE0ELNS1_3repE0EEENS1_30default_config_static_selectorELNS0_4arch9wavefront6targetE0EEEvT1_, .Lfunc_end248-_ZN7rocprim17ROCPRIM_400000_NS6detail17trampoline_kernelINS0_14default_configENS1_35adjacent_difference_config_selectorILb1EtEEZNS1_24adjacent_difference_implIS3_Lb1ELb0EPtS7_N6thrust23THRUST_200600_302600_NS4plusItEEEE10hipError_tPvRmT2_T3_mT4_P12ihipStream_tbEUlT_E_NS1_11comp_targetILNS1_3genE0ELNS1_11target_archE4294967295ELNS1_3gpuE0ELNS1_3repE0EEENS1_30default_config_static_selectorELNS0_4arch9wavefront6targetE0EEEvT1_
                                        ; -- End function
	.section	.AMDGPU.csdata,"",@progbits
; Kernel info:
; codeLenInByte = 0
; NumSgprs: 0
; NumVgprs: 0
; ScratchSize: 0
; MemoryBound: 0
; FloatMode: 240
; IeeeMode: 1
; LDSByteSize: 0 bytes/workgroup (compile time only)
; SGPRBlocks: 0
; VGPRBlocks: 0
; NumSGPRsForWavesPerEU: 1
; NumVGPRsForWavesPerEU: 1
; Occupancy: 16
; WaveLimiterHint : 0
; COMPUTE_PGM_RSRC2:SCRATCH_EN: 0
; COMPUTE_PGM_RSRC2:USER_SGPR: 15
; COMPUTE_PGM_RSRC2:TRAP_HANDLER: 0
; COMPUTE_PGM_RSRC2:TGID_X_EN: 1
; COMPUTE_PGM_RSRC2:TGID_Y_EN: 0
; COMPUTE_PGM_RSRC2:TGID_Z_EN: 0
; COMPUTE_PGM_RSRC2:TIDIG_COMP_CNT: 0
	.section	.text._ZN7rocprim17ROCPRIM_400000_NS6detail17trampoline_kernelINS0_14default_configENS1_35adjacent_difference_config_selectorILb1EtEEZNS1_24adjacent_difference_implIS3_Lb1ELb0EPtS7_N6thrust23THRUST_200600_302600_NS4plusItEEEE10hipError_tPvRmT2_T3_mT4_P12ihipStream_tbEUlT_E_NS1_11comp_targetILNS1_3genE10ELNS1_11target_archE1201ELNS1_3gpuE5ELNS1_3repE0EEENS1_30default_config_static_selectorELNS0_4arch9wavefront6targetE0EEEvT1_,"axG",@progbits,_ZN7rocprim17ROCPRIM_400000_NS6detail17trampoline_kernelINS0_14default_configENS1_35adjacent_difference_config_selectorILb1EtEEZNS1_24adjacent_difference_implIS3_Lb1ELb0EPtS7_N6thrust23THRUST_200600_302600_NS4plusItEEEE10hipError_tPvRmT2_T3_mT4_P12ihipStream_tbEUlT_E_NS1_11comp_targetILNS1_3genE10ELNS1_11target_archE1201ELNS1_3gpuE5ELNS1_3repE0EEENS1_30default_config_static_selectorELNS0_4arch9wavefront6targetE0EEEvT1_,comdat
	.protected	_ZN7rocprim17ROCPRIM_400000_NS6detail17trampoline_kernelINS0_14default_configENS1_35adjacent_difference_config_selectorILb1EtEEZNS1_24adjacent_difference_implIS3_Lb1ELb0EPtS7_N6thrust23THRUST_200600_302600_NS4plusItEEEE10hipError_tPvRmT2_T3_mT4_P12ihipStream_tbEUlT_E_NS1_11comp_targetILNS1_3genE10ELNS1_11target_archE1201ELNS1_3gpuE5ELNS1_3repE0EEENS1_30default_config_static_selectorELNS0_4arch9wavefront6targetE0EEEvT1_ ; -- Begin function _ZN7rocprim17ROCPRIM_400000_NS6detail17trampoline_kernelINS0_14default_configENS1_35adjacent_difference_config_selectorILb1EtEEZNS1_24adjacent_difference_implIS3_Lb1ELb0EPtS7_N6thrust23THRUST_200600_302600_NS4plusItEEEE10hipError_tPvRmT2_T3_mT4_P12ihipStream_tbEUlT_E_NS1_11comp_targetILNS1_3genE10ELNS1_11target_archE1201ELNS1_3gpuE5ELNS1_3repE0EEENS1_30default_config_static_selectorELNS0_4arch9wavefront6targetE0EEEvT1_
	.globl	_ZN7rocprim17ROCPRIM_400000_NS6detail17trampoline_kernelINS0_14default_configENS1_35adjacent_difference_config_selectorILb1EtEEZNS1_24adjacent_difference_implIS3_Lb1ELb0EPtS7_N6thrust23THRUST_200600_302600_NS4plusItEEEE10hipError_tPvRmT2_T3_mT4_P12ihipStream_tbEUlT_E_NS1_11comp_targetILNS1_3genE10ELNS1_11target_archE1201ELNS1_3gpuE5ELNS1_3repE0EEENS1_30default_config_static_selectorELNS0_4arch9wavefront6targetE0EEEvT1_
	.p2align	8
	.type	_ZN7rocprim17ROCPRIM_400000_NS6detail17trampoline_kernelINS0_14default_configENS1_35adjacent_difference_config_selectorILb1EtEEZNS1_24adjacent_difference_implIS3_Lb1ELb0EPtS7_N6thrust23THRUST_200600_302600_NS4plusItEEEE10hipError_tPvRmT2_T3_mT4_P12ihipStream_tbEUlT_E_NS1_11comp_targetILNS1_3genE10ELNS1_11target_archE1201ELNS1_3gpuE5ELNS1_3repE0EEENS1_30default_config_static_selectorELNS0_4arch9wavefront6targetE0EEEvT1_,@function
_ZN7rocprim17ROCPRIM_400000_NS6detail17trampoline_kernelINS0_14default_configENS1_35adjacent_difference_config_selectorILb1EtEEZNS1_24adjacent_difference_implIS3_Lb1ELb0EPtS7_N6thrust23THRUST_200600_302600_NS4plusItEEEE10hipError_tPvRmT2_T3_mT4_P12ihipStream_tbEUlT_E_NS1_11comp_targetILNS1_3genE10ELNS1_11target_archE1201ELNS1_3gpuE5ELNS1_3repE0EEENS1_30default_config_static_selectorELNS0_4arch9wavefront6targetE0EEEvT1_: ; @_ZN7rocprim17ROCPRIM_400000_NS6detail17trampoline_kernelINS0_14default_configENS1_35adjacent_difference_config_selectorILb1EtEEZNS1_24adjacent_difference_implIS3_Lb1ELb0EPtS7_N6thrust23THRUST_200600_302600_NS4plusItEEEE10hipError_tPvRmT2_T3_mT4_P12ihipStream_tbEUlT_E_NS1_11comp_targetILNS1_3genE10ELNS1_11target_archE1201ELNS1_3gpuE5ELNS1_3repE0EEENS1_30default_config_static_selectorELNS0_4arch9wavefront6targetE0EEEvT1_
; %bb.0:
	.section	.rodata,"a",@progbits
	.p2align	6, 0x0
	.amdhsa_kernel _ZN7rocprim17ROCPRIM_400000_NS6detail17trampoline_kernelINS0_14default_configENS1_35adjacent_difference_config_selectorILb1EtEEZNS1_24adjacent_difference_implIS3_Lb1ELb0EPtS7_N6thrust23THRUST_200600_302600_NS4plusItEEEE10hipError_tPvRmT2_T3_mT4_P12ihipStream_tbEUlT_E_NS1_11comp_targetILNS1_3genE10ELNS1_11target_archE1201ELNS1_3gpuE5ELNS1_3repE0EEENS1_30default_config_static_selectorELNS0_4arch9wavefront6targetE0EEEvT1_
		.amdhsa_group_segment_fixed_size 0
		.amdhsa_private_segment_fixed_size 0
		.amdhsa_kernarg_size 56
		.amdhsa_user_sgpr_count 15
		.amdhsa_user_sgpr_dispatch_ptr 0
		.amdhsa_user_sgpr_queue_ptr 0
		.amdhsa_user_sgpr_kernarg_segment_ptr 1
		.amdhsa_user_sgpr_dispatch_id 0
		.amdhsa_user_sgpr_private_segment_size 0
		.amdhsa_wavefront_size32 1
		.amdhsa_uses_dynamic_stack 0
		.amdhsa_enable_private_segment 0
		.amdhsa_system_sgpr_workgroup_id_x 1
		.amdhsa_system_sgpr_workgroup_id_y 0
		.amdhsa_system_sgpr_workgroup_id_z 0
		.amdhsa_system_sgpr_workgroup_info 0
		.amdhsa_system_vgpr_workitem_id 0
		.amdhsa_next_free_vgpr 1
		.amdhsa_next_free_sgpr 1
		.amdhsa_reserve_vcc 0
		.amdhsa_float_round_mode_32 0
		.amdhsa_float_round_mode_16_64 0
		.amdhsa_float_denorm_mode_32 3
		.amdhsa_float_denorm_mode_16_64 3
		.amdhsa_dx10_clamp 1
		.amdhsa_ieee_mode 1
		.amdhsa_fp16_overflow 0
		.amdhsa_workgroup_processor_mode 1
		.amdhsa_memory_ordered 1
		.amdhsa_forward_progress 0
		.amdhsa_shared_vgpr_count 0
		.amdhsa_exception_fp_ieee_invalid_op 0
		.amdhsa_exception_fp_denorm_src 0
		.amdhsa_exception_fp_ieee_div_zero 0
		.amdhsa_exception_fp_ieee_overflow 0
		.amdhsa_exception_fp_ieee_underflow 0
		.amdhsa_exception_fp_ieee_inexact 0
		.amdhsa_exception_int_div_zero 0
	.end_amdhsa_kernel
	.section	.text._ZN7rocprim17ROCPRIM_400000_NS6detail17trampoline_kernelINS0_14default_configENS1_35adjacent_difference_config_selectorILb1EtEEZNS1_24adjacent_difference_implIS3_Lb1ELb0EPtS7_N6thrust23THRUST_200600_302600_NS4plusItEEEE10hipError_tPvRmT2_T3_mT4_P12ihipStream_tbEUlT_E_NS1_11comp_targetILNS1_3genE10ELNS1_11target_archE1201ELNS1_3gpuE5ELNS1_3repE0EEENS1_30default_config_static_selectorELNS0_4arch9wavefront6targetE0EEEvT1_,"axG",@progbits,_ZN7rocprim17ROCPRIM_400000_NS6detail17trampoline_kernelINS0_14default_configENS1_35adjacent_difference_config_selectorILb1EtEEZNS1_24adjacent_difference_implIS3_Lb1ELb0EPtS7_N6thrust23THRUST_200600_302600_NS4plusItEEEE10hipError_tPvRmT2_T3_mT4_P12ihipStream_tbEUlT_E_NS1_11comp_targetILNS1_3genE10ELNS1_11target_archE1201ELNS1_3gpuE5ELNS1_3repE0EEENS1_30default_config_static_selectorELNS0_4arch9wavefront6targetE0EEEvT1_,comdat
.Lfunc_end249:
	.size	_ZN7rocprim17ROCPRIM_400000_NS6detail17trampoline_kernelINS0_14default_configENS1_35adjacent_difference_config_selectorILb1EtEEZNS1_24adjacent_difference_implIS3_Lb1ELb0EPtS7_N6thrust23THRUST_200600_302600_NS4plusItEEEE10hipError_tPvRmT2_T3_mT4_P12ihipStream_tbEUlT_E_NS1_11comp_targetILNS1_3genE10ELNS1_11target_archE1201ELNS1_3gpuE5ELNS1_3repE0EEENS1_30default_config_static_selectorELNS0_4arch9wavefront6targetE0EEEvT1_, .Lfunc_end249-_ZN7rocprim17ROCPRIM_400000_NS6detail17trampoline_kernelINS0_14default_configENS1_35adjacent_difference_config_selectorILb1EtEEZNS1_24adjacent_difference_implIS3_Lb1ELb0EPtS7_N6thrust23THRUST_200600_302600_NS4plusItEEEE10hipError_tPvRmT2_T3_mT4_P12ihipStream_tbEUlT_E_NS1_11comp_targetILNS1_3genE10ELNS1_11target_archE1201ELNS1_3gpuE5ELNS1_3repE0EEENS1_30default_config_static_selectorELNS0_4arch9wavefront6targetE0EEEvT1_
                                        ; -- End function
	.section	.AMDGPU.csdata,"",@progbits
; Kernel info:
; codeLenInByte = 0
; NumSgprs: 0
; NumVgprs: 0
; ScratchSize: 0
; MemoryBound: 0
; FloatMode: 240
; IeeeMode: 1
; LDSByteSize: 0 bytes/workgroup (compile time only)
; SGPRBlocks: 0
; VGPRBlocks: 0
; NumSGPRsForWavesPerEU: 1
; NumVGPRsForWavesPerEU: 1
; Occupancy: 16
; WaveLimiterHint : 0
; COMPUTE_PGM_RSRC2:SCRATCH_EN: 0
; COMPUTE_PGM_RSRC2:USER_SGPR: 15
; COMPUTE_PGM_RSRC2:TRAP_HANDLER: 0
; COMPUTE_PGM_RSRC2:TGID_X_EN: 1
; COMPUTE_PGM_RSRC2:TGID_Y_EN: 0
; COMPUTE_PGM_RSRC2:TGID_Z_EN: 0
; COMPUTE_PGM_RSRC2:TIDIG_COMP_CNT: 0
	.section	.text._ZN7rocprim17ROCPRIM_400000_NS6detail17trampoline_kernelINS0_14default_configENS1_35adjacent_difference_config_selectorILb1EtEEZNS1_24adjacent_difference_implIS3_Lb1ELb0EPtS7_N6thrust23THRUST_200600_302600_NS4plusItEEEE10hipError_tPvRmT2_T3_mT4_P12ihipStream_tbEUlT_E_NS1_11comp_targetILNS1_3genE5ELNS1_11target_archE942ELNS1_3gpuE9ELNS1_3repE0EEENS1_30default_config_static_selectorELNS0_4arch9wavefront6targetE0EEEvT1_,"axG",@progbits,_ZN7rocprim17ROCPRIM_400000_NS6detail17trampoline_kernelINS0_14default_configENS1_35adjacent_difference_config_selectorILb1EtEEZNS1_24adjacent_difference_implIS3_Lb1ELb0EPtS7_N6thrust23THRUST_200600_302600_NS4plusItEEEE10hipError_tPvRmT2_T3_mT4_P12ihipStream_tbEUlT_E_NS1_11comp_targetILNS1_3genE5ELNS1_11target_archE942ELNS1_3gpuE9ELNS1_3repE0EEENS1_30default_config_static_selectorELNS0_4arch9wavefront6targetE0EEEvT1_,comdat
	.protected	_ZN7rocprim17ROCPRIM_400000_NS6detail17trampoline_kernelINS0_14default_configENS1_35adjacent_difference_config_selectorILb1EtEEZNS1_24adjacent_difference_implIS3_Lb1ELb0EPtS7_N6thrust23THRUST_200600_302600_NS4plusItEEEE10hipError_tPvRmT2_T3_mT4_P12ihipStream_tbEUlT_E_NS1_11comp_targetILNS1_3genE5ELNS1_11target_archE942ELNS1_3gpuE9ELNS1_3repE0EEENS1_30default_config_static_selectorELNS0_4arch9wavefront6targetE0EEEvT1_ ; -- Begin function _ZN7rocprim17ROCPRIM_400000_NS6detail17trampoline_kernelINS0_14default_configENS1_35adjacent_difference_config_selectorILb1EtEEZNS1_24adjacent_difference_implIS3_Lb1ELb0EPtS7_N6thrust23THRUST_200600_302600_NS4plusItEEEE10hipError_tPvRmT2_T3_mT4_P12ihipStream_tbEUlT_E_NS1_11comp_targetILNS1_3genE5ELNS1_11target_archE942ELNS1_3gpuE9ELNS1_3repE0EEENS1_30default_config_static_selectorELNS0_4arch9wavefront6targetE0EEEvT1_
	.globl	_ZN7rocprim17ROCPRIM_400000_NS6detail17trampoline_kernelINS0_14default_configENS1_35adjacent_difference_config_selectorILb1EtEEZNS1_24adjacent_difference_implIS3_Lb1ELb0EPtS7_N6thrust23THRUST_200600_302600_NS4plusItEEEE10hipError_tPvRmT2_T3_mT4_P12ihipStream_tbEUlT_E_NS1_11comp_targetILNS1_3genE5ELNS1_11target_archE942ELNS1_3gpuE9ELNS1_3repE0EEENS1_30default_config_static_selectorELNS0_4arch9wavefront6targetE0EEEvT1_
	.p2align	8
	.type	_ZN7rocprim17ROCPRIM_400000_NS6detail17trampoline_kernelINS0_14default_configENS1_35adjacent_difference_config_selectorILb1EtEEZNS1_24adjacent_difference_implIS3_Lb1ELb0EPtS7_N6thrust23THRUST_200600_302600_NS4plusItEEEE10hipError_tPvRmT2_T3_mT4_P12ihipStream_tbEUlT_E_NS1_11comp_targetILNS1_3genE5ELNS1_11target_archE942ELNS1_3gpuE9ELNS1_3repE0EEENS1_30default_config_static_selectorELNS0_4arch9wavefront6targetE0EEEvT1_,@function
_ZN7rocprim17ROCPRIM_400000_NS6detail17trampoline_kernelINS0_14default_configENS1_35adjacent_difference_config_selectorILb1EtEEZNS1_24adjacent_difference_implIS3_Lb1ELb0EPtS7_N6thrust23THRUST_200600_302600_NS4plusItEEEE10hipError_tPvRmT2_T3_mT4_P12ihipStream_tbEUlT_E_NS1_11comp_targetILNS1_3genE5ELNS1_11target_archE942ELNS1_3gpuE9ELNS1_3repE0EEENS1_30default_config_static_selectorELNS0_4arch9wavefront6targetE0EEEvT1_: ; @_ZN7rocprim17ROCPRIM_400000_NS6detail17trampoline_kernelINS0_14default_configENS1_35adjacent_difference_config_selectorILb1EtEEZNS1_24adjacent_difference_implIS3_Lb1ELb0EPtS7_N6thrust23THRUST_200600_302600_NS4plusItEEEE10hipError_tPvRmT2_T3_mT4_P12ihipStream_tbEUlT_E_NS1_11comp_targetILNS1_3genE5ELNS1_11target_archE942ELNS1_3gpuE9ELNS1_3repE0EEENS1_30default_config_static_selectorELNS0_4arch9wavefront6targetE0EEEvT1_
; %bb.0:
	.section	.rodata,"a",@progbits
	.p2align	6, 0x0
	.amdhsa_kernel _ZN7rocprim17ROCPRIM_400000_NS6detail17trampoline_kernelINS0_14default_configENS1_35adjacent_difference_config_selectorILb1EtEEZNS1_24adjacent_difference_implIS3_Lb1ELb0EPtS7_N6thrust23THRUST_200600_302600_NS4plusItEEEE10hipError_tPvRmT2_T3_mT4_P12ihipStream_tbEUlT_E_NS1_11comp_targetILNS1_3genE5ELNS1_11target_archE942ELNS1_3gpuE9ELNS1_3repE0EEENS1_30default_config_static_selectorELNS0_4arch9wavefront6targetE0EEEvT1_
		.amdhsa_group_segment_fixed_size 0
		.amdhsa_private_segment_fixed_size 0
		.amdhsa_kernarg_size 56
		.amdhsa_user_sgpr_count 15
		.amdhsa_user_sgpr_dispatch_ptr 0
		.amdhsa_user_sgpr_queue_ptr 0
		.amdhsa_user_sgpr_kernarg_segment_ptr 1
		.amdhsa_user_sgpr_dispatch_id 0
		.amdhsa_user_sgpr_private_segment_size 0
		.amdhsa_wavefront_size32 1
		.amdhsa_uses_dynamic_stack 0
		.amdhsa_enable_private_segment 0
		.amdhsa_system_sgpr_workgroup_id_x 1
		.amdhsa_system_sgpr_workgroup_id_y 0
		.amdhsa_system_sgpr_workgroup_id_z 0
		.amdhsa_system_sgpr_workgroup_info 0
		.amdhsa_system_vgpr_workitem_id 0
		.amdhsa_next_free_vgpr 1
		.amdhsa_next_free_sgpr 1
		.amdhsa_reserve_vcc 0
		.amdhsa_float_round_mode_32 0
		.amdhsa_float_round_mode_16_64 0
		.amdhsa_float_denorm_mode_32 3
		.amdhsa_float_denorm_mode_16_64 3
		.amdhsa_dx10_clamp 1
		.amdhsa_ieee_mode 1
		.amdhsa_fp16_overflow 0
		.amdhsa_workgroup_processor_mode 1
		.amdhsa_memory_ordered 1
		.amdhsa_forward_progress 0
		.amdhsa_shared_vgpr_count 0
		.amdhsa_exception_fp_ieee_invalid_op 0
		.amdhsa_exception_fp_denorm_src 0
		.amdhsa_exception_fp_ieee_div_zero 0
		.amdhsa_exception_fp_ieee_overflow 0
		.amdhsa_exception_fp_ieee_underflow 0
		.amdhsa_exception_fp_ieee_inexact 0
		.amdhsa_exception_int_div_zero 0
	.end_amdhsa_kernel
	.section	.text._ZN7rocprim17ROCPRIM_400000_NS6detail17trampoline_kernelINS0_14default_configENS1_35adjacent_difference_config_selectorILb1EtEEZNS1_24adjacent_difference_implIS3_Lb1ELb0EPtS7_N6thrust23THRUST_200600_302600_NS4plusItEEEE10hipError_tPvRmT2_T3_mT4_P12ihipStream_tbEUlT_E_NS1_11comp_targetILNS1_3genE5ELNS1_11target_archE942ELNS1_3gpuE9ELNS1_3repE0EEENS1_30default_config_static_selectorELNS0_4arch9wavefront6targetE0EEEvT1_,"axG",@progbits,_ZN7rocprim17ROCPRIM_400000_NS6detail17trampoline_kernelINS0_14default_configENS1_35adjacent_difference_config_selectorILb1EtEEZNS1_24adjacent_difference_implIS3_Lb1ELb0EPtS7_N6thrust23THRUST_200600_302600_NS4plusItEEEE10hipError_tPvRmT2_T3_mT4_P12ihipStream_tbEUlT_E_NS1_11comp_targetILNS1_3genE5ELNS1_11target_archE942ELNS1_3gpuE9ELNS1_3repE0EEENS1_30default_config_static_selectorELNS0_4arch9wavefront6targetE0EEEvT1_,comdat
.Lfunc_end250:
	.size	_ZN7rocprim17ROCPRIM_400000_NS6detail17trampoline_kernelINS0_14default_configENS1_35adjacent_difference_config_selectorILb1EtEEZNS1_24adjacent_difference_implIS3_Lb1ELb0EPtS7_N6thrust23THRUST_200600_302600_NS4plusItEEEE10hipError_tPvRmT2_T3_mT4_P12ihipStream_tbEUlT_E_NS1_11comp_targetILNS1_3genE5ELNS1_11target_archE942ELNS1_3gpuE9ELNS1_3repE0EEENS1_30default_config_static_selectorELNS0_4arch9wavefront6targetE0EEEvT1_, .Lfunc_end250-_ZN7rocprim17ROCPRIM_400000_NS6detail17trampoline_kernelINS0_14default_configENS1_35adjacent_difference_config_selectorILb1EtEEZNS1_24adjacent_difference_implIS3_Lb1ELb0EPtS7_N6thrust23THRUST_200600_302600_NS4plusItEEEE10hipError_tPvRmT2_T3_mT4_P12ihipStream_tbEUlT_E_NS1_11comp_targetILNS1_3genE5ELNS1_11target_archE942ELNS1_3gpuE9ELNS1_3repE0EEENS1_30default_config_static_selectorELNS0_4arch9wavefront6targetE0EEEvT1_
                                        ; -- End function
	.section	.AMDGPU.csdata,"",@progbits
; Kernel info:
; codeLenInByte = 0
; NumSgprs: 0
; NumVgprs: 0
; ScratchSize: 0
; MemoryBound: 0
; FloatMode: 240
; IeeeMode: 1
; LDSByteSize: 0 bytes/workgroup (compile time only)
; SGPRBlocks: 0
; VGPRBlocks: 0
; NumSGPRsForWavesPerEU: 1
; NumVGPRsForWavesPerEU: 1
; Occupancy: 16
; WaveLimiterHint : 0
; COMPUTE_PGM_RSRC2:SCRATCH_EN: 0
; COMPUTE_PGM_RSRC2:USER_SGPR: 15
; COMPUTE_PGM_RSRC2:TRAP_HANDLER: 0
; COMPUTE_PGM_RSRC2:TGID_X_EN: 1
; COMPUTE_PGM_RSRC2:TGID_Y_EN: 0
; COMPUTE_PGM_RSRC2:TGID_Z_EN: 0
; COMPUTE_PGM_RSRC2:TIDIG_COMP_CNT: 0
	.section	.text._ZN7rocprim17ROCPRIM_400000_NS6detail17trampoline_kernelINS0_14default_configENS1_35adjacent_difference_config_selectorILb1EtEEZNS1_24adjacent_difference_implIS3_Lb1ELb0EPtS7_N6thrust23THRUST_200600_302600_NS4plusItEEEE10hipError_tPvRmT2_T3_mT4_P12ihipStream_tbEUlT_E_NS1_11comp_targetILNS1_3genE4ELNS1_11target_archE910ELNS1_3gpuE8ELNS1_3repE0EEENS1_30default_config_static_selectorELNS0_4arch9wavefront6targetE0EEEvT1_,"axG",@progbits,_ZN7rocprim17ROCPRIM_400000_NS6detail17trampoline_kernelINS0_14default_configENS1_35adjacent_difference_config_selectorILb1EtEEZNS1_24adjacent_difference_implIS3_Lb1ELb0EPtS7_N6thrust23THRUST_200600_302600_NS4plusItEEEE10hipError_tPvRmT2_T3_mT4_P12ihipStream_tbEUlT_E_NS1_11comp_targetILNS1_3genE4ELNS1_11target_archE910ELNS1_3gpuE8ELNS1_3repE0EEENS1_30default_config_static_selectorELNS0_4arch9wavefront6targetE0EEEvT1_,comdat
	.protected	_ZN7rocprim17ROCPRIM_400000_NS6detail17trampoline_kernelINS0_14default_configENS1_35adjacent_difference_config_selectorILb1EtEEZNS1_24adjacent_difference_implIS3_Lb1ELb0EPtS7_N6thrust23THRUST_200600_302600_NS4plusItEEEE10hipError_tPvRmT2_T3_mT4_P12ihipStream_tbEUlT_E_NS1_11comp_targetILNS1_3genE4ELNS1_11target_archE910ELNS1_3gpuE8ELNS1_3repE0EEENS1_30default_config_static_selectorELNS0_4arch9wavefront6targetE0EEEvT1_ ; -- Begin function _ZN7rocprim17ROCPRIM_400000_NS6detail17trampoline_kernelINS0_14default_configENS1_35adjacent_difference_config_selectorILb1EtEEZNS1_24adjacent_difference_implIS3_Lb1ELb0EPtS7_N6thrust23THRUST_200600_302600_NS4plusItEEEE10hipError_tPvRmT2_T3_mT4_P12ihipStream_tbEUlT_E_NS1_11comp_targetILNS1_3genE4ELNS1_11target_archE910ELNS1_3gpuE8ELNS1_3repE0EEENS1_30default_config_static_selectorELNS0_4arch9wavefront6targetE0EEEvT1_
	.globl	_ZN7rocprim17ROCPRIM_400000_NS6detail17trampoline_kernelINS0_14default_configENS1_35adjacent_difference_config_selectorILb1EtEEZNS1_24adjacent_difference_implIS3_Lb1ELb0EPtS7_N6thrust23THRUST_200600_302600_NS4plusItEEEE10hipError_tPvRmT2_T3_mT4_P12ihipStream_tbEUlT_E_NS1_11comp_targetILNS1_3genE4ELNS1_11target_archE910ELNS1_3gpuE8ELNS1_3repE0EEENS1_30default_config_static_selectorELNS0_4arch9wavefront6targetE0EEEvT1_
	.p2align	8
	.type	_ZN7rocprim17ROCPRIM_400000_NS6detail17trampoline_kernelINS0_14default_configENS1_35adjacent_difference_config_selectorILb1EtEEZNS1_24adjacent_difference_implIS3_Lb1ELb0EPtS7_N6thrust23THRUST_200600_302600_NS4plusItEEEE10hipError_tPvRmT2_T3_mT4_P12ihipStream_tbEUlT_E_NS1_11comp_targetILNS1_3genE4ELNS1_11target_archE910ELNS1_3gpuE8ELNS1_3repE0EEENS1_30default_config_static_selectorELNS0_4arch9wavefront6targetE0EEEvT1_,@function
_ZN7rocprim17ROCPRIM_400000_NS6detail17trampoline_kernelINS0_14default_configENS1_35adjacent_difference_config_selectorILb1EtEEZNS1_24adjacent_difference_implIS3_Lb1ELb0EPtS7_N6thrust23THRUST_200600_302600_NS4plusItEEEE10hipError_tPvRmT2_T3_mT4_P12ihipStream_tbEUlT_E_NS1_11comp_targetILNS1_3genE4ELNS1_11target_archE910ELNS1_3gpuE8ELNS1_3repE0EEENS1_30default_config_static_selectorELNS0_4arch9wavefront6targetE0EEEvT1_: ; @_ZN7rocprim17ROCPRIM_400000_NS6detail17trampoline_kernelINS0_14default_configENS1_35adjacent_difference_config_selectorILb1EtEEZNS1_24adjacent_difference_implIS3_Lb1ELb0EPtS7_N6thrust23THRUST_200600_302600_NS4plusItEEEE10hipError_tPvRmT2_T3_mT4_P12ihipStream_tbEUlT_E_NS1_11comp_targetILNS1_3genE4ELNS1_11target_archE910ELNS1_3gpuE8ELNS1_3repE0EEENS1_30default_config_static_selectorELNS0_4arch9wavefront6targetE0EEEvT1_
; %bb.0:
	.section	.rodata,"a",@progbits
	.p2align	6, 0x0
	.amdhsa_kernel _ZN7rocprim17ROCPRIM_400000_NS6detail17trampoline_kernelINS0_14default_configENS1_35adjacent_difference_config_selectorILb1EtEEZNS1_24adjacent_difference_implIS3_Lb1ELb0EPtS7_N6thrust23THRUST_200600_302600_NS4plusItEEEE10hipError_tPvRmT2_T3_mT4_P12ihipStream_tbEUlT_E_NS1_11comp_targetILNS1_3genE4ELNS1_11target_archE910ELNS1_3gpuE8ELNS1_3repE0EEENS1_30default_config_static_selectorELNS0_4arch9wavefront6targetE0EEEvT1_
		.amdhsa_group_segment_fixed_size 0
		.amdhsa_private_segment_fixed_size 0
		.amdhsa_kernarg_size 56
		.amdhsa_user_sgpr_count 15
		.amdhsa_user_sgpr_dispatch_ptr 0
		.amdhsa_user_sgpr_queue_ptr 0
		.amdhsa_user_sgpr_kernarg_segment_ptr 1
		.amdhsa_user_sgpr_dispatch_id 0
		.amdhsa_user_sgpr_private_segment_size 0
		.amdhsa_wavefront_size32 1
		.amdhsa_uses_dynamic_stack 0
		.amdhsa_enable_private_segment 0
		.amdhsa_system_sgpr_workgroup_id_x 1
		.amdhsa_system_sgpr_workgroup_id_y 0
		.amdhsa_system_sgpr_workgroup_id_z 0
		.amdhsa_system_sgpr_workgroup_info 0
		.amdhsa_system_vgpr_workitem_id 0
		.amdhsa_next_free_vgpr 1
		.amdhsa_next_free_sgpr 1
		.amdhsa_reserve_vcc 0
		.amdhsa_float_round_mode_32 0
		.amdhsa_float_round_mode_16_64 0
		.amdhsa_float_denorm_mode_32 3
		.amdhsa_float_denorm_mode_16_64 3
		.amdhsa_dx10_clamp 1
		.amdhsa_ieee_mode 1
		.amdhsa_fp16_overflow 0
		.amdhsa_workgroup_processor_mode 1
		.amdhsa_memory_ordered 1
		.amdhsa_forward_progress 0
		.amdhsa_shared_vgpr_count 0
		.amdhsa_exception_fp_ieee_invalid_op 0
		.amdhsa_exception_fp_denorm_src 0
		.amdhsa_exception_fp_ieee_div_zero 0
		.amdhsa_exception_fp_ieee_overflow 0
		.amdhsa_exception_fp_ieee_underflow 0
		.amdhsa_exception_fp_ieee_inexact 0
		.amdhsa_exception_int_div_zero 0
	.end_amdhsa_kernel
	.section	.text._ZN7rocprim17ROCPRIM_400000_NS6detail17trampoline_kernelINS0_14default_configENS1_35adjacent_difference_config_selectorILb1EtEEZNS1_24adjacent_difference_implIS3_Lb1ELb0EPtS7_N6thrust23THRUST_200600_302600_NS4plusItEEEE10hipError_tPvRmT2_T3_mT4_P12ihipStream_tbEUlT_E_NS1_11comp_targetILNS1_3genE4ELNS1_11target_archE910ELNS1_3gpuE8ELNS1_3repE0EEENS1_30default_config_static_selectorELNS0_4arch9wavefront6targetE0EEEvT1_,"axG",@progbits,_ZN7rocprim17ROCPRIM_400000_NS6detail17trampoline_kernelINS0_14default_configENS1_35adjacent_difference_config_selectorILb1EtEEZNS1_24adjacent_difference_implIS3_Lb1ELb0EPtS7_N6thrust23THRUST_200600_302600_NS4plusItEEEE10hipError_tPvRmT2_T3_mT4_P12ihipStream_tbEUlT_E_NS1_11comp_targetILNS1_3genE4ELNS1_11target_archE910ELNS1_3gpuE8ELNS1_3repE0EEENS1_30default_config_static_selectorELNS0_4arch9wavefront6targetE0EEEvT1_,comdat
.Lfunc_end251:
	.size	_ZN7rocprim17ROCPRIM_400000_NS6detail17trampoline_kernelINS0_14default_configENS1_35adjacent_difference_config_selectorILb1EtEEZNS1_24adjacent_difference_implIS3_Lb1ELb0EPtS7_N6thrust23THRUST_200600_302600_NS4plusItEEEE10hipError_tPvRmT2_T3_mT4_P12ihipStream_tbEUlT_E_NS1_11comp_targetILNS1_3genE4ELNS1_11target_archE910ELNS1_3gpuE8ELNS1_3repE0EEENS1_30default_config_static_selectorELNS0_4arch9wavefront6targetE0EEEvT1_, .Lfunc_end251-_ZN7rocprim17ROCPRIM_400000_NS6detail17trampoline_kernelINS0_14default_configENS1_35adjacent_difference_config_selectorILb1EtEEZNS1_24adjacent_difference_implIS3_Lb1ELb0EPtS7_N6thrust23THRUST_200600_302600_NS4plusItEEEE10hipError_tPvRmT2_T3_mT4_P12ihipStream_tbEUlT_E_NS1_11comp_targetILNS1_3genE4ELNS1_11target_archE910ELNS1_3gpuE8ELNS1_3repE0EEENS1_30default_config_static_selectorELNS0_4arch9wavefront6targetE0EEEvT1_
                                        ; -- End function
	.section	.AMDGPU.csdata,"",@progbits
; Kernel info:
; codeLenInByte = 0
; NumSgprs: 0
; NumVgprs: 0
; ScratchSize: 0
; MemoryBound: 0
; FloatMode: 240
; IeeeMode: 1
; LDSByteSize: 0 bytes/workgroup (compile time only)
; SGPRBlocks: 0
; VGPRBlocks: 0
; NumSGPRsForWavesPerEU: 1
; NumVGPRsForWavesPerEU: 1
; Occupancy: 16
; WaveLimiterHint : 0
; COMPUTE_PGM_RSRC2:SCRATCH_EN: 0
; COMPUTE_PGM_RSRC2:USER_SGPR: 15
; COMPUTE_PGM_RSRC2:TRAP_HANDLER: 0
; COMPUTE_PGM_RSRC2:TGID_X_EN: 1
; COMPUTE_PGM_RSRC2:TGID_Y_EN: 0
; COMPUTE_PGM_RSRC2:TGID_Z_EN: 0
; COMPUTE_PGM_RSRC2:TIDIG_COMP_CNT: 0
	.section	.text._ZN7rocprim17ROCPRIM_400000_NS6detail17trampoline_kernelINS0_14default_configENS1_35adjacent_difference_config_selectorILb1EtEEZNS1_24adjacent_difference_implIS3_Lb1ELb0EPtS7_N6thrust23THRUST_200600_302600_NS4plusItEEEE10hipError_tPvRmT2_T3_mT4_P12ihipStream_tbEUlT_E_NS1_11comp_targetILNS1_3genE3ELNS1_11target_archE908ELNS1_3gpuE7ELNS1_3repE0EEENS1_30default_config_static_selectorELNS0_4arch9wavefront6targetE0EEEvT1_,"axG",@progbits,_ZN7rocprim17ROCPRIM_400000_NS6detail17trampoline_kernelINS0_14default_configENS1_35adjacent_difference_config_selectorILb1EtEEZNS1_24adjacent_difference_implIS3_Lb1ELb0EPtS7_N6thrust23THRUST_200600_302600_NS4plusItEEEE10hipError_tPvRmT2_T3_mT4_P12ihipStream_tbEUlT_E_NS1_11comp_targetILNS1_3genE3ELNS1_11target_archE908ELNS1_3gpuE7ELNS1_3repE0EEENS1_30default_config_static_selectorELNS0_4arch9wavefront6targetE0EEEvT1_,comdat
	.protected	_ZN7rocprim17ROCPRIM_400000_NS6detail17trampoline_kernelINS0_14default_configENS1_35adjacent_difference_config_selectorILb1EtEEZNS1_24adjacent_difference_implIS3_Lb1ELb0EPtS7_N6thrust23THRUST_200600_302600_NS4plusItEEEE10hipError_tPvRmT2_T3_mT4_P12ihipStream_tbEUlT_E_NS1_11comp_targetILNS1_3genE3ELNS1_11target_archE908ELNS1_3gpuE7ELNS1_3repE0EEENS1_30default_config_static_selectorELNS0_4arch9wavefront6targetE0EEEvT1_ ; -- Begin function _ZN7rocprim17ROCPRIM_400000_NS6detail17trampoline_kernelINS0_14default_configENS1_35adjacent_difference_config_selectorILb1EtEEZNS1_24adjacent_difference_implIS3_Lb1ELb0EPtS7_N6thrust23THRUST_200600_302600_NS4plusItEEEE10hipError_tPvRmT2_T3_mT4_P12ihipStream_tbEUlT_E_NS1_11comp_targetILNS1_3genE3ELNS1_11target_archE908ELNS1_3gpuE7ELNS1_3repE0EEENS1_30default_config_static_selectorELNS0_4arch9wavefront6targetE0EEEvT1_
	.globl	_ZN7rocprim17ROCPRIM_400000_NS6detail17trampoline_kernelINS0_14default_configENS1_35adjacent_difference_config_selectorILb1EtEEZNS1_24adjacent_difference_implIS3_Lb1ELb0EPtS7_N6thrust23THRUST_200600_302600_NS4plusItEEEE10hipError_tPvRmT2_T3_mT4_P12ihipStream_tbEUlT_E_NS1_11comp_targetILNS1_3genE3ELNS1_11target_archE908ELNS1_3gpuE7ELNS1_3repE0EEENS1_30default_config_static_selectorELNS0_4arch9wavefront6targetE0EEEvT1_
	.p2align	8
	.type	_ZN7rocprim17ROCPRIM_400000_NS6detail17trampoline_kernelINS0_14default_configENS1_35adjacent_difference_config_selectorILb1EtEEZNS1_24adjacent_difference_implIS3_Lb1ELb0EPtS7_N6thrust23THRUST_200600_302600_NS4plusItEEEE10hipError_tPvRmT2_T3_mT4_P12ihipStream_tbEUlT_E_NS1_11comp_targetILNS1_3genE3ELNS1_11target_archE908ELNS1_3gpuE7ELNS1_3repE0EEENS1_30default_config_static_selectorELNS0_4arch9wavefront6targetE0EEEvT1_,@function
_ZN7rocprim17ROCPRIM_400000_NS6detail17trampoline_kernelINS0_14default_configENS1_35adjacent_difference_config_selectorILb1EtEEZNS1_24adjacent_difference_implIS3_Lb1ELb0EPtS7_N6thrust23THRUST_200600_302600_NS4plusItEEEE10hipError_tPvRmT2_T3_mT4_P12ihipStream_tbEUlT_E_NS1_11comp_targetILNS1_3genE3ELNS1_11target_archE908ELNS1_3gpuE7ELNS1_3repE0EEENS1_30default_config_static_selectorELNS0_4arch9wavefront6targetE0EEEvT1_: ; @_ZN7rocprim17ROCPRIM_400000_NS6detail17trampoline_kernelINS0_14default_configENS1_35adjacent_difference_config_selectorILb1EtEEZNS1_24adjacent_difference_implIS3_Lb1ELb0EPtS7_N6thrust23THRUST_200600_302600_NS4plusItEEEE10hipError_tPvRmT2_T3_mT4_P12ihipStream_tbEUlT_E_NS1_11comp_targetILNS1_3genE3ELNS1_11target_archE908ELNS1_3gpuE7ELNS1_3repE0EEENS1_30default_config_static_selectorELNS0_4arch9wavefront6targetE0EEEvT1_
; %bb.0:
	.section	.rodata,"a",@progbits
	.p2align	6, 0x0
	.amdhsa_kernel _ZN7rocprim17ROCPRIM_400000_NS6detail17trampoline_kernelINS0_14default_configENS1_35adjacent_difference_config_selectorILb1EtEEZNS1_24adjacent_difference_implIS3_Lb1ELb0EPtS7_N6thrust23THRUST_200600_302600_NS4plusItEEEE10hipError_tPvRmT2_T3_mT4_P12ihipStream_tbEUlT_E_NS1_11comp_targetILNS1_3genE3ELNS1_11target_archE908ELNS1_3gpuE7ELNS1_3repE0EEENS1_30default_config_static_selectorELNS0_4arch9wavefront6targetE0EEEvT1_
		.amdhsa_group_segment_fixed_size 0
		.amdhsa_private_segment_fixed_size 0
		.amdhsa_kernarg_size 56
		.amdhsa_user_sgpr_count 15
		.amdhsa_user_sgpr_dispatch_ptr 0
		.amdhsa_user_sgpr_queue_ptr 0
		.amdhsa_user_sgpr_kernarg_segment_ptr 1
		.amdhsa_user_sgpr_dispatch_id 0
		.amdhsa_user_sgpr_private_segment_size 0
		.amdhsa_wavefront_size32 1
		.amdhsa_uses_dynamic_stack 0
		.amdhsa_enable_private_segment 0
		.amdhsa_system_sgpr_workgroup_id_x 1
		.amdhsa_system_sgpr_workgroup_id_y 0
		.amdhsa_system_sgpr_workgroup_id_z 0
		.amdhsa_system_sgpr_workgroup_info 0
		.amdhsa_system_vgpr_workitem_id 0
		.amdhsa_next_free_vgpr 1
		.amdhsa_next_free_sgpr 1
		.amdhsa_reserve_vcc 0
		.amdhsa_float_round_mode_32 0
		.amdhsa_float_round_mode_16_64 0
		.amdhsa_float_denorm_mode_32 3
		.amdhsa_float_denorm_mode_16_64 3
		.amdhsa_dx10_clamp 1
		.amdhsa_ieee_mode 1
		.amdhsa_fp16_overflow 0
		.amdhsa_workgroup_processor_mode 1
		.amdhsa_memory_ordered 1
		.amdhsa_forward_progress 0
		.amdhsa_shared_vgpr_count 0
		.amdhsa_exception_fp_ieee_invalid_op 0
		.amdhsa_exception_fp_denorm_src 0
		.amdhsa_exception_fp_ieee_div_zero 0
		.amdhsa_exception_fp_ieee_overflow 0
		.amdhsa_exception_fp_ieee_underflow 0
		.amdhsa_exception_fp_ieee_inexact 0
		.amdhsa_exception_int_div_zero 0
	.end_amdhsa_kernel
	.section	.text._ZN7rocprim17ROCPRIM_400000_NS6detail17trampoline_kernelINS0_14default_configENS1_35adjacent_difference_config_selectorILb1EtEEZNS1_24adjacent_difference_implIS3_Lb1ELb0EPtS7_N6thrust23THRUST_200600_302600_NS4plusItEEEE10hipError_tPvRmT2_T3_mT4_P12ihipStream_tbEUlT_E_NS1_11comp_targetILNS1_3genE3ELNS1_11target_archE908ELNS1_3gpuE7ELNS1_3repE0EEENS1_30default_config_static_selectorELNS0_4arch9wavefront6targetE0EEEvT1_,"axG",@progbits,_ZN7rocprim17ROCPRIM_400000_NS6detail17trampoline_kernelINS0_14default_configENS1_35adjacent_difference_config_selectorILb1EtEEZNS1_24adjacent_difference_implIS3_Lb1ELb0EPtS7_N6thrust23THRUST_200600_302600_NS4plusItEEEE10hipError_tPvRmT2_T3_mT4_P12ihipStream_tbEUlT_E_NS1_11comp_targetILNS1_3genE3ELNS1_11target_archE908ELNS1_3gpuE7ELNS1_3repE0EEENS1_30default_config_static_selectorELNS0_4arch9wavefront6targetE0EEEvT1_,comdat
.Lfunc_end252:
	.size	_ZN7rocprim17ROCPRIM_400000_NS6detail17trampoline_kernelINS0_14default_configENS1_35adjacent_difference_config_selectorILb1EtEEZNS1_24adjacent_difference_implIS3_Lb1ELb0EPtS7_N6thrust23THRUST_200600_302600_NS4plusItEEEE10hipError_tPvRmT2_T3_mT4_P12ihipStream_tbEUlT_E_NS1_11comp_targetILNS1_3genE3ELNS1_11target_archE908ELNS1_3gpuE7ELNS1_3repE0EEENS1_30default_config_static_selectorELNS0_4arch9wavefront6targetE0EEEvT1_, .Lfunc_end252-_ZN7rocprim17ROCPRIM_400000_NS6detail17trampoline_kernelINS0_14default_configENS1_35adjacent_difference_config_selectorILb1EtEEZNS1_24adjacent_difference_implIS3_Lb1ELb0EPtS7_N6thrust23THRUST_200600_302600_NS4plusItEEEE10hipError_tPvRmT2_T3_mT4_P12ihipStream_tbEUlT_E_NS1_11comp_targetILNS1_3genE3ELNS1_11target_archE908ELNS1_3gpuE7ELNS1_3repE0EEENS1_30default_config_static_selectorELNS0_4arch9wavefront6targetE0EEEvT1_
                                        ; -- End function
	.section	.AMDGPU.csdata,"",@progbits
; Kernel info:
; codeLenInByte = 0
; NumSgprs: 0
; NumVgprs: 0
; ScratchSize: 0
; MemoryBound: 0
; FloatMode: 240
; IeeeMode: 1
; LDSByteSize: 0 bytes/workgroup (compile time only)
; SGPRBlocks: 0
; VGPRBlocks: 0
; NumSGPRsForWavesPerEU: 1
; NumVGPRsForWavesPerEU: 1
; Occupancy: 16
; WaveLimiterHint : 0
; COMPUTE_PGM_RSRC2:SCRATCH_EN: 0
; COMPUTE_PGM_RSRC2:USER_SGPR: 15
; COMPUTE_PGM_RSRC2:TRAP_HANDLER: 0
; COMPUTE_PGM_RSRC2:TGID_X_EN: 1
; COMPUTE_PGM_RSRC2:TGID_Y_EN: 0
; COMPUTE_PGM_RSRC2:TGID_Z_EN: 0
; COMPUTE_PGM_RSRC2:TIDIG_COMP_CNT: 0
	.section	.text._ZN7rocprim17ROCPRIM_400000_NS6detail17trampoline_kernelINS0_14default_configENS1_35adjacent_difference_config_selectorILb1EtEEZNS1_24adjacent_difference_implIS3_Lb1ELb0EPtS7_N6thrust23THRUST_200600_302600_NS4plusItEEEE10hipError_tPvRmT2_T3_mT4_P12ihipStream_tbEUlT_E_NS1_11comp_targetILNS1_3genE2ELNS1_11target_archE906ELNS1_3gpuE6ELNS1_3repE0EEENS1_30default_config_static_selectorELNS0_4arch9wavefront6targetE0EEEvT1_,"axG",@progbits,_ZN7rocprim17ROCPRIM_400000_NS6detail17trampoline_kernelINS0_14default_configENS1_35adjacent_difference_config_selectorILb1EtEEZNS1_24adjacent_difference_implIS3_Lb1ELb0EPtS7_N6thrust23THRUST_200600_302600_NS4plusItEEEE10hipError_tPvRmT2_T3_mT4_P12ihipStream_tbEUlT_E_NS1_11comp_targetILNS1_3genE2ELNS1_11target_archE906ELNS1_3gpuE6ELNS1_3repE0EEENS1_30default_config_static_selectorELNS0_4arch9wavefront6targetE0EEEvT1_,comdat
	.protected	_ZN7rocprim17ROCPRIM_400000_NS6detail17trampoline_kernelINS0_14default_configENS1_35adjacent_difference_config_selectorILb1EtEEZNS1_24adjacent_difference_implIS3_Lb1ELb0EPtS7_N6thrust23THRUST_200600_302600_NS4plusItEEEE10hipError_tPvRmT2_T3_mT4_P12ihipStream_tbEUlT_E_NS1_11comp_targetILNS1_3genE2ELNS1_11target_archE906ELNS1_3gpuE6ELNS1_3repE0EEENS1_30default_config_static_selectorELNS0_4arch9wavefront6targetE0EEEvT1_ ; -- Begin function _ZN7rocprim17ROCPRIM_400000_NS6detail17trampoline_kernelINS0_14default_configENS1_35adjacent_difference_config_selectorILb1EtEEZNS1_24adjacent_difference_implIS3_Lb1ELb0EPtS7_N6thrust23THRUST_200600_302600_NS4plusItEEEE10hipError_tPvRmT2_T3_mT4_P12ihipStream_tbEUlT_E_NS1_11comp_targetILNS1_3genE2ELNS1_11target_archE906ELNS1_3gpuE6ELNS1_3repE0EEENS1_30default_config_static_selectorELNS0_4arch9wavefront6targetE0EEEvT1_
	.globl	_ZN7rocprim17ROCPRIM_400000_NS6detail17trampoline_kernelINS0_14default_configENS1_35adjacent_difference_config_selectorILb1EtEEZNS1_24adjacent_difference_implIS3_Lb1ELb0EPtS7_N6thrust23THRUST_200600_302600_NS4plusItEEEE10hipError_tPvRmT2_T3_mT4_P12ihipStream_tbEUlT_E_NS1_11comp_targetILNS1_3genE2ELNS1_11target_archE906ELNS1_3gpuE6ELNS1_3repE0EEENS1_30default_config_static_selectorELNS0_4arch9wavefront6targetE0EEEvT1_
	.p2align	8
	.type	_ZN7rocprim17ROCPRIM_400000_NS6detail17trampoline_kernelINS0_14default_configENS1_35adjacent_difference_config_selectorILb1EtEEZNS1_24adjacent_difference_implIS3_Lb1ELb0EPtS7_N6thrust23THRUST_200600_302600_NS4plusItEEEE10hipError_tPvRmT2_T3_mT4_P12ihipStream_tbEUlT_E_NS1_11comp_targetILNS1_3genE2ELNS1_11target_archE906ELNS1_3gpuE6ELNS1_3repE0EEENS1_30default_config_static_selectorELNS0_4arch9wavefront6targetE0EEEvT1_,@function
_ZN7rocprim17ROCPRIM_400000_NS6detail17trampoline_kernelINS0_14default_configENS1_35adjacent_difference_config_selectorILb1EtEEZNS1_24adjacent_difference_implIS3_Lb1ELb0EPtS7_N6thrust23THRUST_200600_302600_NS4plusItEEEE10hipError_tPvRmT2_T3_mT4_P12ihipStream_tbEUlT_E_NS1_11comp_targetILNS1_3genE2ELNS1_11target_archE906ELNS1_3gpuE6ELNS1_3repE0EEENS1_30default_config_static_selectorELNS0_4arch9wavefront6targetE0EEEvT1_: ; @_ZN7rocprim17ROCPRIM_400000_NS6detail17trampoline_kernelINS0_14default_configENS1_35adjacent_difference_config_selectorILb1EtEEZNS1_24adjacent_difference_implIS3_Lb1ELb0EPtS7_N6thrust23THRUST_200600_302600_NS4plusItEEEE10hipError_tPvRmT2_T3_mT4_P12ihipStream_tbEUlT_E_NS1_11comp_targetILNS1_3genE2ELNS1_11target_archE906ELNS1_3gpuE6ELNS1_3repE0EEENS1_30default_config_static_selectorELNS0_4arch9wavefront6targetE0EEEvT1_
; %bb.0:
	.section	.rodata,"a",@progbits
	.p2align	6, 0x0
	.amdhsa_kernel _ZN7rocprim17ROCPRIM_400000_NS6detail17trampoline_kernelINS0_14default_configENS1_35adjacent_difference_config_selectorILb1EtEEZNS1_24adjacent_difference_implIS3_Lb1ELb0EPtS7_N6thrust23THRUST_200600_302600_NS4plusItEEEE10hipError_tPvRmT2_T3_mT4_P12ihipStream_tbEUlT_E_NS1_11comp_targetILNS1_3genE2ELNS1_11target_archE906ELNS1_3gpuE6ELNS1_3repE0EEENS1_30default_config_static_selectorELNS0_4arch9wavefront6targetE0EEEvT1_
		.amdhsa_group_segment_fixed_size 0
		.amdhsa_private_segment_fixed_size 0
		.amdhsa_kernarg_size 56
		.amdhsa_user_sgpr_count 15
		.amdhsa_user_sgpr_dispatch_ptr 0
		.amdhsa_user_sgpr_queue_ptr 0
		.amdhsa_user_sgpr_kernarg_segment_ptr 1
		.amdhsa_user_sgpr_dispatch_id 0
		.amdhsa_user_sgpr_private_segment_size 0
		.amdhsa_wavefront_size32 1
		.amdhsa_uses_dynamic_stack 0
		.amdhsa_enable_private_segment 0
		.amdhsa_system_sgpr_workgroup_id_x 1
		.amdhsa_system_sgpr_workgroup_id_y 0
		.amdhsa_system_sgpr_workgroup_id_z 0
		.amdhsa_system_sgpr_workgroup_info 0
		.amdhsa_system_vgpr_workitem_id 0
		.amdhsa_next_free_vgpr 1
		.amdhsa_next_free_sgpr 1
		.amdhsa_reserve_vcc 0
		.amdhsa_float_round_mode_32 0
		.amdhsa_float_round_mode_16_64 0
		.amdhsa_float_denorm_mode_32 3
		.amdhsa_float_denorm_mode_16_64 3
		.amdhsa_dx10_clamp 1
		.amdhsa_ieee_mode 1
		.amdhsa_fp16_overflow 0
		.amdhsa_workgroup_processor_mode 1
		.amdhsa_memory_ordered 1
		.amdhsa_forward_progress 0
		.amdhsa_shared_vgpr_count 0
		.amdhsa_exception_fp_ieee_invalid_op 0
		.amdhsa_exception_fp_denorm_src 0
		.amdhsa_exception_fp_ieee_div_zero 0
		.amdhsa_exception_fp_ieee_overflow 0
		.amdhsa_exception_fp_ieee_underflow 0
		.amdhsa_exception_fp_ieee_inexact 0
		.amdhsa_exception_int_div_zero 0
	.end_amdhsa_kernel
	.section	.text._ZN7rocprim17ROCPRIM_400000_NS6detail17trampoline_kernelINS0_14default_configENS1_35adjacent_difference_config_selectorILb1EtEEZNS1_24adjacent_difference_implIS3_Lb1ELb0EPtS7_N6thrust23THRUST_200600_302600_NS4plusItEEEE10hipError_tPvRmT2_T3_mT4_P12ihipStream_tbEUlT_E_NS1_11comp_targetILNS1_3genE2ELNS1_11target_archE906ELNS1_3gpuE6ELNS1_3repE0EEENS1_30default_config_static_selectorELNS0_4arch9wavefront6targetE0EEEvT1_,"axG",@progbits,_ZN7rocprim17ROCPRIM_400000_NS6detail17trampoline_kernelINS0_14default_configENS1_35adjacent_difference_config_selectorILb1EtEEZNS1_24adjacent_difference_implIS3_Lb1ELb0EPtS7_N6thrust23THRUST_200600_302600_NS4plusItEEEE10hipError_tPvRmT2_T3_mT4_P12ihipStream_tbEUlT_E_NS1_11comp_targetILNS1_3genE2ELNS1_11target_archE906ELNS1_3gpuE6ELNS1_3repE0EEENS1_30default_config_static_selectorELNS0_4arch9wavefront6targetE0EEEvT1_,comdat
.Lfunc_end253:
	.size	_ZN7rocprim17ROCPRIM_400000_NS6detail17trampoline_kernelINS0_14default_configENS1_35adjacent_difference_config_selectorILb1EtEEZNS1_24adjacent_difference_implIS3_Lb1ELb0EPtS7_N6thrust23THRUST_200600_302600_NS4plusItEEEE10hipError_tPvRmT2_T3_mT4_P12ihipStream_tbEUlT_E_NS1_11comp_targetILNS1_3genE2ELNS1_11target_archE906ELNS1_3gpuE6ELNS1_3repE0EEENS1_30default_config_static_selectorELNS0_4arch9wavefront6targetE0EEEvT1_, .Lfunc_end253-_ZN7rocprim17ROCPRIM_400000_NS6detail17trampoline_kernelINS0_14default_configENS1_35adjacent_difference_config_selectorILb1EtEEZNS1_24adjacent_difference_implIS3_Lb1ELb0EPtS7_N6thrust23THRUST_200600_302600_NS4plusItEEEE10hipError_tPvRmT2_T3_mT4_P12ihipStream_tbEUlT_E_NS1_11comp_targetILNS1_3genE2ELNS1_11target_archE906ELNS1_3gpuE6ELNS1_3repE0EEENS1_30default_config_static_selectorELNS0_4arch9wavefront6targetE0EEEvT1_
                                        ; -- End function
	.section	.AMDGPU.csdata,"",@progbits
; Kernel info:
; codeLenInByte = 0
; NumSgprs: 0
; NumVgprs: 0
; ScratchSize: 0
; MemoryBound: 0
; FloatMode: 240
; IeeeMode: 1
; LDSByteSize: 0 bytes/workgroup (compile time only)
; SGPRBlocks: 0
; VGPRBlocks: 0
; NumSGPRsForWavesPerEU: 1
; NumVGPRsForWavesPerEU: 1
; Occupancy: 16
; WaveLimiterHint : 0
; COMPUTE_PGM_RSRC2:SCRATCH_EN: 0
; COMPUTE_PGM_RSRC2:USER_SGPR: 15
; COMPUTE_PGM_RSRC2:TRAP_HANDLER: 0
; COMPUTE_PGM_RSRC2:TGID_X_EN: 1
; COMPUTE_PGM_RSRC2:TGID_Y_EN: 0
; COMPUTE_PGM_RSRC2:TGID_Z_EN: 0
; COMPUTE_PGM_RSRC2:TIDIG_COMP_CNT: 0
	.section	.text._ZN7rocprim17ROCPRIM_400000_NS6detail17trampoline_kernelINS0_14default_configENS1_35adjacent_difference_config_selectorILb1EtEEZNS1_24adjacent_difference_implIS3_Lb1ELb0EPtS7_N6thrust23THRUST_200600_302600_NS4plusItEEEE10hipError_tPvRmT2_T3_mT4_P12ihipStream_tbEUlT_E_NS1_11comp_targetILNS1_3genE9ELNS1_11target_archE1100ELNS1_3gpuE3ELNS1_3repE0EEENS1_30default_config_static_selectorELNS0_4arch9wavefront6targetE0EEEvT1_,"axG",@progbits,_ZN7rocprim17ROCPRIM_400000_NS6detail17trampoline_kernelINS0_14default_configENS1_35adjacent_difference_config_selectorILb1EtEEZNS1_24adjacent_difference_implIS3_Lb1ELb0EPtS7_N6thrust23THRUST_200600_302600_NS4plusItEEEE10hipError_tPvRmT2_T3_mT4_P12ihipStream_tbEUlT_E_NS1_11comp_targetILNS1_3genE9ELNS1_11target_archE1100ELNS1_3gpuE3ELNS1_3repE0EEENS1_30default_config_static_selectorELNS0_4arch9wavefront6targetE0EEEvT1_,comdat
	.protected	_ZN7rocprim17ROCPRIM_400000_NS6detail17trampoline_kernelINS0_14default_configENS1_35adjacent_difference_config_selectorILb1EtEEZNS1_24adjacent_difference_implIS3_Lb1ELb0EPtS7_N6thrust23THRUST_200600_302600_NS4plusItEEEE10hipError_tPvRmT2_T3_mT4_P12ihipStream_tbEUlT_E_NS1_11comp_targetILNS1_3genE9ELNS1_11target_archE1100ELNS1_3gpuE3ELNS1_3repE0EEENS1_30default_config_static_selectorELNS0_4arch9wavefront6targetE0EEEvT1_ ; -- Begin function _ZN7rocprim17ROCPRIM_400000_NS6detail17trampoline_kernelINS0_14default_configENS1_35adjacent_difference_config_selectorILb1EtEEZNS1_24adjacent_difference_implIS3_Lb1ELb0EPtS7_N6thrust23THRUST_200600_302600_NS4plusItEEEE10hipError_tPvRmT2_T3_mT4_P12ihipStream_tbEUlT_E_NS1_11comp_targetILNS1_3genE9ELNS1_11target_archE1100ELNS1_3gpuE3ELNS1_3repE0EEENS1_30default_config_static_selectorELNS0_4arch9wavefront6targetE0EEEvT1_
	.globl	_ZN7rocprim17ROCPRIM_400000_NS6detail17trampoline_kernelINS0_14default_configENS1_35adjacent_difference_config_selectorILb1EtEEZNS1_24adjacent_difference_implIS3_Lb1ELb0EPtS7_N6thrust23THRUST_200600_302600_NS4plusItEEEE10hipError_tPvRmT2_T3_mT4_P12ihipStream_tbEUlT_E_NS1_11comp_targetILNS1_3genE9ELNS1_11target_archE1100ELNS1_3gpuE3ELNS1_3repE0EEENS1_30default_config_static_selectorELNS0_4arch9wavefront6targetE0EEEvT1_
	.p2align	8
	.type	_ZN7rocprim17ROCPRIM_400000_NS6detail17trampoline_kernelINS0_14default_configENS1_35adjacent_difference_config_selectorILb1EtEEZNS1_24adjacent_difference_implIS3_Lb1ELb0EPtS7_N6thrust23THRUST_200600_302600_NS4plusItEEEE10hipError_tPvRmT2_T3_mT4_P12ihipStream_tbEUlT_E_NS1_11comp_targetILNS1_3genE9ELNS1_11target_archE1100ELNS1_3gpuE3ELNS1_3repE0EEENS1_30default_config_static_selectorELNS0_4arch9wavefront6targetE0EEEvT1_,@function
_ZN7rocprim17ROCPRIM_400000_NS6detail17trampoline_kernelINS0_14default_configENS1_35adjacent_difference_config_selectorILb1EtEEZNS1_24adjacent_difference_implIS3_Lb1ELb0EPtS7_N6thrust23THRUST_200600_302600_NS4plusItEEEE10hipError_tPvRmT2_T3_mT4_P12ihipStream_tbEUlT_E_NS1_11comp_targetILNS1_3genE9ELNS1_11target_archE1100ELNS1_3gpuE3ELNS1_3repE0EEENS1_30default_config_static_selectorELNS0_4arch9wavefront6targetE0EEEvT1_: ; @_ZN7rocprim17ROCPRIM_400000_NS6detail17trampoline_kernelINS0_14default_configENS1_35adjacent_difference_config_selectorILb1EtEEZNS1_24adjacent_difference_implIS3_Lb1ELb0EPtS7_N6thrust23THRUST_200600_302600_NS4plusItEEEE10hipError_tPvRmT2_T3_mT4_P12ihipStream_tbEUlT_E_NS1_11comp_targetILNS1_3genE9ELNS1_11target_archE1100ELNS1_3gpuE3ELNS1_3repE0EEENS1_30default_config_static_selectorELNS0_4arch9wavefront6targetE0EEEvT1_
; %bb.0:
	s_load_b256 s[4:11], s[0:1], 0x0
	s_mov_b32 s14, s15
	s_waitcnt lgkmcnt(0)
	s_lshl_b64 s[6:7], s[6:7], 1
	s_delay_alu instid0(SALU_CYCLE_1)
	s_add_u32 s23, s4, s6
	s_addc_u32 s24, s5, s7
	s_add_u32 s2, 0, 0x590b2000
	s_addc_u32 s3, 0, 0
	s_mul_hi_u32 s5, s2, 0xfffff480
	s_add_i32 s3, s3, 0x1642c8
	s_sub_i32 s5, s5, s2
	s_mul_i32 s13, s3, 0xfffff480
	s_mul_i32 s4, s2, 0xfffff480
	s_add_i32 s5, s5, s13
	s_mul_hi_u32 s12, s2, s4
	s_mul_i32 s16, s2, s5
	s_mul_hi_u32 s13, s2, s5
	s_mul_hi_u32 s15, s3, s4
	s_mul_i32 s4, s3, s4
	s_add_u32 s12, s12, s16
	s_addc_u32 s13, 0, s13
	s_mul_hi_u32 s17, s3, s5
	s_add_u32 s4, s12, s4
	s_mul_i32 s5, s3, s5
	s_addc_u32 s4, s13, s15
	s_addc_u32 s12, s17, 0
	s_add_u32 s4, s4, s5
	s_delay_alu instid0(SALU_CYCLE_1) | instskip(SKIP_3) | instid1(VALU_DEP_1)
	v_add_co_u32 v1, s2, s2, s4
	s_addc_u32 s4, 0, s12
	s_cmp_lg_u32 s2, 0
	s_addc_u32 s2, s3, s4
	v_readfirstlane_b32 s3, v1
	s_mul_i32 s5, s10, s2
	s_mul_hi_u32 s4, s10, s2
	s_mul_hi_u32 s12, s11, s2
	s_mul_i32 s2, s11, s2
	s_mul_hi_u32 s13, s10, s3
	s_mul_hi_u32 s15, s11, s3
	s_mul_i32 s3, s11, s3
	s_add_u32 s5, s13, s5
	s_addc_u32 s4, 0, s4
	s_add_u32 s3, s5, s3
	s_addc_u32 s3, s4, s15
	s_addc_u32 s4, s12, 0
	s_add_u32 s5, s3, s2
	s_addc_u32 s4, 0, s4
	s_mul_i32 s3, s5, 0xb80
	s_add_u32 s2, s5, 1
	v_sub_co_u32 v1, s3, s10, s3
	s_mul_hi_u32 s12, s5, 0xb80
	s_addc_u32 s13, s4, 0
	s_mul_i32 s15, s4, 0xb80
	s_delay_alu instid0(VALU_DEP_1)
	v_subrev_co_u32 v2, s16, 0xb80, v1
	s_add_u32 s17, s5, 2
	s_addc_u32 s18, s4, 0
	s_add_i32 s12, s12, s15
	s_cmp_lg_u32 s3, 0
	v_readfirstlane_b32 s3, v2
	s_subb_u32 s12, s11, s12
	s_cmp_lg_u32 s16, 0
	s_subb_u32 s15, s12, 0
	s_delay_alu instid0(VALU_DEP_1) | instskip(SKIP_4) | instid1(SALU_CYCLE_1)
	s_cmpk_gt_u32 s3, 0xb7f
	s_cselect_b32 s3, -1, 0
	s_cmp_eq_u32 s15, 0
	v_readfirstlane_b32 s15, v1
	s_cselect_b32 s3, s3, -1
	s_cmp_lg_u32 s3, 0
	s_cselect_b32 s16, s17, s2
	s_cselect_b32 s13, s18, s13
	s_cmpk_gt_u32 s15, 0xb7f
	s_cselect_b32 s2, -1, 0
	s_cmp_eq_u32 s12, 0
	s_cselect_b32 s2, s2, -1
	s_delay_alu instid0(SALU_CYCLE_1)
	s_cmp_lg_u32 s2, 0
	s_load_b128 s[0:3], s[0:1], 0x28
	s_cselect_b32 s13, s13, s4
	s_cselect_b32 s12, s16, s5
	s_mul_i32 s4, s13, 0xb80
	s_mul_hi_u32 s5, s12, 0xb80
	s_mul_i32 s15, s12, 0xb80
	s_add_i32 s5, s5, s4
	s_sub_u32 s4, s10, s15
	s_subb_u32 s5, s11, s5
	s_mov_b32 s15, 0
	s_cmp_lg_u64 s[4:5], 0
	s_mov_b32 s5, -1
	s_cselect_b32 s4, -1, 0
	s_delay_alu instid0(SALU_CYCLE_1) | instskip(NEXT) | instid1(VALU_DEP_1)
	v_cndmask_b32_e64 v1, 0, 1, s4
	v_readfirstlane_b32 s4, v1
	s_delay_alu instid0(VALU_DEP_1)
	s_add_u32 s12, s12, s4
	s_addc_u32 s13, s13, 0
	s_waitcnt lgkmcnt(0)
	s_add_u32 s16, s2, s14
	s_addc_u32 s17, s3, 0
	s_add_u32 s18, s12, -1
	s_addc_u32 s19, s13, -1
	s_mul_i32 s4, s14, 0xb80
	v_cmp_ge_u64_e64 s22, s[16:17], s[18:19]
	s_mul_i32 s11, s18, 0xfffff480
	s_delay_alu instid0(VALU_DEP_1)
	s_and_b32 vcc_lo, exec_lo, s22
	s_cbranch_vccz .LBB254_48
; %bb.1:
	s_mov_b32 s5, s15
	s_add_i32 s25, s11, s10
	s_lshl_b64 s[20:21], s[4:5], 1
	s_mov_b32 s5, exec_lo
	s_add_u32 s20, s23, s20
	s_addc_u32 s21, s24, s21
                                        ; implicit-def: $vgpr1
	v_cmpx_gt_u32_e64 s25, v0
	s_cbranch_execz .LBB254_3
; %bb.2:
	v_lshlrev_b32_e32 v1, 1, v0
	global_load_u16 v1, v1, s[20:21]
.LBB254_3:
	s_or_b32 exec_lo, exec_lo, s5
	v_or_b32_e32 v2, 0x80, v0
	s_delay_alu instid0(VALU_DEP_1)
	v_cmp_gt_u32_e32 vcc_lo, s25, v2
                                        ; implicit-def: $vgpr2
	s_and_saveexec_b32 s5, vcc_lo
	s_cbranch_execz .LBB254_5
; %bb.4:
	v_lshlrev_b32_e32 v2, 1, v0
	global_load_u16 v2, v2, s[20:21] offset:256
.LBB254_5:
	s_or_b32 exec_lo, exec_lo, s5
	v_or_b32_e32 v3, 0x100, v0
	s_delay_alu instid0(VALU_DEP_1)
	v_cmp_gt_u32_e32 vcc_lo, s25, v3
                                        ; implicit-def: $vgpr3
	s_and_saveexec_b32 s5, vcc_lo
	s_cbranch_execz .LBB254_7
; %bb.6:
	v_lshlrev_b32_e32 v3, 1, v0
	global_load_u16 v3, v3, s[20:21] offset:512
.LBB254_7:
	s_or_b32 exec_lo, exec_lo, s5
	v_or_b32_e32 v4, 0x180, v0
	s_delay_alu instid0(VALU_DEP_1)
	v_cmp_gt_u32_e32 vcc_lo, s25, v4
                                        ; implicit-def: $vgpr4
	s_and_saveexec_b32 s5, vcc_lo
	s_cbranch_execz .LBB254_9
; %bb.8:
	v_lshlrev_b32_e32 v4, 1, v0
	global_load_u16 v4, v4, s[20:21] offset:768
.LBB254_9:
	s_or_b32 exec_lo, exec_lo, s5
	v_or_b32_e32 v5, 0x200, v0
	s_delay_alu instid0(VALU_DEP_1)
	v_cmp_gt_u32_e32 vcc_lo, s25, v5
                                        ; implicit-def: $vgpr5
	s_and_saveexec_b32 s5, vcc_lo
	s_cbranch_execz .LBB254_11
; %bb.10:
	v_lshlrev_b32_e32 v5, 1, v0
	global_load_u16 v5, v5, s[20:21] offset:1024
.LBB254_11:
	s_or_b32 exec_lo, exec_lo, s5
	v_or_b32_e32 v6, 0x280, v0
	s_delay_alu instid0(VALU_DEP_1)
	v_cmp_gt_u32_e32 vcc_lo, s25, v6
                                        ; implicit-def: $vgpr6
	s_and_saveexec_b32 s5, vcc_lo
	s_cbranch_execz .LBB254_13
; %bb.12:
	v_lshlrev_b32_e32 v6, 1, v0
	global_load_u16 v6, v6, s[20:21] offset:1280
.LBB254_13:
	s_or_b32 exec_lo, exec_lo, s5
	v_or_b32_e32 v7, 0x300, v0
	s_delay_alu instid0(VALU_DEP_1)
	v_cmp_gt_u32_e32 vcc_lo, s25, v7
                                        ; implicit-def: $vgpr7
	s_and_saveexec_b32 s5, vcc_lo
	s_cbranch_execz .LBB254_15
; %bb.14:
	v_lshlrev_b32_e32 v7, 1, v0
	global_load_u16 v7, v7, s[20:21] offset:1536
.LBB254_15:
	s_or_b32 exec_lo, exec_lo, s5
	v_or_b32_e32 v8, 0x380, v0
	s_delay_alu instid0(VALU_DEP_1)
	v_cmp_gt_u32_e32 vcc_lo, s25, v8
                                        ; implicit-def: $vgpr8
	s_and_saveexec_b32 s5, vcc_lo
	s_cbranch_execz .LBB254_17
; %bb.16:
	v_lshlrev_b32_e32 v8, 1, v0
	global_load_u16 v8, v8, s[20:21] offset:1792
.LBB254_17:
	s_or_b32 exec_lo, exec_lo, s5
	v_or_b32_e32 v9, 0x400, v0
	s_delay_alu instid0(VALU_DEP_1)
	v_cmp_gt_u32_e32 vcc_lo, s25, v9
                                        ; implicit-def: $vgpr9
	s_and_saveexec_b32 s5, vcc_lo
	s_cbranch_execz .LBB254_19
; %bb.18:
	v_lshlrev_b32_e32 v9, 1, v0
	global_load_u16 v9, v9, s[20:21] offset:2048
.LBB254_19:
	s_or_b32 exec_lo, exec_lo, s5
	v_or_b32_e32 v10, 0x480, v0
	s_delay_alu instid0(VALU_DEP_1)
	v_cmp_gt_u32_e32 vcc_lo, s25, v10
                                        ; implicit-def: $vgpr10
	s_and_saveexec_b32 s5, vcc_lo
	s_cbranch_execz .LBB254_21
; %bb.20:
	v_lshlrev_b32_e32 v10, 1, v0
	global_load_u16 v10, v10, s[20:21] offset:2304
.LBB254_21:
	s_or_b32 exec_lo, exec_lo, s5
	v_or_b32_e32 v11, 0x500, v0
	s_delay_alu instid0(VALU_DEP_1)
	v_cmp_gt_u32_e32 vcc_lo, s25, v11
                                        ; implicit-def: $vgpr11
	s_and_saveexec_b32 s5, vcc_lo
	s_cbranch_execz .LBB254_23
; %bb.22:
	v_lshlrev_b32_e32 v11, 1, v0
	global_load_u16 v11, v11, s[20:21] offset:2560
.LBB254_23:
	s_or_b32 exec_lo, exec_lo, s5
	v_or_b32_e32 v12, 0x580, v0
	s_delay_alu instid0(VALU_DEP_1)
	v_cmp_gt_u32_e32 vcc_lo, s25, v12
                                        ; implicit-def: $vgpr12
	s_and_saveexec_b32 s5, vcc_lo
	s_cbranch_execz .LBB254_25
; %bb.24:
	v_lshlrev_b32_e32 v12, 1, v0
	global_load_u16 v12, v12, s[20:21] offset:2816
.LBB254_25:
	s_or_b32 exec_lo, exec_lo, s5
	v_or_b32_e32 v13, 0x600, v0
	s_delay_alu instid0(VALU_DEP_1)
	v_cmp_gt_u32_e32 vcc_lo, s25, v13
                                        ; implicit-def: $vgpr13
	s_and_saveexec_b32 s5, vcc_lo
	s_cbranch_execz .LBB254_27
; %bb.26:
	v_lshlrev_b32_e32 v13, 1, v0
	global_load_u16 v13, v13, s[20:21] offset:3072
.LBB254_27:
	s_or_b32 exec_lo, exec_lo, s5
	v_or_b32_e32 v14, 0x680, v0
	s_delay_alu instid0(VALU_DEP_1)
	v_cmp_gt_u32_e32 vcc_lo, s25, v14
                                        ; implicit-def: $vgpr14
	s_and_saveexec_b32 s5, vcc_lo
	s_cbranch_execz .LBB254_29
; %bb.28:
	v_lshlrev_b32_e32 v14, 1, v0
	global_load_u16 v14, v14, s[20:21] offset:3328
.LBB254_29:
	s_or_b32 exec_lo, exec_lo, s5
	v_or_b32_e32 v15, 0x700, v0
	s_delay_alu instid0(VALU_DEP_1)
	v_cmp_gt_u32_e32 vcc_lo, s25, v15
                                        ; implicit-def: $vgpr15
	s_and_saveexec_b32 s5, vcc_lo
	s_cbranch_execz .LBB254_31
; %bb.30:
	v_lshlrev_b32_e32 v15, 1, v0
	global_load_u16 v15, v15, s[20:21] offset:3584
.LBB254_31:
	s_or_b32 exec_lo, exec_lo, s5
	v_or_b32_e32 v16, 0x780, v0
	s_delay_alu instid0(VALU_DEP_1)
	v_cmp_gt_u32_e32 vcc_lo, s25, v16
                                        ; implicit-def: $vgpr16
	s_and_saveexec_b32 s5, vcc_lo
	s_cbranch_execz .LBB254_33
; %bb.32:
	v_lshlrev_b32_e32 v16, 1, v0
	global_load_u16 v16, v16, s[20:21] offset:3840
.LBB254_33:
	s_or_b32 exec_lo, exec_lo, s5
	v_or_b32_e32 v18, 0x800, v0
	s_mov_b32 s5, exec_lo
                                        ; implicit-def: $vgpr17
	s_delay_alu instid0(VALU_DEP_1)
	v_cmpx_gt_u32_e64 s25, v18
	s_cbranch_execz .LBB254_35
; %bb.34:
	v_lshlrev_b32_e32 v17, 1, v18
	global_load_u16 v17, v17, s[20:21]
.LBB254_35:
	s_or_b32 exec_lo, exec_lo, s5
	v_or_b32_e32 v19, 0x880, v0
	s_mov_b32 s5, exec_lo
                                        ; implicit-def: $vgpr18
	s_delay_alu instid0(VALU_DEP_1)
	v_cmpx_gt_u32_e64 s25, v19
	s_cbranch_execz .LBB254_37
; %bb.36:
	v_lshlrev_b32_e32 v18, 1, v19
	global_load_u16 v18, v18, s[20:21]
.LBB254_37:
	s_or_b32 exec_lo, exec_lo, s5
	v_or_b32_e32 v20, 0x900, v0
	s_mov_b32 s5, exec_lo
                                        ; implicit-def: $vgpr19
	s_delay_alu instid0(VALU_DEP_1)
	v_cmpx_gt_u32_e64 s25, v20
	s_cbranch_execz .LBB254_39
; %bb.38:
	v_lshlrev_b32_e32 v19, 1, v20
	global_load_u16 v19, v19, s[20:21]
.LBB254_39:
	s_or_b32 exec_lo, exec_lo, s5
	v_or_b32_e32 v21, 0x980, v0
	s_mov_b32 s5, exec_lo
                                        ; implicit-def: $vgpr20
	s_delay_alu instid0(VALU_DEP_1)
	v_cmpx_gt_u32_e64 s25, v21
	s_cbranch_execz .LBB254_41
; %bb.40:
	v_lshlrev_b32_e32 v20, 1, v21
	global_load_u16 v20, v20, s[20:21]
.LBB254_41:
	s_or_b32 exec_lo, exec_lo, s5
	v_or_b32_e32 v22, 0xa00, v0
	s_mov_b32 s5, exec_lo
                                        ; implicit-def: $vgpr21
	s_delay_alu instid0(VALU_DEP_1)
	v_cmpx_gt_u32_e64 s25, v22
	s_cbranch_execz .LBB254_43
; %bb.42:
	v_lshlrev_b32_e32 v21, 1, v22
	global_load_u16 v21, v21, s[20:21]
.LBB254_43:
	s_or_b32 exec_lo, exec_lo, s5
	v_or_b32_e32 v23, 0xa80, v0
	s_mov_b32 s5, exec_lo
                                        ; implicit-def: $vgpr22
	s_delay_alu instid0(VALU_DEP_1)
	v_cmpx_gt_u32_e64 s25, v23
	s_cbranch_execz .LBB254_45
; %bb.44:
	v_lshlrev_b32_e32 v22, 1, v23
	global_load_u16 v22, v22, s[20:21]
.LBB254_45:
	s_or_b32 exec_lo, exec_lo, s5
	v_or_b32_e32 v24, 0xb00, v0
	s_mov_b32 s5, exec_lo
                                        ; implicit-def: $vgpr23
	s_delay_alu instid0(VALU_DEP_1)
	v_cmpx_gt_u32_e64 s25, v24
	s_cbranch_execz .LBB254_47
; %bb.46:
	v_lshlrev_b32_e32 v23, 1, v24
	global_load_u16 v23, v23, s[20:21]
.LBB254_47:
	s_or_b32 exec_lo, exec_lo, s5
	v_lshlrev_b32_e32 v24, 1, v0
	s_mov_b32 s5, 0
	s_waitcnt vmcnt(0)
	ds_store_b16 v24, v1
	ds_store_b16 v24, v2 offset:256
	ds_store_b16 v24, v3 offset:512
	;; [unrolled: 1-line block ×22, first 2 shown]
	s_waitcnt lgkmcnt(0)
	s_barrier
.LBB254_48:
	v_lshlrev_b32_e32 v22, 1, v0
	s_and_b32 vcc_lo, exec_lo, s5
	s_cbranch_vccz .LBB254_50
; %bb.49:
	s_mov_b32 s5, 0
	s_delay_alu instid0(SALU_CYCLE_1) | instskip(NEXT) | instid1(SALU_CYCLE_1)
	s_lshl_b64 s[20:21], s[4:5], 1
	s_add_u32 s20, s23, s20
	s_addc_u32 s21, s24, s21
	v_add_co_u32 v1, s5, s20, v22
	s_delay_alu instid0(VALU_DEP_1)
	v_add_co_ci_u32_e64 v2, null, s21, 0, s5
	s_clause 0x8
	global_load_u16 v3, v22, s[20:21]
	global_load_u16 v4, v22, s[20:21] offset:256
	global_load_u16 v5, v22, s[20:21] offset:512
	;; [unrolled: 1-line block ×8, first 2 shown]
	v_add_co_u32 v1, vcc_lo, 0x1000, v1
	v_add_co_ci_u32_e32 v2, vcc_lo, 0, v2, vcc_lo
	s_clause 0xd
	global_load_u16 v12, v22, s[20:21] offset:2304
	global_load_u16 v13, v22, s[20:21] offset:2560
	;; [unrolled: 1-line block ×7, first 2 shown]
	global_load_u16 v19, v[1:2], off
	global_load_u16 v20, v[1:2], off offset:256
	global_load_u16 v21, v[1:2], off offset:512
	;; [unrolled: 1-line block ×6, first 2 shown]
	s_waitcnt vmcnt(22)
	ds_store_b16 v22, v3
	s_waitcnt vmcnt(21)
	ds_store_b16 v22, v4 offset:256
	s_waitcnt vmcnt(20)
	ds_store_b16 v22, v5 offset:512
	;; [unrolled: 2-line block ×22, first 2 shown]
	s_waitcnt lgkmcnt(0)
	s_barrier
.LBB254_50:
	v_mul_u32_u24_e32 v1, 23, v0
	buffer_gl0_inv
	s_cmp_eq_u64 s[16:17], 0
	v_lshlrev_b32_e32 v12, 1, v1
	ds_load_b128 v[5:8], v12
	ds_load_b128 v[1:4], v12 offset:16
	ds_load_b96 v[9:11], v12 offset:32
	ds_load_u16 v23, v12 offset:44
	s_waitcnt lgkmcnt(0)
	s_barrier
	buffer_gl0_inv
	s_cbranch_scc1 .LBB254_55
; %bb.51:
	s_lshl_b64 s[2:3], s[2:3], 1
	v_mov_b32_e32 v12, 0
	s_add_u32 s2, s0, s2
	s_addc_u32 s3, s1, s3
	s_lshl_b64 s[0:1], s[14:15], 1
	s_delay_alu instid0(SALU_CYCLE_1)
	s_add_u32 s0, s2, s0
	s_addc_u32 s1, s3, s1
	s_cmp_eq_u64 s[16:17], s[18:19]
	global_load_u16 v26, v12, s[0:1] offset:-2
	s_cbranch_scc1 .LBB254_56
; %bb.52:
	s_waitcnt vmcnt(0)
	v_mov_b32_e32 v12, v26
	s_mov_b32 s0, 0
	s_mov_b32 s1, exec_lo
	ds_store_b16 v22, v23
	s_waitcnt lgkmcnt(0)
	s_barrier
	buffer_gl0_inv
	v_cmpx_ne_u32_e32 0, v0
	s_cbranch_execz .LBB254_54
; %bb.53:
	v_add_nc_u32_e32 v12, -2, v22
	ds_load_u16 v12, v12
.LBB254_54:
	s_or_b32 exec_lo, exec_lo, s1
	s_waitcnt lgkmcnt(0)
	v_add_nc_u16 v24, v12, v5
	s_branch .LBB254_57
.LBB254_55:
                                        ; implicit-def: $vgpr25
                                        ; implicit-def: $vgpr12_vgpr13
                                        ; implicit-def: $vgpr14_vgpr15
                                        ; implicit-def: $vgpr16_vgpr17
                                        ; implicit-def: $vgpr18_vgpr19
                                        ; implicit-def: $vgpr20_vgpr21
                                        ; implicit-def: $vgpr24
	s_branch .LBB254_62
.LBB254_56:
	s_mov_b32 s0, -1
                                        ; implicit-def: $vgpr24
.LBB254_57:
	v_mov_b32_e32 v13, v10
	v_mov_b32_e32 v15, v4
	;; [unrolled: 1-line block ×4, first 2 shown]
	v_dual_mov_b32 v21, v6 :: v_dual_mov_b32 v20, v5
	v_dual_mov_b32 v25, v11 :: v_dual_mov_b32 v12, v9
	v_mov_b32_e32 v14, v3
	v_mov_b32_e32 v16, v1
	;; [unrolled: 1-line block ×3, first 2 shown]
	s_and_b32 vcc_lo, exec_lo, s0
	s_cbranch_vccz .LBB254_61
; %bb.58:
	v_mul_u32_u24_e32 v18, 23, v0
	s_mov_b32 s0, exec_lo
	ds_store_b16 v22, v23
	s_waitcnt vmcnt(0) lgkmcnt(0)
	s_barrier
	buffer_gl0_inv
	v_cmpx_ne_u32_e32 0, v0
	s_cbranch_execz .LBB254_60
; %bb.59:
	v_add_nc_u32_e32 v12, -2, v22
	ds_load_u16 v26, v12
.LBB254_60:
	s_or_b32 exec_lo, exec_lo, s0
	v_lshrrev_b32_e32 v17, 16, v10
	v_add_nc_u32_e32 v12, 21, v18
	s_mul_i32 s0, s16, 0xfffff480
	v_lshrrev_b32_e32 v14, 16, v11
	s_add_i32 s0, s0, s10
	v_add_nc_u32_e32 v15, 19, v18
	v_cmp_gt_u32_e32 vcc_lo, s0, v12
	v_add_nc_u32_e32 v13, 22, v18
	v_add_nc_u32_e32 v16, 20, v18
	v_lshrrev_b32_e32 v21, 16, v3
	v_lshrrev_b32_e32 v28, 16, v2
	v_cndmask_b32_e32 v12, 0, v11, vcc_lo
	v_cmp_gt_u32_e32 vcc_lo, s0, v13
	v_lshrrev_b32_e32 v20, 16, v4
	v_lshrrev_b32_e32 v29, 16, v1
	v_add_nc_u32_e32 v19, 14, v18
	v_add_nc_u32_e32 v24, 9, v18
	v_cndmask_b32_e32 v13, 0, v14, vcc_lo
	v_cmp_gt_u32_e32 vcc_lo, s0, v15
	v_lshrrev_b32_e32 v31, 16, v6
	v_add_nc_u32_e32 v27, 10, v18
	v_lshrrev_b32_e32 v32, 16, v5
	v_perm_b32 v25, v13, v12, 0x5040100
	v_cndmask_b32_e32 v14, 0, v10, vcc_lo
	v_cmp_gt_u32_e32 vcc_lo, s0, v16
	v_add_nc_u32_e32 v16, 17, v18
	v_add_nc_u32_e32 v12, 18, v18
	v_dual_cndmask_b32 v15, 0, v17 :: v_dual_add_nc_u32 v30, 2, v18
	s_delay_alu instid0(VALU_DEP_3) | instskip(SKIP_2) | instid1(VALU_DEP_4)
	v_cmp_gt_u32_e32 vcc_lo, s0, v16
	v_lshrrev_b32_e32 v17, 16, v9
	v_add_nc_u32_e32 v16, 16, v18
	v_perm_b32 v13, v15, v14, 0x5040100
	v_cndmask_b32_e32 v14, 0, v9, vcc_lo
	v_cmp_gt_u32_e32 vcc_lo, s0, v12
	v_dual_cndmask_b32 v12, 0, v17 :: v_dual_add_nc_u32 v15, 15, v18
	s_delay_alu instid0(VALU_DEP_1) | instskip(SKIP_1) | instid1(VALU_DEP_3)
	v_cmp_gt_u32_e32 vcc_lo, s0, v15
	v_add_nc_u32_e32 v17, 13, v18
	v_perm_b32 v12, v12, v14, 0x5040100
	v_cndmask_b32_e32 v15, 0, v4, vcc_lo
	v_cmp_gt_u32_e32 vcc_lo, s0, v16
	v_cndmask_b32_e32 v16, 0, v20, vcc_lo
	v_cmp_gt_u32_e32 vcc_lo, s0, v17
	v_add_nc_u32_e32 v20, 11, v18
	s_delay_alu instid0(VALU_DEP_3)
	v_perm_b32 v15, v16, v15, 0x5040100
	v_cndmask_b32_e32 v17, 0, v3, vcc_lo
	v_cmp_gt_u32_e32 vcc_lo, s0, v19
	v_cndmask_b32_e32 v19, 0, v21, vcc_lo
	v_add_nc_u32_e32 v21, 12, v18
	v_cmp_gt_u32_e32 vcc_lo, s0, v20
	s_delay_alu instid0(VALU_DEP_3)
	v_perm_b32 v14, v19, v17, 0x5040100
	v_add_nc_u32_e32 v19, 7, v18
	v_cndmask_b32_e32 v20, 0, v2, vcc_lo
	v_cmp_gt_u32_e32 vcc_lo, s0, v21
	v_cndmask_b32_e32 v21, 0, v28, vcc_lo
	v_cmp_gt_u32_e32 vcc_lo, s0, v24
	v_lshrrev_b32_e32 v28, 16, v7
	s_delay_alu instid0(VALU_DEP_3)
	v_perm_b32 v17, v21, v20, 0x5040100
	v_cndmask_b32_e32 v24, 0, v1, vcc_lo
	v_cmp_gt_u32_e32 vcc_lo, s0, v27
	v_add_nc_u32_e32 v20, 8, v18
	v_add_nc_u32_e32 v21, 5, v18
	v_cndmask_b32_e32 v27, 0, v29, vcc_lo
	v_cmp_gt_u32_e32 vcc_lo, s0, v19
	v_add_nc_u32_e32 v29, 1, v18
	s_delay_alu instid0(VALU_DEP_3) | instskip(SKIP_4) | instid1(VALU_DEP_4)
	v_perm_b32 v16, v27, v24, 0x5040100
	v_lshrrev_b32_e32 v27, 16, v8
	v_cndmask_b32_e32 v19, 0, v8, vcc_lo
	v_cmp_gt_u32_e32 vcc_lo, s0, v20
	v_add_nc_u32_e32 v24, 6, v18
	v_cndmask_b32_e32 v20, 0, v27, vcc_lo
	v_cmp_gt_u32_e32 vcc_lo, s0, v21
	v_add_nc_u32_e32 v27, 3, v18
	s_delay_alu instid0(VALU_DEP_3)
	v_perm_b32 v19, v20, v19, 0x5040100
	v_cndmask_b32_e32 v21, 0, v7, vcc_lo
	v_cmp_gt_u32_e32 vcc_lo, s0, v24
	v_cndmask_b32_e32 v24, 0, v28, vcc_lo
	v_add_nc_u32_e32 v28, 4, v18
	v_cmp_gt_u32_e32 vcc_lo, s0, v27
	v_cndmask_b32_e32 v27, 0, v6, vcc_lo
	s_delay_alu instid0(VALU_DEP_3)
	v_cmp_gt_u32_e32 vcc_lo, s0, v28
	v_cndmask_b32_e32 v28, 0, v31, vcc_lo
	v_cmp_gt_u32_e32 vcc_lo, s0, v29
	v_cndmask_b32_e32 v29, 0, v5, vcc_lo
	;; [unrolled: 2-line block ×3, first 2 shown]
	v_cmp_gt_u32_e32 vcc_lo, s0, v18
	v_perm_b32 v18, v24, v21, 0x5040100
	v_perm_b32 v21, v28, v27, 0x5040100
	s_delay_alu instid0(VALU_DEP_4) | instskip(SKIP_2) | instid1(VALU_DEP_1)
	v_perm_b32 v20, v30, v29, 0x5040100
	s_waitcnt lgkmcnt(0)
	v_cndmask_b32_e32 v26, 0, v26, vcc_lo
	v_add_nc_u16 v24, v26, v5
.LBB254_61:
	s_cbranch_execnz .LBB254_71
.LBB254_62:
	v_cmp_ne_u32_e32 vcc_lo, 0, v0
	s_cmp_eq_u64 s[12:13], 1
	s_cbranch_scc1 .LBB254_66
; %bb.63:
	v_mov_b32_e32 v24, v5
	s_mov_b32 s0, 0
	ds_store_b16 v22, v23
	s_waitcnt vmcnt(0) lgkmcnt(0)
	s_barrier
	buffer_gl0_inv
	s_and_saveexec_b32 s1, vcc_lo
	s_cbranch_execz .LBB254_65
; %bb.64:
	v_add_nc_u32_e32 v12, -2, v22
	ds_load_u16 v12, v12
	s_waitcnt lgkmcnt(0)
	v_add_nc_u16 v24, v12, v5
.LBB254_65:
	s_or_b32 exec_lo, exec_lo, s1
	s_branch .LBB254_67
.LBB254_66:
	s_mov_b32 s0, -1
                                        ; implicit-def: $vgpr24
.LBB254_67:
	v_mov_b32_e32 v13, v10
	v_mov_b32_e32 v15, v4
	;; [unrolled: 1-line block ×4, first 2 shown]
	v_dual_mov_b32 v21, v6 :: v_dual_mov_b32 v20, v5
	v_dual_mov_b32 v25, v11 :: v_dual_mov_b32 v12, v9
	v_mov_b32_e32 v14, v3
	v_mov_b32_e32 v16, v1
	;; [unrolled: 1-line block ×3, first 2 shown]
	s_and_not1_b32 vcc_lo, exec_lo, s0
	s_cbranch_vccnz .LBB254_71
; %bb.68:
	v_mad_u32_u24 v15, v0, 23, 19
	v_mad_u32_u24 v16, v0, 23, 20
	;; [unrolled: 1-line block ×3, first 2 shown]
	v_lshrrev_b32_e32 v19, 16, v10
	v_mad_u32_u24 v18, v0, 23, 18
	v_cmp_gt_u32_e32 vcc_lo, s10, v15
	v_mad_u32_u24 v12, v0, 23, 21
	v_lshrrev_b32_e32 v14, 16, v11
	v_lshrrev_b32_e32 v21, 16, v9
	v_mad_u32_u24 v13, v0, 23, 22
	v_cndmask_b32_e32 v15, 0, v10, vcc_lo
	v_cmp_gt_u32_e32 vcc_lo, s10, v16
	v_lshrrev_b32_e32 v24, 16, v2
	v_lshrrev_b32_e32 v30, 16, v6
	;; [unrolled: 1-line block ×3, first 2 shown]
	v_mad_u32_u24 v28, v0, 23, 1
	v_cndmask_b32_e32 v16, 0, v19, vcc_lo
	v_cmp_gt_u32_e32 vcc_lo, s10, v17
	v_mad_u32_u24 v19, v0, 23, 11
	v_mad_u32_u24 v29, v0, 23, 2
	v_lshrrev_b32_e32 v31, 16, v5
	v_mul_u32_u24_e32 v20, 23, v0
	v_cndmask_b32_e32 v17, 0, v9, vcc_lo
	v_cmp_gt_u32_e32 vcc_lo, s10, v18
	ds_store_b16 v22, v23
	s_waitcnt vmcnt(0) lgkmcnt(0)
	v_cmp_gt_u32_e64 s0, s10, v20
	s_barrier
	v_cndmask_b32_e32 v18, 0, v21, vcc_lo
	v_cmp_gt_u32_e32 vcc_lo, s10, v12
	v_mad_u32_u24 v21, v0, 23, 12
	buffer_gl0_inv
	v_cndmask_b32_e32 v25, 0, v11, vcc_lo
	v_cmp_gt_u32_e32 vcc_lo, s10, v13
	v_perm_b32 v13, v16, v15, 0x5040100
	v_mad_u32_u24 v15, v0, 23, 16
	v_mad_u32_u24 v16, v0, 23, 13
	v_cndmask_b32_e32 v26, 0, v14, vcc_lo
	v_mad_u32_u24 v14, v0, 23, 15
	v_perm_b32 v12, v18, v17, 0x5040100
	v_lshrrev_b32_e32 v17, 16, v4
	v_mad_u32_u24 v18, v0, 23, 14
	s_delay_alu instid0(VALU_DEP_4)
	v_cmp_gt_u32_e32 vcc_lo, s10, v14
	v_cndmask_b32_e32 v14, 0, v4, vcc_lo
	v_cmp_gt_u32_e32 vcc_lo, s10, v15
	v_cndmask_b32_e32 v15, 0, v17, vcc_lo
	v_cmp_gt_u32_e32 vcc_lo, s10, v16
	v_lshrrev_b32_e32 v17, 16, v3
	s_delay_alu instid0(VALU_DEP_3) | instskip(SKIP_2) | instid1(VALU_DEP_4)
	v_perm_b32 v15, v15, v14, 0x5040100
	v_cndmask_b32_e32 v16, 0, v3, vcc_lo
	v_cmp_gt_u32_e32 vcc_lo, s10, v18
	v_cndmask_b32_e32 v17, 0, v17, vcc_lo
	v_cmp_gt_u32_e32 vcc_lo, s10, v19
	s_delay_alu instid0(VALU_DEP_2)
	v_perm_b32 v14, v17, v16, 0x5040100
	v_cndmask_b32_e32 v18, 0, v2, vcc_lo
	v_cmp_gt_u32_e32 vcc_lo, s10, v21
	v_mad_u32_u24 v21, v0, 23, 9
	v_mad_u32_u24 v16, v0, 23, 10
	v_cndmask_b32_e32 v19, 0, v24, vcc_lo
	s_delay_alu instid0(VALU_DEP_3) | instskip(SKIP_2) | instid1(VALU_DEP_4)
	v_cmp_gt_u32_e32 vcc_lo, s10, v21
	v_mad_u32_u24 v21, v0, 23, 7
	v_mad_u32_u24 v24, v0, 23, 8
	v_perm_b32 v17, v19, v18, 0x5040100
	v_cndmask_b32_e32 v18, 0, v1, vcc_lo
	v_lshrrev_b32_e32 v19, 16, v1
	v_cmp_gt_u32_e32 vcc_lo, s10, v16
	s_delay_alu instid0(VALU_DEP_2)
	v_cndmask_b32_e32 v16, 0, v19, vcc_lo
	v_cmp_gt_u32_e32 vcc_lo, s10, v21
	v_cndmask_b32_e32 v19, 0, v8, vcc_lo
	v_cmp_gt_u32_e32 vcc_lo, s10, v24
	v_mad_u32_u24 v24, v0, 23, 5
	v_perm_b32 v16, v16, v18, 0x5040100
	v_mad_u32_u24 v18, v0, 23, 6
	v_cndmask_b32_e32 v21, 0, v27, vcc_lo
	s_delay_alu instid0(VALU_DEP_4) | instskip(SKIP_2) | instid1(VALU_DEP_4)
	v_cmp_gt_u32_e32 vcc_lo, s10, v24
	v_lshrrev_b32_e32 v27, 16, v7
	v_mad_u32_u24 v24, v0, 23, 3
	v_perm_b32 v19, v21, v19, 0x5040100
	v_cndmask_b32_e32 v21, 0, v7, vcc_lo
	v_cmp_gt_u32_e32 vcc_lo, s10, v18
	v_cndmask_b32_e32 v18, 0, v27, vcc_lo
	v_mad_u32_u24 v27, v0, 23, 4
	v_cmp_gt_u32_e32 vcc_lo, s10, v24
	v_cndmask_b32_e32 v24, 0, v6, vcc_lo
	s_delay_alu instid0(VALU_DEP_3)
	v_cmp_gt_u32_e32 vcc_lo, s10, v27
	v_cndmask_b32_e32 v27, 0, v30, vcc_lo
	v_cmp_gt_u32_e32 vcc_lo, s10, v28
	v_cndmask_b32_e32 v28, 0, v5, vcc_lo
	v_cmp_gt_u32_e32 vcc_lo, s10, v29
	v_perm_b32 v18, v18, v21, 0x5040100
	v_perm_b32 v21, v27, v24, 0x5040100
	v_dual_mov_b32 v24, v5 :: v_dual_cndmask_b32 v29, 0, v31
	v_cmp_ne_u32_e32 vcc_lo, 0, v0
	s_delay_alu instid0(VALU_DEP_2) | instskip(SKIP_1) | instid1(SALU_CYCLE_1)
	v_perm_b32 v20, v29, v28, 0x5040100
	s_and_b32 s1, vcc_lo, s0
	s_and_saveexec_b32 s0, s1
	s_cbranch_execz .LBB254_70
; %bb.69:
	v_add_nc_u32_e32 v24, -2, v22
	ds_load_u16 v24, v24
	s_waitcnt lgkmcnt(0)
	v_add_nc_u16 v24, v24, v5
.LBB254_70:
	s_or_b32 exec_lo, exec_lo, s0
	v_perm_b32 v25, v26, v25, 0x5040100
.LBB254_71:
	s_waitcnt vmcnt(0)
	v_alignbit_b32 v26, v7, v6, 16
	v_alignbit_b32 v5, v6, v5, 16
	;; [unrolled: 1-line block ×5, first 2 shown]
	v_pk_add_u16 v6, v21, v26
	v_alignbit_b32 v21, v3, v2, 16
	v_alignbit_b32 v3, v4, v3, 16
	v_pk_add_u16 v1, v16, v1
	v_alignbit_b32 v16, v9, v4, 16
	v_alignbit_b32 v9, v10, v9, 16
	;; [unrolled: 3-line block ×3, first 2 shown]
	v_pk_add_u16 v5, v20, v5
	v_pk_add_u16 v8, v19, v27
	;; [unrolled: 1-line block ×8, first 2 shown]
	v_mul_u32_u24_e32 v14, 46, v0
	v_mul_i32_i24_e32 v15, 0xffffffd4, v0
	s_add_u32 s0, s8, s6
	s_addc_u32 s1, s9, s7
	s_and_b32 vcc_lo, exec_lo, s22
	s_barrier
	buffer_gl0_inv
	s_cbranch_vccz .LBB254_117
; %bb.72:
	v_mad_u32_u24 v12, v0, 46, v15
	ds_store_b16 v14, v24
	ds_store_b128 v14, v[5:8] offset:2
	ds_store_b128 v14, v[1:4] offset:18
	ds_store_b96 v14, v[9:11] offset:34
	s_waitcnt lgkmcnt(0)
	s_barrier
	buffer_gl0_inv
	ds_load_u16 v39, v12 offset:256
	ds_load_u16 v38, v12 offset:512
	;; [unrolled: 1-line block ×22, first 2 shown]
	s_mov_b32 s5, 0
	s_add_i32 s11, s11, s10
	s_lshl_b64 s[2:3], s[4:5], 1
	s_delay_alu instid0(SALU_CYCLE_1) | instskip(SKIP_2) | instid1(VALU_DEP_1)
	s_add_u32 s2, s0, s2
	s_addc_u32 s3, s1, s3
	v_add_co_u32 v12, s2, s2, v22
	v_add_co_ci_u32_e64 v13, null, s3, 0, s2
	s_mov_b32 s2, exec_lo
	v_cmpx_gt_u32_e64 s11, v0
	s_cbranch_execz .LBB254_74
; %bb.73:
	v_add_nc_u32_e32 v40, v14, v15
	ds_load_u16 v40, v40
	s_waitcnt lgkmcnt(0)
	global_store_b16 v[12:13], v40, off
.LBB254_74:
	s_or_b32 exec_lo, exec_lo, s2
	v_or_b32_e32 v40, 0x80, v0
	s_mov_b32 s2, exec_lo
	s_delay_alu instid0(VALU_DEP_1)
	v_cmpx_gt_u32_e64 s11, v40
	s_cbranch_execz .LBB254_76
; %bb.75:
	s_waitcnt lgkmcnt(21)
	global_store_b16 v[12:13], v39, off offset:256
.LBB254_76:
	s_or_b32 exec_lo, exec_lo, s2
	s_waitcnt lgkmcnt(21)
	v_or_b32_e32 v39, 0x100, v0
	s_mov_b32 s2, exec_lo
	s_delay_alu instid0(VALU_DEP_1)
	v_cmpx_gt_u32_e64 s11, v39
	s_cbranch_execz .LBB254_78
; %bb.77:
	s_waitcnt lgkmcnt(20)
	global_store_b16 v[12:13], v38, off offset:512
.LBB254_78:
	s_or_b32 exec_lo, exec_lo, s2
	s_waitcnt lgkmcnt(20)
	;; [unrolled: 11-line block ×15, first 2 shown]
	v_or_b32_e32 v25, 0x800, v0
	s_mov_b32 s2, exec_lo
	s_delay_alu instid0(VALU_DEP_1)
	v_cmpx_gt_u32_e64 s11, v25
	s_cbranch_execz .LBB254_106
; %bb.105:
	v_add_co_u32 v25, vcc_lo, 0x1000, v12
	v_add_co_ci_u32_e32 v26, vcc_lo, 0, v13, vcc_lo
	s_waitcnt lgkmcnt(6)
	global_store_b16 v[25:26], v23, off
.LBB254_106:
	s_or_b32 exec_lo, exec_lo, s2
	s_waitcnt lgkmcnt(6)
	v_or_b32_e32 v23, 0x880, v0
	s_mov_b32 s2, exec_lo
	s_delay_alu instid0(VALU_DEP_1)
	v_cmpx_gt_u32_e64 s11, v23
	s_cbranch_execz .LBB254_108
; %bb.107:
	v_add_co_u32 v25, vcc_lo, 0x1000, v12
	v_add_co_ci_u32_e32 v26, vcc_lo, 0, v13, vcc_lo
	s_waitcnt lgkmcnt(5)
	global_store_b16 v[25:26], v21, off offset:256
.LBB254_108:
	s_or_b32 exec_lo, exec_lo, s2
	s_waitcnt lgkmcnt(5)
	v_or_b32_e32 v21, 0x900, v0
	s_mov_b32 s2, exec_lo
	s_delay_alu instid0(VALU_DEP_1)
	v_cmpx_gt_u32_e64 s11, v21
	s_cbranch_execz .LBB254_110
; %bb.109:
	v_add_co_u32 v25, vcc_lo, 0x1000, v12
	v_add_co_ci_u32_e32 v26, vcc_lo, 0, v13, vcc_lo
	s_waitcnt lgkmcnt(4)
	global_store_b16 v[25:26], v20, off offset:512
.LBB254_110:
	;; [unrolled: 13-line block ×5, first 2 shown]
	s_or_b32 exec_lo, exec_lo, s2
	s_waitcnt lgkmcnt(1)
	v_or_b32_e32 v17, 0xb00, v0
	s_delay_alu instid0(VALU_DEP_1)
	v_cmp_gt_u32_e64 s2, s11, v17
	s_branch .LBB254_119
.LBB254_117:
	s_mov_b32 s2, 0
                                        ; implicit-def: $vgpr16
                                        ; implicit-def: $vgpr12_vgpr13
	s_cbranch_execz .LBB254_119
; %bb.118:
	v_mad_u32_u24 v0, v0, 46, v15
	ds_store_b16 v14, v24
	ds_store_b128 v14, v[5:8] offset:2
	ds_store_b128 v14, v[1:4] offset:18
	ds_store_b96 v14, v[9:11] offset:34
	s_waitcnt lgkmcnt(0)
	s_waitcnt_vscnt null, 0x0
	s_barrier
	buffer_gl0_inv
	ds_load_u16 v2, v0
	ds_load_u16 v1, v0 offset:256
	ds_load_u16 v3, v0 offset:512
	;; [unrolled: 1-line block ×22, first 2 shown]
	s_mov_b32 s5, 0
	s_delay_alu instid0(SALU_CYCLE_1) | instskip(NEXT) | instid1(SALU_CYCLE_1)
	s_lshl_b64 s[4:5], s[4:5], 1
	s_add_u32 s0, s0, s4
	s_addc_u32 s1, s1, s5
	v_add_co_u32 v12, s3, s0, v22
	s_delay_alu instid0(VALU_DEP_1)
	v_add_co_ci_u32_e64 v13, null, s1, 0, s3
	s_waitcnt lgkmcnt(21)
	global_store_b16 v22, v1, s[0:1] offset:256
	s_waitcnt lgkmcnt(20)
	global_store_b16 v22, v3, s[0:1] offset:512
	;; [unrolled: 2-line block ×9, first 2 shown]
	v_add_co_u32 v0, vcc_lo, 0x1000, v12
	v_add_co_ci_u32_e32 v1, vcc_lo, 0, v13, vcc_lo
	s_or_b32 s2, s2, exec_lo
	s_waitcnt lgkmcnt(12)
	global_store_b16 v22, v11, s[0:1] offset:2560
	s_waitcnt lgkmcnt(11)
	global_store_b16 v22, v14, s[0:1] offset:2816
	;; [unrolled: 2-line block ×6, first 2 shown]
	s_waitcnt lgkmcnt(6)
	global_store_b16 v[0:1], v20, off
	s_waitcnt lgkmcnt(5)
	global_store_b16 v[0:1], v21, off offset:256
	s_waitcnt lgkmcnt(4)
	global_store_b16 v[0:1], v23, off offset:512
	;; [unrolled: 2-line block ×3, first 2 shown]
	s_waitcnt lgkmcnt(2)
	s_clause 0x1
	global_store_b16 v[0:1], v25, off offset:1024
	global_store_b16 v22, v2, s[0:1]
	s_waitcnt lgkmcnt(1)
	global_store_b16 v[0:1], v26, off offset:1280
.LBB254_119:
	s_delay_alu instid0(VALU_DEP_1)
	s_and_saveexec_b32 s0, s2
	s_cbranch_execnz .LBB254_121
; %bb.120:
	s_nop 0
	s_sendmsg sendmsg(MSG_DEALLOC_VGPRS)
	s_endpgm
.LBB254_121:
	v_add_co_u32 v0, vcc_lo, 0x1000, v12
	v_add_co_ci_u32_e32 v1, vcc_lo, 0, v13, vcc_lo
	s_waitcnt lgkmcnt(0)
	global_store_b16 v[0:1], v16, off offset:1536
	s_nop 0
	s_sendmsg sendmsg(MSG_DEALLOC_VGPRS)
	s_endpgm
	.section	.rodata,"a",@progbits
	.p2align	6, 0x0
	.amdhsa_kernel _ZN7rocprim17ROCPRIM_400000_NS6detail17trampoline_kernelINS0_14default_configENS1_35adjacent_difference_config_selectorILb1EtEEZNS1_24adjacent_difference_implIS3_Lb1ELb0EPtS7_N6thrust23THRUST_200600_302600_NS4plusItEEEE10hipError_tPvRmT2_T3_mT4_P12ihipStream_tbEUlT_E_NS1_11comp_targetILNS1_3genE9ELNS1_11target_archE1100ELNS1_3gpuE3ELNS1_3repE0EEENS1_30default_config_static_selectorELNS0_4arch9wavefront6targetE0EEEvT1_
		.amdhsa_group_segment_fixed_size 5888
		.amdhsa_private_segment_fixed_size 0
		.amdhsa_kernarg_size 56
		.amdhsa_user_sgpr_count 15
		.amdhsa_user_sgpr_dispatch_ptr 0
		.amdhsa_user_sgpr_queue_ptr 0
		.amdhsa_user_sgpr_kernarg_segment_ptr 1
		.amdhsa_user_sgpr_dispatch_id 0
		.amdhsa_user_sgpr_private_segment_size 0
		.amdhsa_wavefront_size32 1
		.amdhsa_uses_dynamic_stack 0
		.amdhsa_enable_private_segment 0
		.amdhsa_system_sgpr_workgroup_id_x 1
		.amdhsa_system_sgpr_workgroup_id_y 0
		.amdhsa_system_sgpr_workgroup_id_z 0
		.amdhsa_system_sgpr_workgroup_info 0
		.amdhsa_system_vgpr_workitem_id 0
		.amdhsa_next_free_vgpr 41
		.amdhsa_next_free_sgpr 26
		.amdhsa_reserve_vcc 1
		.amdhsa_float_round_mode_32 0
		.amdhsa_float_round_mode_16_64 0
		.amdhsa_float_denorm_mode_32 3
		.amdhsa_float_denorm_mode_16_64 3
		.amdhsa_dx10_clamp 1
		.amdhsa_ieee_mode 1
		.amdhsa_fp16_overflow 0
		.amdhsa_workgroup_processor_mode 1
		.amdhsa_memory_ordered 1
		.amdhsa_forward_progress 0
		.amdhsa_shared_vgpr_count 0
		.amdhsa_exception_fp_ieee_invalid_op 0
		.amdhsa_exception_fp_denorm_src 0
		.amdhsa_exception_fp_ieee_div_zero 0
		.amdhsa_exception_fp_ieee_overflow 0
		.amdhsa_exception_fp_ieee_underflow 0
		.amdhsa_exception_fp_ieee_inexact 0
		.amdhsa_exception_int_div_zero 0
	.end_amdhsa_kernel
	.section	.text._ZN7rocprim17ROCPRIM_400000_NS6detail17trampoline_kernelINS0_14default_configENS1_35adjacent_difference_config_selectorILb1EtEEZNS1_24adjacent_difference_implIS3_Lb1ELb0EPtS7_N6thrust23THRUST_200600_302600_NS4plusItEEEE10hipError_tPvRmT2_T3_mT4_P12ihipStream_tbEUlT_E_NS1_11comp_targetILNS1_3genE9ELNS1_11target_archE1100ELNS1_3gpuE3ELNS1_3repE0EEENS1_30default_config_static_selectorELNS0_4arch9wavefront6targetE0EEEvT1_,"axG",@progbits,_ZN7rocprim17ROCPRIM_400000_NS6detail17trampoline_kernelINS0_14default_configENS1_35adjacent_difference_config_selectorILb1EtEEZNS1_24adjacent_difference_implIS3_Lb1ELb0EPtS7_N6thrust23THRUST_200600_302600_NS4plusItEEEE10hipError_tPvRmT2_T3_mT4_P12ihipStream_tbEUlT_E_NS1_11comp_targetILNS1_3genE9ELNS1_11target_archE1100ELNS1_3gpuE3ELNS1_3repE0EEENS1_30default_config_static_selectorELNS0_4arch9wavefront6targetE0EEEvT1_,comdat
.Lfunc_end254:
	.size	_ZN7rocprim17ROCPRIM_400000_NS6detail17trampoline_kernelINS0_14default_configENS1_35adjacent_difference_config_selectorILb1EtEEZNS1_24adjacent_difference_implIS3_Lb1ELb0EPtS7_N6thrust23THRUST_200600_302600_NS4plusItEEEE10hipError_tPvRmT2_T3_mT4_P12ihipStream_tbEUlT_E_NS1_11comp_targetILNS1_3genE9ELNS1_11target_archE1100ELNS1_3gpuE3ELNS1_3repE0EEENS1_30default_config_static_selectorELNS0_4arch9wavefront6targetE0EEEvT1_, .Lfunc_end254-_ZN7rocprim17ROCPRIM_400000_NS6detail17trampoline_kernelINS0_14default_configENS1_35adjacent_difference_config_selectorILb1EtEEZNS1_24adjacent_difference_implIS3_Lb1ELb0EPtS7_N6thrust23THRUST_200600_302600_NS4plusItEEEE10hipError_tPvRmT2_T3_mT4_P12ihipStream_tbEUlT_E_NS1_11comp_targetILNS1_3genE9ELNS1_11target_archE1100ELNS1_3gpuE3ELNS1_3repE0EEENS1_30default_config_static_selectorELNS0_4arch9wavefront6targetE0EEEvT1_
                                        ; -- End function
	.section	.AMDGPU.csdata,"",@progbits
; Kernel info:
; codeLenInByte = 6144
; NumSgprs: 28
; NumVgprs: 41
; ScratchSize: 0
; MemoryBound: 0
; FloatMode: 240
; IeeeMode: 1
; LDSByteSize: 5888 bytes/workgroup (compile time only)
; SGPRBlocks: 3
; VGPRBlocks: 5
; NumSGPRsForWavesPerEU: 28
; NumVGPRsForWavesPerEU: 41
; Occupancy: 16
; WaveLimiterHint : 1
; COMPUTE_PGM_RSRC2:SCRATCH_EN: 0
; COMPUTE_PGM_RSRC2:USER_SGPR: 15
; COMPUTE_PGM_RSRC2:TRAP_HANDLER: 0
; COMPUTE_PGM_RSRC2:TGID_X_EN: 1
; COMPUTE_PGM_RSRC2:TGID_Y_EN: 0
; COMPUTE_PGM_RSRC2:TGID_Z_EN: 0
; COMPUTE_PGM_RSRC2:TIDIG_COMP_CNT: 0
	.section	.text._ZN7rocprim17ROCPRIM_400000_NS6detail17trampoline_kernelINS0_14default_configENS1_35adjacent_difference_config_selectorILb1EtEEZNS1_24adjacent_difference_implIS3_Lb1ELb0EPtS7_N6thrust23THRUST_200600_302600_NS4plusItEEEE10hipError_tPvRmT2_T3_mT4_P12ihipStream_tbEUlT_E_NS1_11comp_targetILNS1_3genE8ELNS1_11target_archE1030ELNS1_3gpuE2ELNS1_3repE0EEENS1_30default_config_static_selectorELNS0_4arch9wavefront6targetE0EEEvT1_,"axG",@progbits,_ZN7rocprim17ROCPRIM_400000_NS6detail17trampoline_kernelINS0_14default_configENS1_35adjacent_difference_config_selectorILb1EtEEZNS1_24adjacent_difference_implIS3_Lb1ELb0EPtS7_N6thrust23THRUST_200600_302600_NS4plusItEEEE10hipError_tPvRmT2_T3_mT4_P12ihipStream_tbEUlT_E_NS1_11comp_targetILNS1_3genE8ELNS1_11target_archE1030ELNS1_3gpuE2ELNS1_3repE0EEENS1_30default_config_static_selectorELNS0_4arch9wavefront6targetE0EEEvT1_,comdat
	.protected	_ZN7rocprim17ROCPRIM_400000_NS6detail17trampoline_kernelINS0_14default_configENS1_35adjacent_difference_config_selectorILb1EtEEZNS1_24adjacent_difference_implIS3_Lb1ELb0EPtS7_N6thrust23THRUST_200600_302600_NS4plusItEEEE10hipError_tPvRmT2_T3_mT4_P12ihipStream_tbEUlT_E_NS1_11comp_targetILNS1_3genE8ELNS1_11target_archE1030ELNS1_3gpuE2ELNS1_3repE0EEENS1_30default_config_static_selectorELNS0_4arch9wavefront6targetE0EEEvT1_ ; -- Begin function _ZN7rocprim17ROCPRIM_400000_NS6detail17trampoline_kernelINS0_14default_configENS1_35adjacent_difference_config_selectorILb1EtEEZNS1_24adjacent_difference_implIS3_Lb1ELb0EPtS7_N6thrust23THRUST_200600_302600_NS4plusItEEEE10hipError_tPvRmT2_T3_mT4_P12ihipStream_tbEUlT_E_NS1_11comp_targetILNS1_3genE8ELNS1_11target_archE1030ELNS1_3gpuE2ELNS1_3repE0EEENS1_30default_config_static_selectorELNS0_4arch9wavefront6targetE0EEEvT1_
	.globl	_ZN7rocprim17ROCPRIM_400000_NS6detail17trampoline_kernelINS0_14default_configENS1_35adjacent_difference_config_selectorILb1EtEEZNS1_24adjacent_difference_implIS3_Lb1ELb0EPtS7_N6thrust23THRUST_200600_302600_NS4plusItEEEE10hipError_tPvRmT2_T3_mT4_P12ihipStream_tbEUlT_E_NS1_11comp_targetILNS1_3genE8ELNS1_11target_archE1030ELNS1_3gpuE2ELNS1_3repE0EEENS1_30default_config_static_selectorELNS0_4arch9wavefront6targetE0EEEvT1_
	.p2align	8
	.type	_ZN7rocprim17ROCPRIM_400000_NS6detail17trampoline_kernelINS0_14default_configENS1_35adjacent_difference_config_selectorILb1EtEEZNS1_24adjacent_difference_implIS3_Lb1ELb0EPtS7_N6thrust23THRUST_200600_302600_NS4plusItEEEE10hipError_tPvRmT2_T3_mT4_P12ihipStream_tbEUlT_E_NS1_11comp_targetILNS1_3genE8ELNS1_11target_archE1030ELNS1_3gpuE2ELNS1_3repE0EEENS1_30default_config_static_selectorELNS0_4arch9wavefront6targetE0EEEvT1_,@function
_ZN7rocprim17ROCPRIM_400000_NS6detail17trampoline_kernelINS0_14default_configENS1_35adjacent_difference_config_selectorILb1EtEEZNS1_24adjacent_difference_implIS3_Lb1ELb0EPtS7_N6thrust23THRUST_200600_302600_NS4plusItEEEE10hipError_tPvRmT2_T3_mT4_P12ihipStream_tbEUlT_E_NS1_11comp_targetILNS1_3genE8ELNS1_11target_archE1030ELNS1_3gpuE2ELNS1_3repE0EEENS1_30default_config_static_selectorELNS0_4arch9wavefront6targetE0EEEvT1_: ; @_ZN7rocprim17ROCPRIM_400000_NS6detail17trampoline_kernelINS0_14default_configENS1_35adjacent_difference_config_selectorILb1EtEEZNS1_24adjacent_difference_implIS3_Lb1ELb0EPtS7_N6thrust23THRUST_200600_302600_NS4plusItEEEE10hipError_tPvRmT2_T3_mT4_P12ihipStream_tbEUlT_E_NS1_11comp_targetILNS1_3genE8ELNS1_11target_archE1030ELNS1_3gpuE2ELNS1_3repE0EEENS1_30default_config_static_selectorELNS0_4arch9wavefront6targetE0EEEvT1_
; %bb.0:
	.section	.rodata,"a",@progbits
	.p2align	6, 0x0
	.amdhsa_kernel _ZN7rocprim17ROCPRIM_400000_NS6detail17trampoline_kernelINS0_14default_configENS1_35adjacent_difference_config_selectorILb1EtEEZNS1_24adjacent_difference_implIS3_Lb1ELb0EPtS7_N6thrust23THRUST_200600_302600_NS4plusItEEEE10hipError_tPvRmT2_T3_mT4_P12ihipStream_tbEUlT_E_NS1_11comp_targetILNS1_3genE8ELNS1_11target_archE1030ELNS1_3gpuE2ELNS1_3repE0EEENS1_30default_config_static_selectorELNS0_4arch9wavefront6targetE0EEEvT1_
		.amdhsa_group_segment_fixed_size 0
		.amdhsa_private_segment_fixed_size 0
		.amdhsa_kernarg_size 56
		.amdhsa_user_sgpr_count 15
		.amdhsa_user_sgpr_dispatch_ptr 0
		.amdhsa_user_sgpr_queue_ptr 0
		.amdhsa_user_sgpr_kernarg_segment_ptr 1
		.amdhsa_user_sgpr_dispatch_id 0
		.amdhsa_user_sgpr_private_segment_size 0
		.amdhsa_wavefront_size32 1
		.amdhsa_uses_dynamic_stack 0
		.amdhsa_enable_private_segment 0
		.amdhsa_system_sgpr_workgroup_id_x 1
		.amdhsa_system_sgpr_workgroup_id_y 0
		.amdhsa_system_sgpr_workgroup_id_z 0
		.amdhsa_system_sgpr_workgroup_info 0
		.amdhsa_system_vgpr_workitem_id 0
		.amdhsa_next_free_vgpr 1
		.amdhsa_next_free_sgpr 1
		.amdhsa_reserve_vcc 0
		.amdhsa_float_round_mode_32 0
		.amdhsa_float_round_mode_16_64 0
		.amdhsa_float_denorm_mode_32 3
		.amdhsa_float_denorm_mode_16_64 3
		.amdhsa_dx10_clamp 1
		.amdhsa_ieee_mode 1
		.amdhsa_fp16_overflow 0
		.amdhsa_workgroup_processor_mode 1
		.amdhsa_memory_ordered 1
		.amdhsa_forward_progress 0
		.amdhsa_shared_vgpr_count 0
		.amdhsa_exception_fp_ieee_invalid_op 0
		.amdhsa_exception_fp_denorm_src 0
		.amdhsa_exception_fp_ieee_div_zero 0
		.amdhsa_exception_fp_ieee_overflow 0
		.amdhsa_exception_fp_ieee_underflow 0
		.amdhsa_exception_fp_ieee_inexact 0
		.amdhsa_exception_int_div_zero 0
	.end_amdhsa_kernel
	.section	.text._ZN7rocprim17ROCPRIM_400000_NS6detail17trampoline_kernelINS0_14default_configENS1_35adjacent_difference_config_selectorILb1EtEEZNS1_24adjacent_difference_implIS3_Lb1ELb0EPtS7_N6thrust23THRUST_200600_302600_NS4plusItEEEE10hipError_tPvRmT2_T3_mT4_P12ihipStream_tbEUlT_E_NS1_11comp_targetILNS1_3genE8ELNS1_11target_archE1030ELNS1_3gpuE2ELNS1_3repE0EEENS1_30default_config_static_selectorELNS0_4arch9wavefront6targetE0EEEvT1_,"axG",@progbits,_ZN7rocprim17ROCPRIM_400000_NS6detail17trampoline_kernelINS0_14default_configENS1_35adjacent_difference_config_selectorILb1EtEEZNS1_24adjacent_difference_implIS3_Lb1ELb0EPtS7_N6thrust23THRUST_200600_302600_NS4plusItEEEE10hipError_tPvRmT2_T3_mT4_P12ihipStream_tbEUlT_E_NS1_11comp_targetILNS1_3genE8ELNS1_11target_archE1030ELNS1_3gpuE2ELNS1_3repE0EEENS1_30default_config_static_selectorELNS0_4arch9wavefront6targetE0EEEvT1_,comdat
.Lfunc_end255:
	.size	_ZN7rocprim17ROCPRIM_400000_NS6detail17trampoline_kernelINS0_14default_configENS1_35adjacent_difference_config_selectorILb1EtEEZNS1_24adjacent_difference_implIS3_Lb1ELb0EPtS7_N6thrust23THRUST_200600_302600_NS4plusItEEEE10hipError_tPvRmT2_T3_mT4_P12ihipStream_tbEUlT_E_NS1_11comp_targetILNS1_3genE8ELNS1_11target_archE1030ELNS1_3gpuE2ELNS1_3repE0EEENS1_30default_config_static_selectorELNS0_4arch9wavefront6targetE0EEEvT1_, .Lfunc_end255-_ZN7rocprim17ROCPRIM_400000_NS6detail17trampoline_kernelINS0_14default_configENS1_35adjacent_difference_config_selectorILb1EtEEZNS1_24adjacent_difference_implIS3_Lb1ELb0EPtS7_N6thrust23THRUST_200600_302600_NS4plusItEEEE10hipError_tPvRmT2_T3_mT4_P12ihipStream_tbEUlT_E_NS1_11comp_targetILNS1_3genE8ELNS1_11target_archE1030ELNS1_3gpuE2ELNS1_3repE0EEENS1_30default_config_static_selectorELNS0_4arch9wavefront6targetE0EEEvT1_
                                        ; -- End function
	.section	.AMDGPU.csdata,"",@progbits
; Kernel info:
; codeLenInByte = 0
; NumSgprs: 0
; NumVgprs: 0
; ScratchSize: 0
; MemoryBound: 0
; FloatMode: 240
; IeeeMode: 1
; LDSByteSize: 0 bytes/workgroup (compile time only)
; SGPRBlocks: 0
; VGPRBlocks: 0
; NumSGPRsForWavesPerEU: 1
; NumVGPRsForWavesPerEU: 1
; Occupancy: 16
; WaveLimiterHint : 0
; COMPUTE_PGM_RSRC2:SCRATCH_EN: 0
; COMPUTE_PGM_RSRC2:USER_SGPR: 15
; COMPUTE_PGM_RSRC2:TRAP_HANDLER: 0
; COMPUTE_PGM_RSRC2:TGID_X_EN: 1
; COMPUTE_PGM_RSRC2:TGID_Y_EN: 0
; COMPUTE_PGM_RSRC2:TGID_Z_EN: 0
; COMPUTE_PGM_RSRC2:TIDIG_COMP_CNT: 0
	.section	.text._ZN6thrust23THRUST_200600_302600_NS11hip_rocprim14__parallel_for6kernelILj256ENS1_20__uninitialized_fill7functorINS0_10device_ptrIxEExEEmLj1EEEvT0_T1_SA_,"axG",@progbits,_ZN6thrust23THRUST_200600_302600_NS11hip_rocprim14__parallel_for6kernelILj256ENS1_20__uninitialized_fill7functorINS0_10device_ptrIxEExEEmLj1EEEvT0_T1_SA_,comdat
	.protected	_ZN6thrust23THRUST_200600_302600_NS11hip_rocprim14__parallel_for6kernelILj256ENS1_20__uninitialized_fill7functorINS0_10device_ptrIxEExEEmLj1EEEvT0_T1_SA_ ; -- Begin function _ZN6thrust23THRUST_200600_302600_NS11hip_rocprim14__parallel_for6kernelILj256ENS1_20__uninitialized_fill7functorINS0_10device_ptrIxEExEEmLj1EEEvT0_T1_SA_
	.globl	_ZN6thrust23THRUST_200600_302600_NS11hip_rocprim14__parallel_for6kernelILj256ENS1_20__uninitialized_fill7functorINS0_10device_ptrIxEExEEmLj1EEEvT0_T1_SA_
	.p2align	8
	.type	_ZN6thrust23THRUST_200600_302600_NS11hip_rocprim14__parallel_for6kernelILj256ENS1_20__uninitialized_fill7functorINS0_10device_ptrIxEExEEmLj1EEEvT0_T1_SA_,@function
_ZN6thrust23THRUST_200600_302600_NS11hip_rocprim14__parallel_for6kernelILj256ENS1_20__uninitialized_fill7functorINS0_10device_ptrIxEExEEmLj1EEEvT0_T1_SA_: ; @_ZN6thrust23THRUST_200600_302600_NS11hip_rocprim14__parallel_for6kernelILj256ENS1_20__uninitialized_fill7functorINS0_10device_ptrIxEExEEmLj1EEEvT0_T1_SA_
; %bb.0:
	s_load_b256 s[0:7], s[0:1], 0x0
	s_lshl_b32 s8, s15, 8
	s_waitcnt lgkmcnt(0)
	s_add_u32 s6, s8, s6
	s_addc_u32 s7, 0, s7
	s_sub_u32 s4, s4, s6
	s_subb_u32 s5, s5, s7
	s_delay_alu instid0(SALU_CYCLE_1) | instskip(NEXT) | instid1(VALU_DEP_1)
	v_cmp_gt_u64_e64 s5, 0x100, s[4:5]
	s_and_b32 vcc_lo, exec_lo, s5
	s_mov_b32 s5, 0
	s_cbranch_vccz .LBB256_2
; %bb.1:
	v_cmp_gt_u32_e32 vcc_lo, s4, v0
	s_and_b32 s5, vcc_lo, exec_lo
	s_cbranch_execz .LBB256_3
	s_branch .LBB256_4
.LBB256_2:
.LBB256_3:
	s_or_b32 s5, s5, exec_lo
.LBB256_4:
	s_delay_alu instid0(SALU_CYCLE_1)
	s_and_saveexec_b32 s4, s5
	s_cbranch_execnz .LBB256_6
; %bb.5:
	s_endpgm
.LBB256_6:
	v_dual_mov_b32 v1, 0 :: v_dual_mov_b32 v2, s2
	s_lshl_b64 s[4:5], s[6:7], 3
	v_mov_b32_e32 v3, s3
	s_add_u32 s0, s0, s4
	s_delay_alu instid0(VALU_DEP_2) | instskip(SKIP_1) | instid1(VALU_DEP_1)
	v_lshlrev_b64 v[0:1], 3, v[0:1]
	s_addc_u32 s1, s1, s5
	v_add_co_u32 v0, vcc_lo, s0, v0
	s_delay_alu instid0(VALU_DEP_2)
	v_add_co_ci_u32_e32 v1, vcc_lo, s1, v1, vcc_lo
	flat_store_b64 v[0:1], v[2:3]
	s_endpgm
	.section	.rodata,"a",@progbits
	.p2align	6, 0x0
	.amdhsa_kernel _ZN6thrust23THRUST_200600_302600_NS11hip_rocprim14__parallel_for6kernelILj256ENS1_20__uninitialized_fill7functorINS0_10device_ptrIxEExEEmLj1EEEvT0_T1_SA_
		.amdhsa_group_segment_fixed_size 0
		.amdhsa_private_segment_fixed_size 0
		.amdhsa_kernarg_size 32
		.amdhsa_user_sgpr_count 15
		.amdhsa_user_sgpr_dispatch_ptr 0
		.amdhsa_user_sgpr_queue_ptr 0
		.amdhsa_user_sgpr_kernarg_segment_ptr 1
		.amdhsa_user_sgpr_dispatch_id 0
		.amdhsa_user_sgpr_private_segment_size 0
		.amdhsa_wavefront_size32 1
		.amdhsa_uses_dynamic_stack 0
		.amdhsa_enable_private_segment 0
		.amdhsa_system_sgpr_workgroup_id_x 1
		.amdhsa_system_sgpr_workgroup_id_y 0
		.amdhsa_system_sgpr_workgroup_id_z 0
		.amdhsa_system_sgpr_workgroup_info 0
		.amdhsa_system_vgpr_workitem_id 0
		.amdhsa_next_free_vgpr 4
		.amdhsa_next_free_sgpr 16
		.amdhsa_reserve_vcc 1
		.amdhsa_float_round_mode_32 0
		.amdhsa_float_round_mode_16_64 0
		.amdhsa_float_denorm_mode_32 3
		.amdhsa_float_denorm_mode_16_64 3
		.amdhsa_dx10_clamp 1
		.amdhsa_ieee_mode 1
		.amdhsa_fp16_overflow 0
		.amdhsa_workgroup_processor_mode 1
		.amdhsa_memory_ordered 1
		.amdhsa_forward_progress 0
		.amdhsa_shared_vgpr_count 0
		.amdhsa_exception_fp_ieee_invalid_op 0
		.amdhsa_exception_fp_denorm_src 0
		.amdhsa_exception_fp_ieee_div_zero 0
		.amdhsa_exception_fp_ieee_overflow 0
		.amdhsa_exception_fp_ieee_underflow 0
		.amdhsa_exception_fp_ieee_inexact 0
		.amdhsa_exception_int_div_zero 0
	.end_amdhsa_kernel
	.section	.text._ZN6thrust23THRUST_200600_302600_NS11hip_rocprim14__parallel_for6kernelILj256ENS1_20__uninitialized_fill7functorINS0_10device_ptrIxEExEEmLj1EEEvT0_T1_SA_,"axG",@progbits,_ZN6thrust23THRUST_200600_302600_NS11hip_rocprim14__parallel_for6kernelILj256ENS1_20__uninitialized_fill7functorINS0_10device_ptrIxEExEEmLj1EEEvT0_T1_SA_,comdat
.Lfunc_end256:
	.size	_ZN6thrust23THRUST_200600_302600_NS11hip_rocprim14__parallel_for6kernelILj256ENS1_20__uninitialized_fill7functorINS0_10device_ptrIxEExEEmLj1EEEvT0_T1_SA_, .Lfunc_end256-_ZN6thrust23THRUST_200600_302600_NS11hip_rocprim14__parallel_for6kernelILj256ENS1_20__uninitialized_fill7functorINS0_10device_ptrIxEExEEmLj1EEEvT0_T1_SA_
                                        ; -- End function
	.section	.AMDGPU.csdata,"",@progbits
; Kernel info:
; codeLenInByte = 160
; NumSgprs: 18
; NumVgprs: 4
; ScratchSize: 0
; MemoryBound: 0
; FloatMode: 240
; IeeeMode: 1
; LDSByteSize: 0 bytes/workgroup (compile time only)
; SGPRBlocks: 2
; VGPRBlocks: 0
; NumSGPRsForWavesPerEU: 18
; NumVGPRsForWavesPerEU: 4
; Occupancy: 16
; WaveLimiterHint : 0
; COMPUTE_PGM_RSRC2:SCRATCH_EN: 0
; COMPUTE_PGM_RSRC2:USER_SGPR: 15
; COMPUTE_PGM_RSRC2:TRAP_HANDLER: 0
; COMPUTE_PGM_RSRC2:TGID_X_EN: 1
; COMPUTE_PGM_RSRC2:TGID_Y_EN: 0
; COMPUTE_PGM_RSRC2:TGID_Z_EN: 0
; COMPUTE_PGM_RSRC2:TIDIG_COMP_CNT: 0
	.section	.text._ZN7rocprim17ROCPRIM_400000_NS6detail17trampoline_kernelINS0_14default_configENS1_35adjacent_difference_config_selectorILb0ExEEZNS1_24adjacent_difference_implIS3_Lb0ELb0EPxS7_N6thrust23THRUST_200600_302600_NS5minusIxEEEE10hipError_tPvRmT2_T3_mT4_P12ihipStream_tbEUlT_E_NS1_11comp_targetILNS1_3genE0ELNS1_11target_archE4294967295ELNS1_3gpuE0ELNS1_3repE0EEENS1_30default_config_static_selectorELNS0_4arch9wavefront6targetE0EEEvT1_,"axG",@progbits,_ZN7rocprim17ROCPRIM_400000_NS6detail17trampoline_kernelINS0_14default_configENS1_35adjacent_difference_config_selectorILb0ExEEZNS1_24adjacent_difference_implIS3_Lb0ELb0EPxS7_N6thrust23THRUST_200600_302600_NS5minusIxEEEE10hipError_tPvRmT2_T3_mT4_P12ihipStream_tbEUlT_E_NS1_11comp_targetILNS1_3genE0ELNS1_11target_archE4294967295ELNS1_3gpuE0ELNS1_3repE0EEENS1_30default_config_static_selectorELNS0_4arch9wavefront6targetE0EEEvT1_,comdat
	.protected	_ZN7rocprim17ROCPRIM_400000_NS6detail17trampoline_kernelINS0_14default_configENS1_35adjacent_difference_config_selectorILb0ExEEZNS1_24adjacent_difference_implIS3_Lb0ELb0EPxS7_N6thrust23THRUST_200600_302600_NS5minusIxEEEE10hipError_tPvRmT2_T3_mT4_P12ihipStream_tbEUlT_E_NS1_11comp_targetILNS1_3genE0ELNS1_11target_archE4294967295ELNS1_3gpuE0ELNS1_3repE0EEENS1_30default_config_static_selectorELNS0_4arch9wavefront6targetE0EEEvT1_ ; -- Begin function _ZN7rocprim17ROCPRIM_400000_NS6detail17trampoline_kernelINS0_14default_configENS1_35adjacent_difference_config_selectorILb0ExEEZNS1_24adjacent_difference_implIS3_Lb0ELb0EPxS7_N6thrust23THRUST_200600_302600_NS5minusIxEEEE10hipError_tPvRmT2_T3_mT4_P12ihipStream_tbEUlT_E_NS1_11comp_targetILNS1_3genE0ELNS1_11target_archE4294967295ELNS1_3gpuE0ELNS1_3repE0EEENS1_30default_config_static_selectorELNS0_4arch9wavefront6targetE0EEEvT1_
	.globl	_ZN7rocprim17ROCPRIM_400000_NS6detail17trampoline_kernelINS0_14default_configENS1_35adjacent_difference_config_selectorILb0ExEEZNS1_24adjacent_difference_implIS3_Lb0ELb0EPxS7_N6thrust23THRUST_200600_302600_NS5minusIxEEEE10hipError_tPvRmT2_T3_mT4_P12ihipStream_tbEUlT_E_NS1_11comp_targetILNS1_3genE0ELNS1_11target_archE4294967295ELNS1_3gpuE0ELNS1_3repE0EEENS1_30default_config_static_selectorELNS0_4arch9wavefront6targetE0EEEvT1_
	.p2align	8
	.type	_ZN7rocprim17ROCPRIM_400000_NS6detail17trampoline_kernelINS0_14default_configENS1_35adjacent_difference_config_selectorILb0ExEEZNS1_24adjacent_difference_implIS3_Lb0ELb0EPxS7_N6thrust23THRUST_200600_302600_NS5minusIxEEEE10hipError_tPvRmT2_T3_mT4_P12ihipStream_tbEUlT_E_NS1_11comp_targetILNS1_3genE0ELNS1_11target_archE4294967295ELNS1_3gpuE0ELNS1_3repE0EEENS1_30default_config_static_selectorELNS0_4arch9wavefront6targetE0EEEvT1_,@function
_ZN7rocprim17ROCPRIM_400000_NS6detail17trampoline_kernelINS0_14default_configENS1_35adjacent_difference_config_selectorILb0ExEEZNS1_24adjacent_difference_implIS3_Lb0ELb0EPxS7_N6thrust23THRUST_200600_302600_NS5minusIxEEEE10hipError_tPvRmT2_T3_mT4_P12ihipStream_tbEUlT_E_NS1_11comp_targetILNS1_3genE0ELNS1_11target_archE4294967295ELNS1_3gpuE0ELNS1_3repE0EEENS1_30default_config_static_selectorELNS0_4arch9wavefront6targetE0EEEvT1_: ; @_ZN7rocprim17ROCPRIM_400000_NS6detail17trampoline_kernelINS0_14default_configENS1_35adjacent_difference_config_selectorILb0ExEEZNS1_24adjacent_difference_implIS3_Lb0ELb0EPxS7_N6thrust23THRUST_200600_302600_NS5minusIxEEEE10hipError_tPvRmT2_T3_mT4_P12ihipStream_tbEUlT_E_NS1_11comp_targetILNS1_3genE0ELNS1_11target_archE4294967295ELNS1_3gpuE0ELNS1_3repE0EEENS1_30default_config_static_selectorELNS0_4arch9wavefront6targetE0EEEvT1_
; %bb.0:
	.section	.rodata,"a",@progbits
	.p2align	6, 0x0
	.amdhsa_kernel _ZN7rocprim17ROCPRIM_400000_NS6detail17trampoline_kernelINS0_14default_configENS1_35adjacent_difference_config_selectorILb0ExEEZNS1_24adjacent_difference_implIS3_Lb0ELb0EPxS7_N6thrust23THRUST_200600_302600_NS5minusIxEEEE10hipError_tPvRmT2_T3_mT4_P12ihipStream_tbEUlT_E_NS1_11comp_targetILNS1_3genE0ELNS1_11target_archE4294967295ELNS1_3gpuE0ELNS1_3repE0EEENS1_30default_config_static_selectorELNS0_4arch9wavefront6targetE0EEEvT1_
		.amdhsa_group_segment_fixed_size 0
		.amdhsa_private_segment_fixed_size 0
		.amdhsa_kernarg_size 56
		.amdhsa_user_sgpr_count 15
		.amdhsa_user_sgpr_dispatch_ptr 0
		.amdhsa_user_sgpr_queue_ptr 0
		.amdhsa_user_sgpr_kernarg_segment_ptr 1
		.amdhsa_user_sgpr_dispatch_id 0
		.amdhsa_user_sgpr_private_segment_size 0
		.amdhsa_wavefront_size32 1
		.amdhsa_uses_dynamic_stack 0
		.amdhsa_enable_private_segment 0
		.amdhsa_system_sgpr_workgroup_id_x 1
		.amdhsa_system_sgpr_workgroup_id_y 0
		.amdhsa_system_sgpr_workgroup_id_z 0
		.amdhsa_system_sgpr_workgroup_info 0
		.amdhsa_system_vgpr_workitem_id 0
		.amdhsa_next_free_vgpr 1
		.amdhsa_next_free_sgpr 1
		.amdhsa_reserve_vcc 0
		.amdhsa_float_round_mode_32 0
		.amdhsa_float_round_mode_16_64 0
		.amdhsa_float_denorm_mode_32 3
		.amdhsa_float_denorm_mode_16_64 3
		.amdhsa_dx10_clamp 1
		.amdhsa_ieee_mode 1
		.amdhsa_fp16_overflow 0
		.amdhsa_workgroup_processor_mode 1
		.amdhsa_memory_ordered 1
		.amdhsa_forward_progress 0
		.amdhsa_shared_vgpr_count 0
		.amdhsa_exception_fp_ieee_invalid_op 0
		.amdhsa_exception_fp_denorm_src 0
		.amdhsa_exception_fp_ieee_div_zero 0
		.amdhsa_exception_fp_ieee_overflow 0
		.amdhsa_exception_fp_ieee_underflow 0
		.amdhsa_exception_fp_ieee_inexact 0
		.amdhsa_exception_int_div_zero 0
	.end_amdhsa_kernel
	.section	.text._ZN7rocprim17ROCPRIM_400000_NS6detail17trampoline_kernelINS0_14default_configENS1_35adjacent_difference_config_selectorILb0ExEEZNS1_24adjacent_difference_implIS3_Lb0ELb0EPxS7_N6thrust23THRUST_200600_302600_NS5minusIxEEEE10hipError_tPvRmT2_T3_mT4_P12ihipStream_tbEUlT_E_NS1_11comp_targetILNS1_3genE0ELNS1_11target_archE4294967295ELNS1_3gpuE0ELNS1_3repE0EEENS1_30default_config_static_selectorELNS0_4arch9wavefront6targetE0EEEvT1_,"axG",@progbits,_ZN7rocprim17ROCPRIM_400000_NS6detail17trampoline_kernelINS0_14default_configENS1_35adjacent_difference_config_selectorILb0ExEEZNS1_24adjacent_difference_implIS3_Lb0ELb0EPxS7_N6thrust23THRUST_200600_302600_NS5minusIxEEEE10hipError_tPvRmT2_T3_mT4_P12ihipStream_tbEUlT_E_NS1_11comp_targetILNS1_3genE0ELNS1_11target_archE4294967295ELNS1_3gpuE0ELNS1_3repE0EEENS1_30default_config_static_selectorELNS0_4arch9wavefront6targetE0EEEvT1_,comdat
.Lfunc_end257:
	.size	_ZN7rocprim17ROCPRIM_400000_NS6detail17trampoline_kernelINS0_14default_configENS1_35adjacent_difference_config_selectorILb0ExEEZNS1_24adjacent_difference_implIS3_Lb0ELb0EPxS7_N6thrust23THRUST_200600_302600_NS5minusIxEEEE10hipError_tPvRmT2_T3_mT4_P12ihipStream_tbEUlT_E_NS1_11comp_targetILNS1_3genE0ELNS1_11target_archE4294967295ELNS1_3gpuE0ELNS1_3repE0EEENS1_30default_config_static_selectorELNS0_4arch9wavefront6targetE0EEEvT1_, .Lfunc_end257-_ZN7rocprim17ROCPRIM_400000_NS6detail17trampoline_kernelINS0_14default_configENS1_35adjacent_difference_config_selectorILb0ExEEZNS1_24adjacent_difference_implIS3_Lb0ELb0EPxS7_N6thrust23THRUST_200600_302600_NS5minusIxEEEE10hipError_tPvRmT2_T3_mT4_P12ihipStream_tbEUlT_E_NS1_11comp_targetILNS1_3genE0ELNS1_11target_archE4294967295ELNS1_3gpuE0ELNS1_3repE0EEENS1_30default_config_static_selectorELNS0_4arch9wavefront6targetE0EEEvT1_
                                        ; -- End function
	.section	.AMDGPU.csdata,"",@progbits
; Kernel info:
; codeLenInByte = 0
; NumSgprs: 0
; NumVgprs: 0
; ScratchSize: 0
; MemoryBound: 0
; FloatMode: 240
; IeeeMode: 1
; LDSByteSize: 0 bytes/workgroup (compile time only)
; SGPRBlocks: 0
; VGPRBlocks: 0
; NumSGPRsForWavesPerEU: 1
; NumVGPRsForWavesPerEU: 1
; Occupancy: 16
; WaveLimiterHint : 0
; COMPUTE_PGM_RSRC2:SCRATCH_EN: 0
; COMPUTE_PGM_RSRC2:USER_SGPR: 15
; COMPUTE_PGM_RSRC2:TRAP_HANDLER: 0
; COMPUTE_PGM_RSRC2:TGID_X_EN: 1
; COMPUTE_PGM_RSRC2:TGID_Y_EN: 0
; COMPUTE_PGM_RSRC2:TGID_Z_EN: 0
; COMPUTE_PGM_RSRC2:TIDIG_COMP_CNT: 0
	.section	.text._ZN7rocprim17ROCPRIM_400000_NS6detail17trampoline_kernelINS0_14default_configENS1_35adjacent_difference_config_selectorILb0ExEEZNS1_24adjacent_difference_implIS3_Lb0ELb0EPxS7_N6thrust23THRUST_200600_302600_NS5minusIxEEEE10hipError_tPvRmT2_T3_mT4_P12ihipStream_tbEUlT_E_NS1_11comp_targetILNS1_3genE10ELNS1_11target_archE1201ELNS1_3gpuE5ELNS1_3repE0EEENS1_30default_config_static_selectorELNS0_4arch9wavefront6targetE0EEEvT1_,"axG",@progbits,_ZN7rocprim17ROCPRIM_400000_NS6detail17trampoline_kernelINS0_14default_configENS1_35adjacent_difference_config_selectorILb0ExEEZNS1_24adjacent_difference_implIS3_Lb0ELb0EPxS7_N6thrust23THRUST_200600_302600_NS5minusIxEEEE10hipError_tPvRmT2_T3_mT4_P12ihipStream_tbEUlT_E_NS1_11comp_targetILNS1_3genE10ELNS1_11target_archE1201ELNS1_3gpuE5ELNS1_3repE0EEENS1_30default_config_static_selectorELNS0_4arch9wavefront6targetE0EEEvT1_,comdat
	.protected	_ZN7rocprim17ROCPRIM_400000_NS6detail17trampoline_kernelINS0_14default_configENS1_35adjacent_difference_config_selectorILb0ExEEZNS1_24adjacent_difference_implIS3_Lb0ELb0EPxS7_N6thrust23THRUST_200600_302600_NS5minusIxEEEE10hipError_tPvRmT2_T3_mT4_P12ihipStream_tbEUlT_E_NS1_11comp_targetILNS1_3genE10ELNS1_11target_archE1201ELNS1_3gpuE5ELNS1_3repE0EEENS1_30default_config_static_selectorELNS0_4arch9wavefront6targetE0EEEvT1_ ; -- Begin function _ZN7rocprim17ROCPRIM_400000_NS6detail17trampoline_kernelINS0_14default_configENS1_35adjacent_difference_config_selectorILb0ExEEZNS1_24adjacent_difference_implIS3_Lb0ELb0EPxS7_N6thrust23THRUST_200600_302600_NS5minusIxEEEE10hipError_tPvRmT2_T3_mT4_P12ihipStream_tbEUlT_E_NS1_11comp_targetILNS1_3genE10ELNS1_11target_archE1201ELNS1_3gpuE5ELNS1_3repE0EEENS1_30default_config_static_selectorELNS0_4arch9wavefront6targetE0EEEvT1_
	.globl	_ZN7rocprim17ROCPRIM_400000_NS6detail17trampoline_kernelINS0_14default_configENS1_35adjacent_difference_config_selectorILb0ExEEZNS1_24adjacent_difference_implIS3_Lb0ELb0EPxS7_N6thrust23THRUST_200600_302600_NS5minusIxEEEE10hipError_tPvRmT2_T3_mT4_P12ihipStream_tbEUlT_E_NS1_11comp_targetILNS1_3genE10ELNS1_11target_archE1201ELNS1_3gpuE5ELNS1_3repE0EEENS1_30default_config_static_selectorELNS0_4arch9wavefront6targetE0EEEvT1_
	.p2align	8
	.type	_ZN7rocprim17ROCPRIM_400000_NS6detail17trampoline_kernelINS0_14default_configENS1_35adjacent_difference_config_selectorILb0ExEEZNS1_24adjacent_difference_implIS3_Lb0ELb0EPxS7_N6thrust23THRUST_200600_302600_NS5minusIxEEEE10hipError_tPvRmT2_T3_mT4_P12ihipStream_tbEUlT_E_NS1_11comp_targetILNS1_3genE10ELNS1_11target_archE1201ELNS1_3gpuE5ELNS1_3repE0EEENS1_30default_config_static_selectorELNS0_4arch9wavefront6targetE0EEEvT1_,@function
_ZN7rocprim17ROCPRIM_400000_NS6detail17trampoline_kernelINS0_14default_configENS1_35adjacent_difference_config_selectorILb0ExEEZNS1_24adjacent_difference_implIS3_Lb0ELb0EPxS7_N6thrust23THRUST_200600_302600_NS5minusIxEEEE10hipError_tPvRmT2_T3_mT4_P12ihipStream_tbEUlT_E_NS1_11comp_targetILNS1_3genE10ELNS1_11target_archE1201ELNS1_3gpuE5ELNS1_3repE0EEENS1_30default_config_static_selectorELNS0_4arch9wavefront6targetE0EEEvT1_: ; @_ZN7rocprim17ROCPRIM_400000_NS6detail17trampoline_kernelINS0_14default_configENS1_35adjacent_difference_config_selectorILb0ExEEZNS1_24adjacent_difference_implIS3_Lb0ELb0EPxS7_N6thrust23THRUST_200600_302600_NS5minusIxEEEE10hipError_tPvRmT2_T3_mT4_P12ihipStream_tbEUlT_E_NS1_11comp_targetILNS1_3genE10ELNS1_11target_archE1201ELNS1_3gpuE5ELNS1_3repE0EEENS1_30default_config_static_selectorELNS0_4arch9wavefront6targetE0EEEvT1_
; %bb.0:
	.section	.rodata,"a",@progbits
	.p2align	6, 0x0
	.amdhsa_kernel _ZN7rocprim17ROCPRIM_400000_NS6detail17trampoline_kernelINS0_14default_configENS1_35adjacent_difference_config_selectorILb0ExEEZNS1_24adjacent_difference_implIS3_Lb0ELb0EPxS7_N6thrust23THRUST_200600_302600_NS5minusIxEEEE10hipError_tPvRmT2_T3_mT4_P12ihipStream_tbEUlT_E_NS1_11comp_targetILNS1_3genE10ELNS1_11target_archE1201ELNS1_3gpuE5ELNS1_3repE0EEENS1_30default_config_static_selectorELNS0_4arch9wavefront6targetE0EEEvT1_
		.amdhsa_group_segment_fixed_size 0
		.amdhsa_private_segment_fixed_size 0
		.amdhsa_kernarg_size 56
		.amdhsa_user_sgpr_count 15
		.amdhsa_user_sgpr_dispatch_ptr 0
		.amdhsa_user_sgpr_queue_ptr 0
		.amdhsa_user_sgpr_kernarg_segment_ptr 1
		.amdhsa_user_sgpr_dispatch_id 0
		.amdhsa_user_sgpr_private_segment_size 0
		.amdhsa_wavefront_size32 1
		.amdhsa_uses_dynamic_stack 0
		.amdhsa_enable_private_segment 0
		.amdhsa_system_sgpr_workgroup_id_x 1
		.amdhsa_system_sgpr_workgroup_id_y 0
		.amdhsa_system_sgpr_workgroup_id_z 0
		.amdhsa_system_sgpr_workgroup_info 0
		.amdhsa_system_vgpr_workitem_id 0
		.amdhsa_next_free_vgpr 1
		.amdhsa_next_free_sgpr 1
		.amdhsa_reserve_vcc 0
		.amdhsa_float_round_mode_32 0
		.amdhsa_float_round_mode_16_64 0
		.amdhsa_float_denorm_mode_32 3
		.amdhsa_float_denorm_mode_16_64 3
		.amdhsa_dx10_clamp 1
		.amdhsa_ieee_mode 1
		.amdhsa_fp16_overflow 0
		.amdhsa_workgroup_processor_mode 1
		.amdhsa_memory_ordered 1
		.amdhsa_forward_progress 0
		.amdhsa_shared_vgpr_count 0
		.amdhsa_exception_fp_ieee_invalid_op 0
		.amdhsa_exception_fp_denorm_src 0
		.amdhsa_exception_fp_ieee_div_zero 0
		.amdhsa_exception_fp_ieee_overflow 0
		.amdhsa_exception_fp_ieee_underflow 0
		.amdhsa_exception_fp_ieee_inexact 0
		.amdhsa_exception_int_div_zero 0
	.end_amdhsa_kernel
	.section	.text._ZN7rocprim17ROCPRIM_400000_NS6detail17trampoline_kernelINS0_14default_configENS1_35adjacent_difference_config_selectorILb0ExEEZNS1_24adjacent_difference_implIS3_Lb0ELb0EPxS7_N6thrust23THRUST_200600_302600_NS5minusIxEEEE10hipError_tPvRmT2_T3_mT4_P12ihipStream_tbEUlT_E_NS1_11comp_targetILNS1_3genE10ELNS1_11target_archE1201ELNS1_3gpuE5ELNS1_3repE0EEENS1_30default_config_static_selectorELNS0_4arch9wavefront6targetE0EEEvT1_,"axG",@progbits,_ZN7rocprim17ROCPRIM_400000_NS6detail17trampoline_kernelINS0_14default_configENS1_35adjacent_difference_config_selectorILb0ExEEZNS1_24adjacent_difference_implIS3_Lb0ELb0EPxS7_N6thrust23THRUST_200600_302600_NS5minusIxEEEE10hipError_tPvRmT2_T3_mT4_P12ihipStream_tbEUlT_E_NS1_11comp_targetILNS1_3genE10ELNS1_11target_archE1201ELNS1_3gpuE5ELNS1_3repE0EEENS1_30default_config_static_selectorELNS0_4arch9wavefront6targetE0EEEvT1_,comdat
.Lfunc_end258:
	.size	_ZN7rocprim17ROCPRIM_400000_NS6detail17trampoline_kernelINS0_14default_configENS1_35adjacent_difference_config_selectorILb0ExEEZNS1_24adjacent_difference_implIS3_Lb0ELb0EPxS7_N6thrust23THRUST_200600_302600_NS5minusIxEEEE10hipError_tPvRmT2_T3_mT4_P12ihipStream_tbEUlT_E_NS1_11comp_targetILNS1_3genE10ELNS1_11target_archE1201ELNS1_3gpuE5ELNS1_3repE0EEENS1_30default_config_static_selectorELNS0_4arch9wavefront6targetE0EEEvT1_, .Lfunc_end258-_ZN7rocprim17ROCPRIM_400000_NS6detail17trampoline_kernelINS0_14default_configENS1_35adjacent_difference_config_selectorILb0ExEEZNS1_24adjacent_difference_implIS3_Lb0ELb0EPxS7_N6thrust23THRUST_200600_302600_NS5minusIxEEEE10hipError_tPvRmT2_T3_mT4_P12ihipStream_tbEUlT_E_NS1_11comp_targetILNS1_3genE10ELNS1_11target_archE1201ELNS1_3gpuE5ELNS1_3repE0EEENS1_30default_config_static_selectorELNS0_4arch9wavefront6targetE0EEEvT1_
                                        ; -- End function
	.section	.AMDGPU.csdata,"",@progbits
; Kernel info:
; codeLenInByte = 0
; NumSgprs: 0
; NumVgprs: 0
; ScratchSize: 0
; MemoryBound: 0
; FloatMode: 240
; IeeeMode: 1
; LDSByteSize: 0 bytes/workgroup (compile time only)
; SGPRBlocks: 0
; VGPRBlocks: 0
; NumSGPRsForWavesPerEU: 1
; NumVGPRsForWavesPerEU: 1
; Occupancy: 16
; WaveLimiterHint : 0
; COMPUTE_PGM_RSRC2:SCRATCH_EN: 0
; COMPUTE_PGM_RSRC2:USER_SGPR: 15
; COMPUTE_PGM_RSRC2:TRAP_HANDLER: 0
; COMPUTE_PGM_RSRC2:TGID_X_EN: 1
; COMPUTE_PGM_RSRC2:TGID_Y_EN: 0
; COMPUTE_PGM_RSRC2:TGID_Z_EN: 0
; COMPUTE_PGM_RSRC2:TIDIG_COMP_CNT: 0
	.section	.text._ZN7rocprim17ROCPRIM_400000_NS6detail17trampoline_kernelINS0_14default_configENS1_35adjacent_difference_config_selectorILb0ExEEZNS1_24adjacent_difference_implIS3_Lb0ELb0EPxS7_N6thrust23THRUST_200600_302600_NS5minusIxEEEE10hipError_tPvRmT2_T3_mT4_P12ihipStream_tbEUlT_E_NS1_11comp_targetILNS1_3genE5ELNS1_11target_archE942ELNS1_3gpuE9ELNS1_3repE0EEENS1_30default_config_static_selectorELNS0_4arch9wavefront6targetE0EEEvT1_,"axG",@progbits,_ZN7rocprim17ROCPRIM_400000_NS6detail17trampoline_kernelINS0_14default_configENS1_35adjacent_difference_config_selectorILb0ExEEZNS1_24adjacent_difference_implIS3_Lb0ELb0EPxS7_N6thrust23THRUST_200600_302600_NS5minusIxEEEE10hipError_tPvRmT2_T3_mT4_P12ihipStream_tbEUlT_E_NS1_11comp_targetILNS1_3genE5ELNS1_11target_archE942ELNS1_3gpuE9ELNS1_3repE0EEENS1_30default_config_static_selectorELNS0_4arch9wavefront6targetE0EEEvT1_,comdat
	.protected	_ZN7rocprim17ROCPRIM_400000_NS6detail17trampoline_kernelINS0_14default_configENS1_35adjacent_difference_config_selectorILb0ExEEZNS1_24adjacent_difference_implIS3_Lb0ELb0EPxS7_N6thrust23THRUST_200600_302600_NS5minusIxEEEE10hipError_tPvRmT2_T3_mT4_P12ihipStream_tbEUlT_E_NS1_11comp_targetILNS1_3genE5ELNS1_11target_archE942ELNS1_3gpuE9ELNS1_3repE0EEENS1_30default_config_static_selectorELNS0_4arch9wavefront6targetE0EEEvT1_ ; -- Begin function _ZN7rocprim17ROCPRIM_400000_NS6detail17trampoline_kernelINS0_14default_configENS1_35adjacent_difference_config_selectorILb0ExEEZNS1_24adjacent_difference_implIS3_Lb0ELb0EPxS7_N6thrust23THRUST_200600_302600_NS5minusIxEEEE10hipError_tPvRmT2_T3_mT4_P12ihipStream_tbEUlT_E_NS1_11comp_targetILNS1_3genE5ELNS1_11target_archE942ELNS1_3gpuE9ELNS1_3repE0EEENS1_30default_config_static_selectorELNS0_4arch9wavefront6targetE0EEEvT1_
	.globl	_ZN7rocprim17ROCPRIM_400000_NS6detail17trampoline_kernelINS0_14default_configENS1_35adjacent_difference_config_selectorILb0ExEEZNS1_24adjacent_difference_implIS3_Lb0ELb0EPxS7_N6thrust23THRUST_200600_302600_NS5minusIxEEEE10hipError_tPvRmT2_T3_mT4_P12ihipStream_tbEUlT_E_NS1_11comp_targetILNS1_3genE5ELNS1_11target_archE942ELNS1_3gpuE9ELNS1_3repE0EEENS1_30default_config_static_selectorELNS0_4arch9wavefront6targetE0EEEvT1_
	.p2align	8
	.type	_ZN7rocprim17ROCPRIM_400000_NS6detail17trampoline_kernelINS0_14default_configENS1_35adjacent_difference_config_selectorILb0ExEEZNS1_24adjacent_difference_implIS3_Lb0ELb0EPxS7_N6thrust23THRUST_200600_302600_NS5minusIxEEEE10hipError_tPvRmT2_T3_mT4_P12ihipStream_tbEUlT_E_NS1_11comp_targetILNS1_3genE5ELNS1_11target_archE942ELNS1_3gpuE9ELNS1_3repE0EEENS1_30default_config_static_selectorELNS0_4arch9wavefront6targetE0EEEvT1_,@function
_ZN7rocprim17ROCPRIM_400000_NS6detail17trampoline_kernelINS0_14default_configENS1_35adjacent_difference_config_selectorILb0ExEEZNS1_24adjacent_difference_implIS3_Lb0ELb0EPxS7_N6thrust23THRUST_200600_302600_NS5minusIxEEEE10hipError_tPvRmT2_T3_mT4_P12ihipStream_tbEUlT_E_NS1_11comp_targetILNS1_3genE5ELNS1_11target_archE942ELNS1_3gpuE9ELNS1_3repE0EEENS1_30default_config_static_selectorELNS0_4arch9wavefront6targetE0EEEvT1_: ; @_ZN7rocprim17ROCPRIM_400000_NS6detail17trampoline_kernelINS0_14default_configENS1_35adjacent_difference_config_selectorILb0ExEEZNS1_24adjacent_difference_implIS3_Lb0ELb0EPxS7_N6thrust23THRUST_200600_302600_NS5minusIxEEEE10hipError_tPvRmT2_T3_mT4_P12ihipStream_tbEUlT_E_NS1_11comp_targetILNS1_3genE5ELNS1_11target_archE942ELNS1_3gpuE9ELNS1_3repE0EEENS1_30default_config_static_selectorELNS0_4arch9wavefront6targetE0EEEvT1_
; %bb.0:
	.section	.rodata,"a",@progbits
	.p2align	6, 0x0
	.amdhsa_kernel _ZN7rocprim17ROCPRIM_400000_NS6detail17trampoline_kernelINS0_14default_configENS1_35adjacent_difference_config_selectorILb0ExEEZNS1_24adjacent_difference_implIS3_Lb0ELb0EPxS7_N6thrust23THRUST_200600_302600_NS5minusIxEEEE10hipError_tPvRmT2_T3_mT4_P12ihipStream_tbEUlT_E_NS1_11comp_targetILNS1_3genE5ELNS1_11target_archE942ELNS1_3gpuE9ELNS1_3repE0EEENS1_30default_config_static_selectorELNS0_4arch9wavefront6targetE0EEEvT1_
		.amdhsa_group_segment_fixed_size 0
		.amdhsa_private_segment_fixed_size 0
		.amdhsa_kernarg_size 56
		.amdhsa_user_sgpr_count 15
		.amdhsa_user_sgpr_dispatch_ptr 0
		.amdhsa_user_sgpr_queue_ptr 0
		.amdhsa_user_sgpr_kernarg_segment_ptr 1
		.amdhsa_user_sgpr_dispatch_id 0
		.amdhsa_user_sgpr_private_segment_size 0
		.amdhsa_wavefront_size32 1
		.amdhsa_uses_dynamic_stack 0
		.amdhsa_enable_private_segment 0
		.amdhsa_system_sgpr_workgroup_id_x 1
		.amdhsa_system_sgpr_workgroup_id_y 0
		.amdhsa_system_sgpr_workgroup_id_z 0
		.amdhsa_system_sgpr_workgroup_info 0
		.amdhsa_system_vgpr_workitem_id 0
		.amdhsa_next_free_vgpr 1
		.amdhsa_next_free_sgpr 1
		.amdhsa_reserve_vcc 0
		.amdhsa_float_round_mode_32 0
		.amdhsa_float_round_mode_16_64 0
		.amdhsa_float_denorm_mode_32 3
		.amdhsa_float_denorm_mode_16_64 3
		.amdhsa_dx10_clamp 1
		.amdhsa_ieee_mode 1
		.amdhsa_fp16_overflow 0
		.amdhsa_workgroup_processor_mode 1
		.amdhsa_memory_ordered 1
		.amdhsa_forward_progress 0
		.amdhsa_shared_vgpr_count 0
		.amdhsa_exception_fp_ieee_invalid_op 0
		.amdhsa_exception_fp_denorm_src 0
		.amdhsa_exception_fp_ieee_div_zero 0
		.amdhsa_exception_fp_ieee_overflow 0
		.amdhsa_exception_fp_ieee_underflow 0
		.amdhsa_exception_fp_ieee_inexact 0
		.amdhsa_exception_int_div_zero 0
	.end_amdhsa_kernel
	.section	.text._ZN7rocprim17ROCPRIM_400000_NS6detail17trampoline_kernelINS0_14default_configENS1_35adjacent_difference_config_selectorILb0ExEEZNS1_24adjacent_difference_implIS3_Lb0ELb0EPxS7_N6thrust23THRUST_200600_302600_NS5minusIxEEEE10hipError_tPvRmT2_T3_mT4_P12ihipStream_tbEUlT_E_NS1_11comp_targetILNS1_3genE5ELNS1_11target_archE942ELNS1_3gpuE9ELNS1_3repE0EEENS1_30default_config_static_selectorELNS0_4arch9wavefront6targetE0EEEvT1_,"axG",@progbits,_ZN7rocprim17ROCPRIM_400000_NS6detail17trampoline_kernelINS0_14default_configENS1_35adjacent_difference_config_selectorILb0ExEEZNS1_24adjacent_difference_implIS3_Lb0ELb0EPxS7_N6thrust23THRUST_200600_302600_NS5minusIxEEEE10hipError_tPvRmT2_T3_mT4_P12ihipStream_tbEUlT_E_NS1_11comp_targetILNS1_3genE5ELNS1_11target_archE942ELNS1_3gpuE9ELNS1_3repE0EEENS1_30default_config_static_selectorELNS0_4arch9wavefront6targetE0EEEvT1_,comdat
.Lfunc_end259:
	.size	_ZN7rocprim17ROCPRIM_400000_NS6detail17trampoline_kernelINS0_14default_configENS1_35adjacent_difference_config_selectorILb0ExEEZNS1_24adjacent_difference_implIS3_Lb0ELb0EPxS7_N6thrust23THRUST_200600_302600_NS5minusIxEEEE10hipError_tPvRmT2_T3_mT4_P12ihipStream_tbEUlT_E_NS1_11comp_targetILNS1_3genE5ELNS1_11target_archE942ELNS1_3gpuE9ELNS1_3repE0EEENS1_30default_config_static_selectorELNS0_4arch9wavefront6targetE0EEEvT1_, .Lfunc_end259-_ZN7rocprim17ROCPRIM_400000_NS6detail17trampoline_kernelINS0_14default_configENS1_35adjacent_difference_config_selectorILb0ExEEZNS1_24adjacent_difference_implIS3_Lb0ELb0EPxS7_N6thrust23THRUST_200600_302600_NS5minusIxEEEE10hipError_tPvRmT2_T3_mT4_P12ihipStream_tbEUlT_E_NS1_11comp_targetILNS1_3genE5ELNS1_11target_archE942ELNS1_3gpuE9ELNS1_3repE0EEENS1_30default_config_static_selectorELNS0_4arch9wavefront6targetE0EEEvT1_
                                        ; -- End function
	.section	.AMDGPU.csdata,"",@progbits
; Kernel info:
; codeLenInByte = 0
; NumSgprs: 0
; NumVgprs: 0
; ScratchSize: 0
; MemoryBound: 0
; FloatMode: 240
; IeeeMode: 1
; LDSByteSize: 0 bytes/workgroup (compile time only)
; SGPRBlocks: 0
; VGPRBlocks: 0
; NumSGPRsForWavesPerEU: 1
; NumVGPRsForWavesPerEU: 1
; Occupancy: 16
; WaveLimiterHint : 0
; COMPUTE_PGM_RSRC2:SCRATCH_EN: 0
; COMPUTE_PGM_RSRC2:USER_SGPR: 15
; COMPUTE_PGM_RSRC2:TRAP_HANDLER: 0
; COMPUTE_PGM_RSRC2:TGID_X_EN: 1
; COMPUTE_PGM_RSRC2:TGID_Y_EN: 0
; COMPUTE_PGM_RSRC2:TGID_Z_EN: 0
; COMPUTE_PGM_RSRC2:TIDIG_COMP_CNT: 0
	.section	.text._ZN7rocprim17ROCPRIM_400000_NS6detail17trampoline_kernelINS0_14default_configENS1_35adjacent_difference_config_selectorILb0ExEEZNS1_24adjacent_difference_implIS3_Lb0ELb0EPxS7_N6thrust23THRUST_200600_302600_NS5minusIxEEEE10hipError_tPvRmT2_T3_mT4_P12ihipStream_tbEUlT_E_NS1_11comp_targetILNS1_3genE4ELNS1_11target_archE910ELNS1_3gpuE8ELNS1_3repE0EEENS1_30default_config_static_selectorELNS0_4arch9wavefront6targetE0EEEvT1_,"axG",@progbits,_ZN7rocprim17ROCPRIM_400000_NS6detail17trampoline_kernelINS0_14default_configENS1_35adjacent_difference_config_selectorILb0ExEEZNS1_24adjacent_difference_implIS3_Lb0ELb0EPxS7_N6thrust23THRUST_200600_302600_NS5minusIxEEEE10hipError_tPvRmT2_T3_mT4_P12ihipStream_tbEUlT_E_NS1_11comp_targetILNS1_3genE4ELNS1_11target_archE910ELNS1_3gpuE8ELNS1_3repE0EEENS1_30default_config_static_selectorELNS0_4arch9wavefront6targetE0EEEvT1_,comdat
	.protected	_ZN7rocprim17ROCPRIM_400000_NS6detail17trampoline_kernelINS0_14default_configENS1_35adjacent_difference_config_selectorILb0ExEEZNS1_24adjacent_difference_implIS3_Lb0ELb0EPxS7_N6thrust23THRUST_200600_302600_NS5minusIxEEEE10hipError_tPvRmT2_T3_mT4_P12ihipStream_tbEUlT_E_NS1_11comp_targetILNS1_3genE4ELNS1_11target_archE910ELNS1_3gpuE8ELNS1_3repE0EEENS1_30default_config_static_selectorELNS0_4arch9wavefront6targetE0EEEvT1_ ; -- Begin function _ZN7rocprim17ROCPRIM_400000_NS6detail17trampoline_kernelINS0_14default_configENS1_35adjacent_difference_config_selectorILb0ExEEZNS1_24adjacent_difference_implIS3_Lb0ELb0EPxS7_N6thrust23THRUST_200600_302600_NS5minusIxEEEE10hipError_tPvRmT2_T3_mT4_P12ihipStream_tbEUlT_E_NS1_11comp_targetILNS1_3genE4ELNS1_11target_archE910ELNS1_3gpuE8ELNS1_3repE0EEENS1_30default_config_static_selectorELNS0_4arch9wavefront6targetE0EEEvT1_
	.globl	_ZN7rocprim17ROCPRIM_400000_NS6detail17trampoline_kernelINS0_14default_configENS1_35adjacent_difference_config_selectorILb0ExEEZNS1_24adjacent_difference_implIS3_Lb0ELb0EPxS7_N6thrust23THRUST_200600_302600_NS5minusIxEEEE10hipError_tPvRmT2_T3_mT4_P12ihipStream_tbEUlT_E_NS1_11comp_targetILNS1_3genE4ELNS1_11target_archE910ELNS1_3gpuE8ELNS1_3repE0EEENS1_30default_config_static_selectorELNS0_4arch9wavefront6targetE0EEEvT1_
	.p2align	8
	.type	_ZN7rocprim17ROCPRIM_400000_NS6detail17trampoline_kernelINS0_14default_configENS1_35adjacent_difference_config_selectorILb0ExEEZNS1_24adjacent_difference_implIS3_Lb0ELb0EPxS7_N6thrust23THRUST_200600_302600_NS5minusIxEEEE10hipError_tPvRmT2_T3_mT4_P12ihipStream_tbEUlT_E_NS1_11comp_targetILNS1_3genE4ELNS1_11target_archE910ELNS1_3gpuE8ELNS1_3repE0EEENS1_30default_config_static_selectorELNS0_4arch9wavefront6targetE0EEEvT1_,@function
_ZN7rocprim17ROCPRIM_400000_NS6detail17trampoline_kernelINS0_14default_configENS1_35adjacent_difference_config_selectorILb0ExEEZNS1_24adjacent_difference_implIS3_Lb0ELb0EPxS7_N6thrust23THRUST_200600_302600_NS5minusIxEEEE10hipError_tPvRmT2_T3_mT4_P12ihipStream_tbEUlT_E_NS1_11comp_targetILNS1_3genE4ELNS1_11target_archE910ELNS1_3gpuE8ELNS1_3repE0EEENS1_30default_config_static_selectorELNS0_4arch9wavefront6targetE0EEEvT1_: ; @_ZN7rocprim17ROCPRIM_400000_NS6detail17trampoline_kernelINS0_14default_configENS1_35adjacent_difference_config_selectorILb0ExEEZNS1_24adjacent_difference_implIS3_Lb0ELb0EPxS7_N6thrust23THRUST_200600_302600_NS5minusIxEEEE10hipError_tPvRmT2_T3_mT4_P12ihipStream_tbEUlT_E_NS1_11comp_targetILNS1_3genE4ELNS1_11target_archE910ELNS1_3gpuE8ELNS1_3repE0EEENS1_30default_config_static_selectorELNS0_4arch9wavefront6targetE0EEEvT1_
; %bb.0:
	.section	.rodata,"a",@progbits
	.p2align	6, 0x0
	.amdhsa_kernel _ZN7rocprim17ROCPRIM_400000_NS6detail17trampoline_kernelINS0_14default_configENS1_35adjacent_difference_config_selectorILb0ExEEZNS1_24adjacent_difference_implIS3_Lb0ELb0EPxS7_N6thrust23THRUST_200600_302600_NS5minusIxEEEE10hipError_tPvRmT2_T3_mT4_P12ihipStream_tbEUlT_E_NS1_11comp_targetILNS1_3genE4ELNS1_11target_archE910ELNS1_3gpuE8ELNS1_3repE0EEENS1_30default_config_static_selectorELNS0_4arch9wavefront6targetE0EEEvT1_
		.amdhsa_group_segment_fixed_size 0
		.amdhsa_private_segment_fixed_size 0
		.amdhsa_kernarg_size 56
		.amdhsa_user_sgpr_count 15
		.amdhsa_user_sgpr_dispatch_ptr 0
		.amdhsa_user_sgpr_queue_ptr 0
		.amdhsa_user_sgpr_kernarg_segment_ptr 1
		.amdhsa_user_sgpr_dispatch_id 0
		.amdhsa_user_sgpr_private_segment_size 0
		.amdhsa_wavefront_size32 1
		.amdhsa_uses_dynamic_stack 0
		.amdhsa_enable_private_segment 0
		.amdhsa_system_sgpr_workgroup_id_x 1
		.amdhsa_system_sgpr_workgroup_id_y 0
		.amdhsa_system_sgpr_workgroup_id_z 0
		.amdhsa_system_sgpr_workgroup_info 0
		.amdhsa_system_vgpr_workitem_id 0
		.amdhsa_next_free_vgpr 1
		.amdhsa_next_free_sgpr 1
		.amdhsa_reserve_vcc 0
		.amdhsa_float_round_mode_32 0
		.amdhsa_float_round_mode_16_64 0
		.amdhsa_float_denorm_mode_32 3
		.amdhsa_float_denorm_mode_16_64 3
		.amdhsa_dx10_clamp 1
		.amdhsa_ieee_mode 1
		.amdhsa_fp16_overflow 0
		.amdhsa_workgroup_processor_mode 1
		.amdhsa_memory_ordered 1
		.amdhsa_forward_progress 0
		.amdhsa_shared_vgpr_count 0
		.amdhsa_exception_fp_ieee_invalid_op 0
		.amdhsa_exception_fp_denorm_src 0
		.amdhsa_exception_fp_ieee_div_zero 0
		.amdhsa_exception_fp_ieee_overflow 0
		.amdhsa_exception_fp_ieee_underflow 0
		.amdhsa_exception_fp_ieee_inexact 0
		.amdhsa_exception_int_div_zero 0
	.end_amdhsa_kernel
	.section	.text._ZN7rocprim17ROCPRIM_400000_NS6detail17trampoline_kernelINS0_14default_configENS1_35adjacent_difference_config_selectorILb0ExEEZNS1_24adjacent_difference_implIS3_Lb0ELb0EPxS7_N6thrust23THRUST_200600_302600_NS5minusIxEEEE10hipError_tPvRmT2_T3_mT4_P12ihipStream_tbEUlT_E_NS1_11comp_targetILNS1_3genE4ELNS1_11target_archE910ELNS1_3gpuE8ELNS1_3repE0EEENS1_30default_config_static_selectorELNS0_4arch9wavefront6targetE0EEEvT1_,"axG",@progbits,_ZN7rocprim17ROCPRIM_400000_NS6detail17trampoline_kernelINS0_14default_configENS1_35adjacent_difference_config_selectorILb0ExEEZNS1_24adjacent_difference_implIS3_Lb0ELb0EPxS7_N6thrust23THRUST_200600_302600_NS5minusIxEEEE10hipError_tPvRmT2_T3_mT4_P12ihipStream_tbEUlT_E_NS1_11comp_targetILNS1_3genE4ELNS1_11target_archE910ELNS1_3gpuE8ELNS1_3repE0EEENS1_30default_config_static_selectorELNS0_4arch9wavefront6targetE0EEEvT1_,comdat
.Lfunc_end260:
	.size	_ZN7rocprim17ROCPRIM_400000_NS6detail17trampoline_kernelINS0_14default_configENS1_35adjacent_difference_config_selectorILb0ExEEZNS1_24adjacent_difference_implIS3_Lb0ELb0EPxS7_N6thrust23THRUST_200600_302600_NS5minusIxEEEE10hipError_tPvRmT2_T3_mT4_P12ihipStream_tbEUlT_E_NS1_11comp_targetILNS1_3genE4ELNS1_11target_archE910ELNS1_3gpuE8ELNS1_3repE0EEENS1_30default_config_static_selectorELNS0_4arch9wavefront6targetE0EEEvT1_, .Lfunc_end260-_ZN7rocprim17ROCPRIM_400000_NS6detail17trampoline_kernelINS0_14default_configENS1_35adjacent_difference_config_selectorILb0ExEEZNS1_24adjacent_difference_implIS3_Lb0ELb0EPxS7_N6thrust23THRUST_200600_302600_NS5minusIxEEEE10hipError_tPvRmT2_T3_mT4_P12ihipStream_tbEUlT_E_NS1_11comp_targetILNS1_3genE4ELNS1_11target_archE910ELNS1_3gpuE8ELNS1_3repE0EEENS1_30default_config_static_selectorELNS0_4arch9wavefront6targetE0EEEvT1_
                                        ; -- End function
	.section	.AMDGPU.csdata,"",@progbits
; Kernel info:
; codeLenInByte = 0
; NumSgprs: 0
; NumVgprs: 0
; ScratchSize: 0
; MemoryBound: 0
; FloatMode: 240
; IeeeMode: 1
; LDSByteSize: 0 bytes/workgroup (compile time only)
; SGPRBlocks: 0
; VGPRBlocks: 0
; NumSGPRsForWavesPerEU: 1
; NumVGPRsForWavesPerEU: 1
; Occupancy: 16
; WaveLimiterHint : 0
; COMPUTE_PGM_RSRC2:SCRATCH_EN: 0
; COMPUTE_PGM_RSRC2:USER_SGPR: 15
; COMPUTE_PGM_RSRC2:TRAP_HANDLER: 0
; COMPUTE_PGM_RSRC2:TGID_X_EN: 1
; COMPUTE_PGM_RSRC2:TGID_Y_EN: 0
; COMPUTE_PGM_RSRC2:TGID_Z_EN: 0
; COMPUTE_PGM_RSRC2:TIDIG_COMP_CNT: 0
	.section	.text._ZN7rocprim17ROCPRIM_400000_NS6detail17trampoline_kernelINS0_14default_configENS1_35adjacent_difference_config_selectorILb0ExEEZNS1_24adjacent_difference_implIS3_Lb0ELb0EPxS7_N6thrust23THRUST_200600_302600_NS5minusIxEEEE10hipError_tPvRmT2_T3_mT4_P12ihipStream_tbEUlT_E_NS1_11comp_targetILNS1_3genE3ELNS1_11target_archE908ELNS1_3gpuE7ELNS1_3repE0EEENS1_30default_config_static_selectorELNS0_4arch9wavefront6targetE0EEEvT1_,"axG",@progbits,_ZN7rocprim17ROCPRIM_400000_NS6detail17trampoline_kernelINS0_14default_configENS1_35adjacent_difference_config_selectorILb0ExEEZNS1_24adjacent_difference_implIS3_Lb0ELb0EPxS7_N6thrust23THRUST_200600_302600_NS5minusIxEEEE10hipError_tPvRmT2_T3_mT4_P12ihipStream_tbEUlT_E_NS1_11comp_targetILNS1_3genE3ELNS1_11target_archE908ELNS1_3gpuE7ELNS1_3repE0EEENS1_30default_config_static_selectorELNS0_4arch9wavefront6targetE0EEEvT1_,comdat
	.protected	_ZN7rocprim17ROCPRIM_400000_NS6detail17trampoline_kernelINS0_14default_configENS1_35adjacent_difference_config_selectorILb0ExEEZNS1_24adjacent_difference_implIS3_Lb0ELb0EPxS7_N6thrust23THRUST_200600_302600_NS5minusIxEEEE10hipError_tPvRmT2_T3_mT4_P12ihipStream_tbEUlT_E_NS1_11comp_targetILNS1_3genE3ELNS1_11target_archE908ELNS1_3gpuE7ELNS1_3repE0EEENS1_30default_config_static_selectorELNS0_4arch9wavefront6targetE0EEEvT1_ ; -- Begin function _ZN7rocprim17ROCPRIM_400000_NS6detail17trampoline_kernelINS0_14default_configENS1_35adjacent_difference_config_selectorILb0ExEEZNS1_24adjacent_difference_implIS3_Lb0ELb0EPxS7_N6thrust23THRUST_200600_302600_NS5minusIxEEEE10hipError_tPvRmT2_T3_mT4_P12ihipStream_tbEUlT_E_NS1_11comp_targetILNS1_3genE3ELNS1_11target_archE908ELNS1_3gpuE7ELNS1_3repE0EEENS1_30default_config_static_selectorELNS0_4arch9wavefront6targetE0EEEvT1_
	.globl	_ZN7rocprim17ROCPRIM_400000_NS6detail17trampoline_kernelINS0_14default_configENS1_35adjacent_difference_config_selectorILb0ExEEZNS1_24adjacent_difference_implIS3_Lb0ELb0EPxS7_N6thrust23THRUST_200600_302600_NS5minusIxEEEE10hipError_tPvRmT2_T3_mT4_P12ihipStream_tbEUlT_E_NS1_11comp_targetILNS1_3genE3ELNS1_11target_archE908ELNS1_3gpuE7ELNS1_3repE0EEENS1_30default_config_static_selectorELNS0_4arch9wavefront6targetE0EEEvT1_
	.p2align	8
	.type	_ZN7rocprim17ROCPRIM_400000_NS6detail17trampoline_kernelINS0_14default_configENS1_35adjacent_difference_config_selectorILb0ExEEZNS1_24adjacent_difference_implIS3_Lb0ELb0EPxS7_N6thrust23THRUST_200600_302600_NS5minusIxEEEE10hipError_tPvRmT2_T3_mT4_P12ihipStream_tbEUlT_E_NS1_11comp_targetILNS1_3genE3ELNS1_11target_archE908ELNS1_3gpuE7ELNS1_3repE0EEENS1_30default_config_static_selectorELNS0_4arch9wavefront6targetE0EEEvT1_,@function
_ZN7rocprim17ROCPRIM_400000_NS6detail17trampoline_kernelINS0_14default_configENS1_35adjacent_difference_config_selectorILb0ExEEZNS1_24adjacent_difference_implIS3_Lb0ELb0EPxS7_N6thrust23THRUST_200600_302600_NS5minusIxEEEE10hipError_tPvRmT2_T3_mT4_P12ihipStream_tbEUlT_E_NS1_11comp_targetILNS1_3genE3ELNS1_11target_archE908ELNS1_3gpuE7ELNS1_3repE0EEENS1_30default_config_static_selectorELNS0_4arch9wavefront6targetE0EEEvT1_: ; @_ZN7rocprim17ROCPRIM_400000_NS6detail17trampoline_kernelINS0_14default_configENS1_35adjacent_difference_config_selectorILb0ExEEZNS1_24adjacent_difference_implIS3_Lb0ELb0EPxS7_N6thrust23THRUST_200600_302600_NS5minusIxEEEE10hipError_tPvRmT2_T3_mT4_P12ihipStream_tbEUlT_E_NS1_11comp_targetILNS1_3genE3ELNS1_11target_archE908ELNS1_3gpuE7ELNS1_3repE0EEENS1_30default_config_static_selectorELNS0_4arch9wavefront6targetE0EEEvT1_
; %bb.0:
	.section	.rodata,"a",@progbits
	.p2align	6, 0x0
	.amdhsa_kernel _ZN7rocprim17ROCPRIM_400000_NS6detail17trampoline_kernelINS0_14default_configENS1_35adjacent_difference_config_selectorILb0ExEEZNS1_24adjacent_difference_implIS3_Lb0ELb0EPxS7_N6thrust23THRUST_200600_302600_NS5minusIxEEEE10hipError_tPvRmT2_T3_mT4_P12ihipStream_tbEUlT_E_NS1_11comp_targetILNS1_3genE3ELNS1_11target_archE908ELNS1_3gpuE7ELNS1_3repE0EEENS1_30default_config_static_selectorELNS0_4arch9wavefront6targetE0EEEvT1_
		.amdhsa_group_segment_fixed_size 0
		.amdhsa_private_segment_fixed_size 0
		.amdhsa_kernarg_size 56
		.amdhsa_user_sgpr_count 15
		.amdhsa_user_sgpr_dispatch_ptr 0
		.amdhsa_user_sgpr_queue_ptr 0
		.amdhsa_user_sgpr_kernarg_segment_ptr 1
		.amdhsa_user_sgpr_dispatch_id 0
		.amdhsa_user_sgpr_private_segment_size 0
		.amdhsa_wavefront_size32 1
		.amdhsa_uses_dynamic_stack 0
		.amdhsa_enable_private_segment 0
		.amdhsa_system_sgpr_workgroup_id_x 1
		.amdhsa_system_sgpr_workgroup_id_y 0
		.amdhsa_system_sgpr_workgroup_id_z 0
		.amdhsa_system_sgpr_workgroup_info 0
		.amdhsa_system_vgpr_workitem_id 0
		.amdhsa_next_free_vgpr 1
		.amdhsa_next_free_sgpr 1
		.amdhsa_reserve_vcc 0
		.amdhsa_float_round_mode_32 0
		.amdhsa_float_round_mode_16_64 0
		.amdhsa_float_denorm_mode_32 3
		.amdhsa_float_denorm_mode_16_64 3
		.amdhsa_dx10_clamp 1
		.amdhsa_ieee_mode 1
		.amdhsa_fp16_overflow 0
		.amdhsa_workgroup_processor_mode 1
		.amdhsa_memory_ordered 1
		.amdhsa_forward_progress 0
		.amdhsa_shared_vgpr_count 0
		.amdhsa_exception_fp_ieee_invalid_op 0
		.amdhsa_exception_fp_denorm_src 0
		.amdhsa_exception_fp_ieee_div_zero 0
		.amdhsa_exception_fp_ieee_overflow 0
		.amdhsa_exception_fp_ieee_underflow 0
		.amdhsa_exception_fp_ieee_inexact 0
		.amdhsa_exception_int_div_zero 0
	.end_amdhsa_kernel
	.section	.text._ZN7rocprim17ROCPRIM_400000_NS6detail17trampoline_kernelINS0_14default_configENS1_35adjacent_difference_config_selectorILb0ExEEZNS1_24adjacent_difference_implIS3_Lb0ELb0EPxS7_N6thrust23THRUST_200600_302600_NS5minusIxEEEE10hipError_tPvRmT2_T3_mT4_P12ihipStream_tbEUlT_E_NS1_11comp_targetILNS1_3genE3ELNS1_11target_archE908ELNS1_3gpuE7ELNS1_3repE0EEENS1_30default_config_static_selectorELNS0_4arch9wavefront6targetE0EEEvT1_,"axG",@progbits,_ZN7rocprim17ROCPRIM_400000_NS6detail17trampoline_kernelINS0_14default_configENS1_35adjacent_difference_config_selectorILb0ExEEZNS1_24adjacent_difference_implIS3_Lb0ELb0EPxS7_N6thrust23THRUST_200600_302600_NS5minusIxEEEE10hipError_tPvRmT2_T3_mT4_P12ihipStream_tbEUlT_E_NS1_11comp_targetILNS1_3genE3ELNS1_11target_archE908ELNS1_3gpuE7ELNS1_3repE0EEENS1_30default_config_static_selectorELNS0_4arch9wavefront6targetE0EEEvT1_,comdat
.Lfunc_end261:
	.size	_ZN7rocprim17ROCPRIM_400000_NS6detail17trampoline_kernelINS0_14default_configENS1_35adjacent_difference_config_selectorILb0ExEEZNS1_24adjacent_difference_implIS3_Lb0ELb0EPxS7_N6thrust23THRUST_200600_302600_NS5minusIxEEEE10hipError_tPvRmT2_T3_mT4_P12ihipStream_tbEUlT_E_NS1_11comp_targetILNS1_3genE3ELNS1_11target_archE908ELNS1_3gpuE7ELNS1_3repE0EEENS1_30default_config_static_selectorELNS0_4arch9wavefront6targetE0EEEvT1_, .Lfunc_end261-_ZN7rocprim17ROCPRIM_400000_NS6detail17trampoline_kernelINS0_14default_configENS1_35adjacent_difference_config_selectorILb0ExEEZNS1_24adjacent_difference_implIS3_Lb0ELb0EPxS7_N6thrust23THRUST_200600_302600_NS5minusIxEEEE10hipError_tPvRmT2_T3_mT4_P12ihipStream_tbEUlT_E_NS1_11comp_targetILNS1_3genE3ELNS1_11target_archE908ELNS1_3gpuE7ELNS1_3repE0EEENS1_30default_config_static_selectorELNS0_4arch9wavefront6targetE0EEEvT1_
                                        ; -- End function
	.section	.AMDGPU.csdata,"",@progbits
; Kernel info:
; codeLenInByte = 0
; NumSgprs: 0
; NumVgprs: 0
; ScratchSize: 0
; MemoryBound: 0
; FloatMode: 240
; IeeeMode: 1
; LDSByteSize: 0 bytes/workgroup (compile time only)
; SGPRBlocks: 0
; VGPRBlocks: 0
; NumSGPRsForWavesPerEU: 1
; NumVGPRsForWavesPerEU: 1
; Occupancy: 16
; WaveLimiterHint : 0
; COMPUTE_PGM_RSRC2:SCRATCH_EN: 0
; COMPUTE_PGM_RSRC2:USER_SGPR: 15
; COMPUTE_PGM_RSRC2:TRAP_HANDLER: 0
; COMPUTE_PGM_RSRC2:TGID_X_EN: 1
; COMPUTE_PGM_RSRC2:TGID_Y_EN: 0
; COMPUTE_PGM_RSRC2:TGID_Z_EN: 0
; COMPUTE_PGM_RSRC2:TIDIG_COMP_CNT: 0
	.section	.text._ZN7rocprim17ROCPRIM_400000_NS6detail17trampoline_kernelINS0_14default_configENS1_35adjacent_difference_config_selectorILb0ExEEZNS1_24adjacent_difference_implIS3_Lb0ELb0EPxS7_N6thrust23THRUST_200600_302600_NS5minusIxEEEE10hipError_tPvRmT2_T3_mT4_P12ihipStream_tbEUlT_E_NS1_11comp_targetILNS1_3genE2ELNS1_11target_archE906ELNS1_3gpuE6ELNS1_3repE0EEENS1_30default_config_static_selectorELNS0_4arch9wavefront6targetE0EEEvT1_,"axG",@progbits,_ZN7rocprim17ROCPRIM_400000_NS6detail17trampoline_kernelINS0_14default_configENS1_35adjacent_difference_config_selectorILb0ExEEZNS1_24adjacent_difference_implIS3_Lb0ELb0EPxS7_N6thrust23THRUST_200600_302600_NS5minusIxEEEE10hipError_tPvRmT2_T3_mT4_P12ihipStream_tbEUlT_E_NS1_11comp_targetILNS1_3genE2ELNS1_11target_archE906ELNS1_3gpuE6ELNS1_3repE0EEENS1_30default_config_static_selectorELNS0_4arch9wavefront6targetE0EEEvT1_,comdat
	.protected	_ZN7rocprim17ROCPRIM_400000_NS6detail17trampoline_kernelINS0_14default_configENS1_35adjacent_difference_config_selectorILb0ExEEZNS1_24adjacent_difference_implIS3_Lb0ELb0EPxS7_N6thrust23THRUST_200600_302600_NS5minusIxEEEE10hipError_tPvRmT2_T3_mT4_P12ihipStream_tbEUlT_E_NS1_11comp_targetILNS1_3genE2ELNS1_11target_archE906ELNS1_3gpuE6ELNS1_3repE0EEENS1_30default_config_static_selectorELNS0_4arch9wavefront6targetE0EEEvT1_ ; -- Begin function _ZN7rocprim17ROCPRIM_400000_NS6detail17trampoline_kernelINS0_14default_configENS1_35adjacent_difference_config_selectorILb0ExEEZNS1_24adjacent_difference_implIS3_Lb0ELb0EPxS7_N6thrust23THRUST_200600_302600_NS5minusIxEEEE10hipError_tPvRmT2_T3_mT4_P12ihipStream_tbEUlT_E_NS1_11comp_targetILNS1_3genE2ELNS1_11target_archE906ELNS1_3gpuE6ELNS1_3repE0EEENS1_30default_config_static_selectorELNS0_4arch9wavefront6targetE0EEEvT1_
	.globl	_ZN7rocprim17ROCPRIM_400000_NS6detail17trampoline_kernelINS0_14default_configENS1_35adjacent_difference_config_selectorILb0ExEEZNS1_24adjacent_difference_implIS3_Lb0ELb0EPxS7_N6thrust23THRUST_200600_302600_NS5minusIxEEEE10hipError_tPvRmT2_T3_mT4_P12ihipStream_tbEUlT_E_NS1_11comp_targetILNS1_3genE2ELNS1_11target_archE906ELNS1_3gpuE6ELNS1_3repE0EEENS1_30default_config_static_selectorELNS0_4arch9wavefront6targetE0EEEvT1_
	.p2align	8
	.type	_ZN7rocprim17ROCPRIM_400000_NS6detail17trampoline_kernelINS0_14default_configENS1_35adjacent_difference_config_selectorILb0ExEEZNS1_24adjacent_difference_implIS3_Lb0ELb0EPxS7_N6thrust23THRUST_200600_302600_NS5minusIxEEEE10hipError_tPvRmT2_T3_mT4_P12ihipStream_tbEUlT_E_NS1_11comp_targetILNS1_3genE2ELNS1_11target_archE906ELNS1_3gpuE6ELNS1_3repE0EEENS1_30default_config_static_selectorELNS0_4arch9wavefront6targetE0EEEvT1_,@function
_ZN7rocprim17ROCPRIM_400000_NS6detail17trampoline_kernelINS0_14default_configENS1_35adjacent_difference_config_selectorILb0ExEEZNS1_24adjacent_difference_implIS3_Lb0ELb0EPxS7_N6thrust23THRUST_200600_302600_NS5minusIxEEEE10hipError_tPvRmT2_T3_mT4_P12ihipStream_tbEUlT_E_NS1_11comp_targetILNS1_3genE2ELNS1_11target_archE906ELNS1_3gpuE6ELNS1_3repE0EEENS1_30default_config_static_selectorELNS0_4arch9wavefront6targetE0EEEvT1_: ; @_ZN7rocprim17ROCPRIM_400000_NS6detail17trampoline_kernelINS0_14default_configENS1_35adjacent_difference_config_selectorILb0ExEEZNS1_24adjacent_difference_implIS3_Lb0ELb0EPxS7_N6thrust23THRUST_200600_302600_NS5minusIxEEEE10hipError_tPvRmT2_T3_mT4_P12ihipStream_tbEUlT_E_NS1_11comp_targetILNS1_3genE2ELNS1_11target_archE906ELNS1_3gpuE6ELNS1_3repE0EEENS1_30default_config_static_selectorELNS0_4arch9wavefront6targetE0EEEvT1_
; %bb.0:
	.section	.rodata,"a",@progbits
	.p2align	6, 0x0
	.amdhsa_kernel _ZN7rocprim17ROCPRIM_400000_NS6detail17trampoline_kernelINS0_14default_configENS1_35adjacent_difference_config_selectorILb0ExEEZNS1_24adjacent_difference_implIS3_Lb0ELb0EPxS7_N6thrust23THRUST_200600_302600_NS5minusIxEEEE10hipError_tPvRmT2_T3_mT4_P12ihipStream_tbEUlT_E_NS1_11comp_targetILNS1_3genE2ELNS1_11target_archE906ELNS1_3gpuE6ELNS1_3repE0EEENS1_30default_config_static_selectorELNS0_4arch9wavefront6targetE0EEEvT1_
		.amdhsa_group_segment_fixed_size 0
		.amdhsa_private_segment_fixed_size 0
		.amdhsa_kernarg_size 56
		.amdhsa_user_sgpr_count 15
		.amdhsa_user_sgpr_dispatch_ptr 0
		.amdhsa_user_sgpr_queue_ptr 0
		.amdhsa_user_sgpr_kernarg_segment_ptr 1
		.amdhsa_user_sgpr_dispatch_id 0
		.amdhsa_user_sgpr_private_segment_size 0
		.amdhsa_wavefront_size32 1
		.amdhsa_uses_dynamic_stack 0
		.amdhsa_enable_private_segment 0
		.amdhsa_system_sgpr_workgroup_id_x 1
		.amdhsa_system_sgpr_workgroup_id_y 0
		.amdhsa_system_sgpr_workgroup_id_z 0
		.amdhsa_system_sgpr_workgroup_info 0
		.amdhsa_system_vgpr_workitem_id 0
		.amdhsa_next_free_vgpr 1
		.amdhsa_next_free_sgpr 1
		.amdhsa_reserve_vcc 0
		.amdhsa_float_round_mode_32 0
		.amdhsa_float_round_mode_16_64 0
		.amdhsa_float_denorm_mode_32 3
		.amdhsa_float_denorm_mode_16_64 3
		.amdhsa_dx10_clamp 1
		.amdhsa_ieee_mode 1
		.amdhsa_fp16_overflow 0
		.amdhsa_workgroup_processor_mode 1
		.amdhsa_memory_ordered 1
		.amdhsa_forward_progress 0
		.amdhsa_shared_vgpr_count 0
		.amdhsa_exception_fp_ieee_invalid_op 0
		.amdhsa_exception_fp_denorm_src 0
		.amdhsa_exception_fp_ieee_div_zero 0
		.amdhsa_exception_fp_ieee_overflow 0
		.amdhsa_exception_fp_ieee_underflow 0
		.amdhsa_exception_fp_ieee_inexact 0
		.amdhsa_exception_int_div_zero 0
	.end_amdhsa_kernel
	.section	.text._ZN7rocprim17ROCPRIM_400000_NS6detail17trampoline_kernelINS0_14default_configENS1_35adjacent_difference_config_selectorILb0ExEEZNS1_24adjacent_difference_implIS3_Lb0ELb0EPxS7_N6thrust23THRUST_200600_302600_NS5minusIxEEEE10hipError_tPvRmT2_T3_mT4_P12ihipStream_tbEUlT_E_NS1_11comp_targetILNS1_3genE2ELNS1_11target_archE906ELNS1_3gpuE6ELNS1_3repE0EEENS1_30default_config_static_selectorELNS0_4arch9wavefront6targetE0EEEvT1_,"axG",@progbits,_ZN7rocprim17ROCPRIM_400000_NS6detail17trampoline_kernelINS0_14default_configENS1_35adjacent_difference_config_selectorILb0ExEEZNS1_24adjacent_difference_implIS3_Lb0ELb0EPxS7_N6thrust23THRUST_200600_302600_NS5minusIxEEEE10hipError_tPvRmT2_T3_mT4_P12ihipStream_tbEUlT_E_NS1_11comp_targetILNS1_3genE2ELNS1_11target_archE906ELNS1_3gpuE6ELNS1_3repE0EEENS1_30default_config_static_selectorELNS0_4arch9wavefront6targetE0EEEvT1_,comdat
.Lfunc_end262:
	.size	_ZN7rocprim17ROCPRIM_400000_NS6detail17trampoline_kernelINS0_14default_configENS1_35adjacent_difference_config_selectorILb0ExEEZNS1_24adjacent_difference_implIS3_Lb0ELb0EPxS7_N6thrust23THRUST_200600_302600_NS5minusIxEEEE10hipError_tPvRmT2_T3_mT4_P12ihipStream_tbEUlT_E_NS1_11comp_targetILNS1_3genE2ELNS1_11target_archE906ELNS1_3gpuE6ELNS1_3repE0EEENS1_30default_config_static_selectorELNS0_4arch9wavefront6targetE0EEEvT1_, .Lfunc_end262-_ZN7rocprim17ROCPRIM_400000_NS6detail17trampoline_kernelINS0_14default_configENS1_35adjacent_difference_config_selectorILb0ExEEZNS1_24adjacent_difference_implIS3_Lb0ELb0EPxS7_N6thrust23THRUST_200600_302600_NS5minusIxEEEE10hipError_tPvRmT2_T3_mT4_P12ihipStream_tbEUlT_E_NS1_11comp_targetILNS1_3genE2ELNS1_11target_archE906ELNS1_3gpuE6ELNS1_3repE0EEENS1_30default_config_static_selectorELNS0_4arch9wavefront6targetE0EEEvT1_
                                        ; -- End function
	.section	.AMDGPU.csdata,"",@progbits
; Kernel info:
; codeLenInByte = 0
; NumSgprs: 0
; NumVgprs: 0
; ScratchSize: 0
; MemoryBound: 0
; FloatMode: 240
; IeeeMode: 1
; LDSByteSize: 0 bytes/workgroup (compile time only)
; SGPRBlocks: 0
; VGPRBlocks: 0
; NumSGPRsForWavesPerEU: 1
; NumVGPRsForWavesPerEU: 1
; Occupancy: 16
; WaveLimiterHint : 0
; COMPUTE_PGM_RSRC2:SCRATCH_EN: 0
; COMPUTE_PGM_RSRC2:USER_SGPR: 15
; COMPUTE_PGM_RSRC2:TRAP_HANDLER: 0
; COMPUTE_PGM_RSRC2:TGID_X_EN: 1
; COMPUTE_PGM_RSRC2:TGID_Y_EN: 0
; COMPUTE_PGM_RSRC2:TGID_Z_EN: 0
; COMPUTE_PGM_RSRC2:TIDIG_COMP_CNT: 0
	.section	.text._ZN7rocprim17ROCPRIM_400000_NS6detail17trampoline_kernelINS0_14default_configENS1_35adjacent_difference_config_selectorILb0ExEEZNS1_24adjacent_difference_implIS3_Lb0ELb0EPxS7_N6thrust23THRUST_200600_302600_NS5minusIxEEEE10hipError_tPvRmT2_T3_mT4_P12ihipStream_tbEUlT_E_NS1_11comp_targetILNS1_3genE9ELNS1_11target_archE1100ELNS1_3gpuE3ELNS1_3repE0EEENS1_30default_config_static_selectorELNS0_4arch9wavefront6targetE0EEEvT1_,"axG",@progbits,_ZN7rocprim17ROCPRIM_400000_NS6detail17trampoline_kernelINS0_14default_configENS1_35adjacent_difference_config_selectorILb0ExEEZNS1_24adjacent_difference_implIS3_Lb0ELb0EPxS7_N6thrust23THRUST_200600_302600_NS5minusIxEEEE10hipError_tPvRmT2_T3_mT4_P12ihipStream_tbEUlT_E_NS1_11comp_targetILNS1_3genE9ELNS1_11target_archE1100ELNS1_3gpuE3ELNS1_3repE0EEENS1_30default_config_static_selectorELNS0_4arch9wavefront6targetE0EEEvT1_,comdat
	.protected	_ZN7rocprim17ROCPRIM_400000_NS6detail17trampoline_kernelINS0_14default_configENS1_35adjacent_difference_config_selectorILb0ExEEZNS1_24adjacent_difference_implIS3_Lb0ELb0EPxS7_N6thrust23THRUST_200600_302600_NS5minusIxEEEE10hipError_tPvRmT2_T3_mT4_P12ihipStream_tbEUlT_E_NS1_11comp_targetILNS1_3genE9ELNS1_11target_archE1100ELNS1_3gpuE3ELNS1_3repE0EEENS1_30default_config_static_selectorELNS0_4arch9wavefront6targetE0EEEvT1_ ; -- Begin function _ZN7rocprim17ROCPRIM_400000_NS6detail17trampoline_kernelINS0_14default_configENS1_35adjacent_difference_config_selectorILb0ExEEZNS1_24adjacent_difference_implIS3_Lb0ELb0EPxS7_N6thrust23THRUST_200600_302600_NS5minusIxEEEE10hipError_tPvRmT2_T3_mT4_P12ihipStream_tbEUlT_E_NS1_11comp_targetILNS1_3genE9ELNS1_11target_archE1100ELNS1_3gpuE3ELNS1_3repE0EEENS1_30default_config_static_selectorELNS0_4arch9wavefront6targetE0EEEvT1_
	.globl	_ZN7rocprim17ROCPRIM_400000_NS6detail17trampoline_kernelINS0_14default_configENS1_35adjacent_difference_config_selectorILb0ExEEZNS1_24adjacent_difference_implIS3_Lb0ELb0EPxS7_N6thrust23THRUST_200600_302600_NS5minusIxEEEE10hipError_tPvRmT2_T3_mT4_P12ihipStream_tbEUlT_E_NS1_11comp_targetILNS1_3genE9ELNS1_11target_archE1100ELNS1_3gpuE3ELNS1_3repE0EEENS1_30default_config_static_selectorELNS0_4arch9wavefront6targetE0EEEvT1_
	.p2align	8
	.type	_ZN7rocprim17ROCPRIM_400000_NS6detail17trampoline_kernelINS0_14default_configENS1_35adjacent_difference_config_selectorILb0ExEEZNS1_24adjacent_difference_implIS3_Lb0ELb0EPxS7_N6thrust23THRUST_200600_302600_NS5minusIxEEEE10hipError_tPvRmT2_T3_mT4_P12ihipStream_tbEUlT_E_NS1_11comp_targetILNS1_3genE9ELNS1_11target_archE1100ELNS1_3gpuE3ELNS1_3repE0EEENS1_30default_config_static_selectorELNS0_4arch9wavefront6targetE0EEEvT1_,@function
_ZN7rocprim17ROCPRIM_400000_NS6detail17trampoline_kernelINS0_14default_configENS1_35adjacent_difference_config_selectorILb0ExEEZNS1_24adjacent_difference_implIS3_Lb0ELb0EPxS7_N6thrust23THRUST_200600_302600_NS5minusIxEEEE10hipError_tPvRmT2_T3_mT4_P12ihipStream_tbEUlT_E_NS1_11comp_targetILNS1_3genE9ELNS1_11target_archE1100ELNS1_3gpuE3ELNS1_3repE0EEENS1_30default_config_static_selectorELNS0_4arch9wavefront6targetE0EEEvT1_: ; @_ZN7rocprim17ROCPRIM_400000_NS6detail17trampoline_kernelINS0_14default_configENS1_35adjacent_difference_config_selectorILb0ExEEZNS1_24adjacent_difference_implIS3_Lb0ELb0EPxS7_N6thrust23THRUST_200600_302600_NS5minusIxEEEE10hipError_tPvRmT2_T3_mT4_P12ihipStream_tbEUlT_E_NS1_11comp_targetILNS1_3genE9ELNS1_11target_archE1100ELNS1_3gpuE3ELNS1_3repE0EEENS1_30default_config_static_selectorELNS0_4arch9wavefront6targetE0EEEvT1_
; %bb.0:
	s_clause 0x1
	s_load_b256 s[4:11], s[0:1], 0x0
	s_load_b64 s[18:19], s[0:1], 0x30
	s_mov_b32 s13, 0
	s_waitcnt lgkmcnt(0)
	s_lshl_b64 s[6:7], s[6:7], 3
	s_delay_alu instid0(SALU_CYCLE_1)
	s_add_u32 s14, s4, s6
	s_addc_u32 s16, s5, s7
	s_and_b32 s12, s10, 0x1ff
	s_lshl_b32 s2, s15, 9
	s_lshr_b64 s[0:1], s[10:11], 9
	s_cmp_lg_u64 s[12:13], 0
	s_cselect_b32 s3, -1, 0
	s_delay_alu instid0(SALU_CYCLE_1) | instskip(NEXT) | instid1(VALU_DEP_1)
	v_cndmask_b32_e64 v1, 0, 1, s3
	v_readfirstlane_b32 s3, v1
	s_delay_alu instid0(VALU_DEP_1)
	s_add_u32 s0, s0, s3
	s_addc_u32 s1, s1, 0
	s_add_u32 s12, s18, s15
	s_addc_u32 s13, s19, 0
	s_add_u32 s4, s0, -1
	s_addc_u32 s5, s1, -1
	s_delay_alu instid0(SALU_CYCLE_1) | instskip(NEXT) | instid1(VALU_DEP_1)
	v_cmp_ge_u64_e64 s11, s[12:13], s[4:5]
	s_and_b32 vcc_lo, exec_lo, s11
	s_cbranch_vccz .LBB263_4
; %bb.1:
	s_lshl_b32 s3, s4, 9
	s_mov_b32 s15, exec_lo
	s_sub_i32 s3, s10, s3
                                        ; implicit-def: $vgpr1_vgpr2
	s_delay_alu instid0(SALU_CYCLE_1)
	v_cmpx_gt_u32_e64 s3, v0
	s_cbranch_execz .LBB263_3
; %bb.2:
	s_mov_b32 s3, 0
	v_lshlrev_b32_e32 v1, 3, v0
	s_lshl_b64 s[18:19], s[2:3], 3
	s_delay_alu instid0(SALU_CYCLE_1)
	s_add_u32 s18, s14, s18
	s_addc_u32 s19, s16, s19
	global_load_b64 v[1:2], v1, s[18:19]
.LBB263_3:
	s_or_b32 exec_lo, exec_lo, s15
	v_lshlrev_b32_e32 v3, 3, v0
	s_waitcnt vmcnt(0)
	ds_store_b64 v3, v[1:2]
	s_waitcnt lgkmcnt(0)
	s_barrier
	v_lshlrev_b32_e32 v5, 3, v0
	s_branch .LBB263_6
.LBB263_4:
                                        ; implicit-def: $vgpr3
	v_lshlrev_b32_e32 v5, 3, v0
	s_cbranch_execz .LBB263_6
; %bb.5:
	s_mov_b32 s3, 0
	s_delay_alu instid0(VALU_DEP_1) | instskip(SKIP_1) | instid1(SALU_CYCLE_1)
	v_mov_b32_e32 v3, v5
	s_lshl_b64 s[18:19], s[2:3], 3
	s_add_u32 s18, s14, s18
	s_addc_u32 s19, s16, s19
	global_load_b64 v[1:2], v5, s[18:19]
	s_waitcnt vmcnt(0)
	ds_store_b64 v5, v[1:2]
	s_waitcnt lgkmcnt(0)
	s_barrier
.LBB263_6:
	buffer_gl0_inv
	ds_load_b64 v[1:2], v3
	s_cmp_eq_u64 s[12:13], 0
	s_waitcnt lgkmcnt(0)
	s_barrier
	buffer_gl0_inv
	s_cbranch_scc1 .LBB263_11
; %bb.7:
	s_mov_b32 s3, 0
	s_delay_alu instid0(SALU_CYCLE_1) | instskip(NEXT) | instid1(SALU_CYCLE_1)
	s_lshl_b64 s[18:19], s[2:3], 3
	s_add_u32 s3, s14, s18
	s_addc_u32 s15, s16, s19
	s_add_u32 s14, s3, -8
	s_addc_u32 s15, s15, -1
	s_cmp_eq_u64 s[12:13], s[4:5]
	s_load_b64 s[14:15], s[14:15], 0x0
	s_cbranch_scc1 .LBB263_12
; %bb.8:
	s_waitcnt lgkmcnt(0)
	v_dual_mov_b32 v3, s14 :: v_dual_mov_b32 v4, s15
	s_mov_b32 s3, exec_lo
	ds_store_b64 v5, v[1:2]
	s_waitcnt lgkmcnt(0)
	s_barrier
	buffer_gl0_inv
	v_cmpx_ne_u32_e32 0, v0
	s_cbranch_execz .LBB263_10
; %bb.9:
	v_add_nc_u32_e32 v3, -8, v5
	ds_load_b64 v[3:4], v3
.LBB263_10:
	s_or_b32 exec_lo, exec_lo, s3
	s_waitcnt lgkmcnt(0)
	v_sub_co_u32 v3, vcc_lo, v1, v3
	v_sub_co_ci_u32_e32 v4, vcc_lo, v2, v4, vcc_lo
	s_branch .LBB263_16
.LBB263_11:
                                        ; implicit-def: $vgpr3_vgpr4
	s_branch .LBB263_17
.LBB263_12:
                                        ; implicit-def: $vgpr3_vgpr4
	s_cbranch_execz .LBB263_16
; %bb.13:
	s_waitcnt lgkmcnt(0)
	v_dual_mov_b32 v3, s14 :: v_dual_mov_b32 v4, s15
	s_mov_b32 s3, exec_lo
	ds_store_b64 v5, v[1:2]
	s_waitcnt lgkmcnt(0)
	s_barrier
	buffer_gl0_inv
	v_cmpx_ne_u32_e32 0, v0
	s_cbranch_execz .LBB263_15
; %bb.14:
	v_add_nc_u32_e32 v3, -8, v5
	ds_load_b64 v[3:4], v3
.LBB263_15:
	s_or_b32 exec_lo, exec_lo, s3
	s_lshl_b32 s3, s12, 9
	s_delay_alu instid0(SALU_CYCLE_1) | instskip(NEXT) | instid1(SALU_CYCLE_1)
	s_sub_i32 s3, s10, s3
	v_cmp_gt_u32_e32 vcc_lo, s3, v0
	s_waitcnt lgkmcnt(0)
	v_dual_cndmask_b32 v4, 0, v4 :: v_dual_cndmask_b32 v3, 0, v3
	s_delay_alu instid0(VALU_DEP_1) | instskip(NEXT) | instid1(VALU_DEP_2)
	v_sub_co_u32 v3, vcc_lo, v1, v3
	v_sub_co_ci_u32_e32 v4, vcc_lo, v2, v4, vcc_lo
.LBB263_16:
	s_cbranch_execnz .LBB263_25
.LBB263_17:
	v_cmp_ne_u32_e32 vcc_lo, 0, v0
	s_cmp_eq_u64 s[0:1], 1
	s_cbranch_scc1 .LBB263_21
; %bb.18:
	v_dual_mov_b32 v4, v2 :: v_dual_mov_b32 v3, v1
	s_mov_b32 s0, 0
	ds_store_b64 v5, v[1:2]
	s_waitcnt lgkmcnt(0)
	s_barrier
	buffer_gl0_inv
	s_and_saveexec_b32 s1, vcc_lo
	s_cbranch_execz .LBB263_20
; %bb.19:
	v_add_nc_u32_e32 v3, -8, v5
	ds_load_b64 v[3:4], v3
	s_waitcnt lgkmcnt(0)
	v_sub_co_u32 v3, vcc_lo, v1, v3
	v_sub_co_ci_u32_e32 v4, vcc_lo, v2, v4, vcc_lo
.LBB263_20:
	s_or_b32 exec_lo, exec_lo, s1
	s_delay_alu instid0(SALU_CYCLE_1)
	s_and_not1_b32 vcc_lo, exec_lo, s0
	s_cbranch_vccz .LBB263_22
	s_branch .LBB263_25
.LBB263_21:
                                        ; implicit-def: $vgpr3_vgpr4
.LBB263_22:
	v_cmp_ne_u32_e32 vcc_lo, 0, v0
	v_cmp_gt_u32_e64 s0, s10, v0
	ds_store_b64 v5, v[1:2]
	s_waitcnt lgkmcnt(0)
	s_barrier
	buffer_gl0_inv
	s_and_b32 s1, vcc_lo, s0
	s_delay_alu instid0(SALU_CYCLE_1)
	s_and_saveexec_b32 s0, s1
	s_cbranch_execz .LBB263_24
; %bb.23:
	v_add_nc_u32_e32 v3, -8, v5
	ds_load_b64 v[3:4], v3
	s_waitcnt lgkmcnt(0)
	v_sub_co_u32 v1, vcc_lo, v1, v3
	v_sub_co_ci_u32_e32 v2, vcc_lo, v2, v4, vcc_lo
.LBB263_24:
	s_or_b32 exec_lo, exec_lo, s0
	s_delay_alu instid0(VALU_DEP_1)
	v_dual_mov_b32 v4, v2 :: v_dual_mov_b32 v3, v1
.LBB263_25:
	s_add_u32 s0, s8, s6
	s_addc_u32 s1, s9, s7
	s_and_b32 vcc_lo, exec_lo, s11
	s_mov_b32 s3, -1
	s_waitcnt lgkmcnt(0)
	s_barrier
	buffer_gl0_inv
	s_cbranch_vccnz .LBB263_28
; %bb.26:
	s_and_not1_b32 vcc_lo, exec_lo, s3
	s_cbranch_vccz .LBB263_31
.LBB263_27:
	s_nop 0
	s_sendmsg sendmsg(MSG_DEALLOC_VGPRS)
	s_endpgm
.LBB263_28:
	s_lshl_b32 s3, s4, 9
	s_mov_b32 s4, exec_lo
	s_sub_i32 s3, s10, s3
	ds_store_b64 v5, v[3:4]
	s_waitcnt lgkmcnt(0)
	s_barrier
	buffer_gl0_inv
	v_cmpx_gt_u32_e64 s3, v0
	s_cbranch_execz .LBB263_30
; %bb.29:
	ds_load_b64 v[0:1], v5
	s_mov_b32 s3, 0
	s_delay_alu instid0(SALU_CYCLE_1) | instskip(NEXT) | instid1(SALU_CYCLE_1)
	s_lshl_b64 s[6:7], s[2:3], 3
	s_add_u32 s6, s0, s6
	s_addc_u32 s7, s1, s7
	s_waitcnt lgkmcnt(0)
	global_store_b64 v5, v[0:1], s[6:7]
.LBB263_30:
	s_or_b32 exec_lo, exec_lo, s4
	s_cbranch_execnz .LBB263_27
.LBB263_31:
	ds_store_b64 v5, v[3:4]
	s_waitcnt lgkmcnt(0)
	s_waitcnt_vscnt null, 0x0
	s_barrier
	buffer_gl0_inv
	ds_load_b64 v[0:1], v5
	s_mov_b32 s3, 0
	s_delay_alu instid0(SALU_CYCLE_1) | instskip(NEXT) | instid1(SALU_CYCLE_1)
	s_lshl_b64 s[2:3], s[2:3], 3
	s_add_u32 s0, s0, s2
	s_addc_u32 s1, s1, s3
	s_waitcnt lgkmcnt(0)
	global_store_b64 v5, v[0:1], s[0:1]
	s_nop 0
	s_sendmsg sendmsg(MSG_DEALLOC_VGPRS)
	s_endpgm
	.section	.rodata,"a",@progbits
	.p2align	6, 0x0
	.amdhsa_kernel _ZN7rocprim17ROCPRIM_400000_NS6detail17trampoline_kernelINS0_14default_configENS1_35adjacent_difference_config_selectorILb0ExEEZNS1_24adjacent_difference_implIS3_Lb0ELb0EPxS7_N6thrust23THRUST_200600_302600_NS5minusIxEEEE10hipError_tPvRmT2_T3_mT4_P12ihipStream_tbEUlT_E_NS1_11comp_targetILNS1_3genE9ELNS1_11target_archE1100ELNS1_3gpuE3ELNS1_3repE0EEENS1_30default_config_static_selectorELNS0_4arch9wavefront6targetE0EEEvT1_
		.amdhsa_group_segment_fixed_size 8192
		.amdhsa_private_segment_fixed_size 0
		.amdhsa_kernarg_size 56
		.amdhsa_user_sgpr_count 15
		.amdhsa_user_sgpr_dispatch_ptr 0
		.amdhsa_user_sgpr_queue_ptr 0
		.amdhsa_user_sgpr_kernarg_segment_ptr 1
		.amdhsa_user_sgpr_dispatch_id 0
		.amdhsa_user_sgpr_private_segment_size 0
		.amdhsa_wavefront_size32 1
		.amdhsa_uses_dynamic_stack 0
		.amdhsa_enable_private_segment 0
		.amdhsa_system_sgpr_workgroup_id_x 1
		.amdhsa_system_sgpr_workgroup_id_y 0
		.amdhsa_system_sgpr_workgroup_id_z 0
		.amdhsa_system_sgpr_workgroup_info 0
		.amdhsa_system_vgpr_workitem_id 0
		.amdhsa_next_free_vgpr 6
		.amdhsa_next_free_sgpr 20
		.amdhsa_reserve_vcc 1
		.amdhsa_float_round_mode_32 0
		.amdhsa_float_round_mode_16_64 0
		.amdhsa_float_denorm_mode_32 3
		.amdhsa_float_denorm_mode_16_64 3
		.amdhsa_dx10_clamp 1
		.amdhsa_ieee_mode 1
		.amdhsa_fp16_overflow 0
		.amdhsa_workgroup_processor_mode 1
		.amdhsa_memory_ordered 1
		.amdhsa_forward_progress 0
		.amdhsa_shared_vgpr_count 0
		.amdhsa_exception_fp_ieee_invalid_op 0
		.amdhsa_exception_fp_denorm_src 0
		.amdhsa_exception_fp_ieee_div_zero 0
		.amdhsa_exception_fp_ieee_overflow 0
		.amdhsa_exception_fp_ieee_underflow 0
		.amdhsa_exception_fp_ieee_inexact 0
		.amdhsa_exception_int_div_zero 0
	.end_amdhsa_kernel
	.section	.text._ZN7rocprim17ROCPRIM_400000_NS6detail17trampoline_kernelINS0_14default_configENS1_35adjacent_difference_config_selectorILb0ExEEZNS1_24adjacent_difference_implIS3_Lb0ELb0EPxS7_N6thrust23THRUST_200600_302600_NS5minusIxEEEE10hipError_tPvRmT2_T3_mT4_P12ihipStream_tbEUlT_E_NS1_11comp_targetILNS1_3genE9ELNS1_11target_archE1100ELNS1_3gpuE3ELNS1_3repE0EEENS1_30default_config_static_selectorELNS0_4arch9wavefront6targetE0EEEvT1_,"axG",@progbits,_ZN7rocprim17ROCPRIM_400000_NS6detail17trampoline_kernelINS0_14default_configENS1_35adjacent_difference_config_selectorILb0ExEEZNS1_24adjacent_difference_implIS3_Lb0ELb0EPxS7_N6thrust23THRUST_200600_302600_NS5minusIxEEEE10hipError_tPvRmT2_T3_mT4_P12ihipStream_tbEUlT_E_NS1_11comp_targetILNS1_3genE9ELNS1_11target_archE1100ELNS1_3gpuE3ELNS1_3repE0EEENS1_30default_config_static_selectorELNS0_4arch9wavefront6targetE0EEEvT1_,comdat
.Lfunc_end263:
	.size	_ZN7rocprim17ROCPRIM_400000_NS6detail17trampoline_kernelINS0_14default_configENS1_35adjacent_difference_config_selectorILb0ExEEZNS1_24adjacent_difference_implIS3_Lb0ELb0EPxS7_N6thrust23THRUST_200600_302600_NS5minusIxEEEE10hipError_tPvRmT2_T3_mT4_P12ihipStream_tbEUlT_E_NS1_11comp_targetILNS1_3genE9ELNS1_11target_archE1100ELNS1_3gpuE3ELNS1_3repE0EEENS1_30default_config_static_selectorELNS0_4arch9wavefront6targetE0EEEvT1_, .Lfunc_end263-_ZN7rocprim17ROCPRIM_400000_NS6detail17trampoline_kernelINS0_14default_configENS1_35adjacent_difference_config_selectorILb0ExEEZNS1_24adjacent_difference_implIS3_Lb0ELb0EPxS7_N6thrust23THRUST_200600_302600_NS5minusIxEEEE10hipError_tPvRmT2_T3_mT4_P12ihipStream_tbEUlT_E_NS1_11comp_targetILNS1_3genE9ELNS1_11target_archE1100ELNS1_3gpuE3ELNS1_3repE0EEENS1_30default_config_static_selectorELNS0_4arch9wavefront6targetE0EEEvT1_
                                        ; -- End function
	.section	.AMDGPU.csdata,"",@progbits
; Kernel info:
; codeLenInByte = 1008
; NumSgprs: 22
; NumVgprs: 6
; ScratchSize: 0
; MemoryBound: 0
; FloatMode: 240
; IeeeMode: 1
; LDSByteSize: 8192 bytes/workgroup (compile time only)
; SGPRBlocks: 2
; VGPRBlocks: 0
; NumSGPRsForWavesPerEU: 22
; NumVGPRsForWavesPerEU: 6
; Occupancy: 16
; WaveLimiterHint : 0
; COMPUTE_PGM_RSRC2:SCRATCH_EN: 0
; COMPUTE_PGM_RSRC2:USER_SGPR: 15
; COMPUTE_PGM_RSRC2:TRAP_HANDLER: 0
; COMPUTE_PGM_RSRC2:TGID_X_EN: 1
; COMPUTE_PGM_RSRC2:TGID_Y_EN: 0
; COMPUTE_PGM_RSRC2:TGID_Z_EN: 0
; COMPUTE_PGM_RSRC2:TIDIG_COMP_CNT: 0
	.section	.text._ZN7rocprim17ROCPRIM_400000_NS6detail17trampoline_kernelINS0_14default_configENS1_35adjacent_difference_config_selectorILb0ExEEZNS1_24adjacent_difference_implIS3_Lb0ELb0EPxS7_N6thrust23THRUST_200600_302600_NS5minusIxEEEE10hipError_tPvRmT2_T3_mT4_P12ihipStream_tbEUlT_E_NS1_11comp_targetILNS1_3genE8ELNS1_11target_archE1030ELNS1_3gpuE2ELNS1_3repE0EEENS1_30default_config_static_selectorELNS0_4arch9wavefront6targetE0EEEvT1_,"axG",@progbits,_ZN7rocprim17ROCPRIM_400000_NS6detail17trampoline_kernelINS0_14default_configENS1_35adjacent_difference_config_selectorILb0ExEEZNS1_24adjacent_difference_implIS3_Lb0ELb0EPxS7_N6thrust23THRUST_200600_302600_NS5minusIxEEEE10hipError_tPvRmT2_T3_mT4_P12ihipStream_tbEUlT_E_NS1_11comp_targetILNS1_3genE8ELNS1_11target_archE1030ELNS1_3gpuE2ELNS1_3repE0EEENS1_30default_config_static_selectorELNS0_4arch9wavefront6targetE0EEEvT1_,comdat
	.protected	_ZN7rocprim17ROCPRIM_400000_NS6detail17trampoline_kernelINS0_14default_configENS1_35adjacent_difference_config_selectorILb0ExEEZNS1_24adjacent_difference_implIS3_Lb0ELb0EPxS7_N6thrust23THRUST_200600_302600_NS5minusIxEEEE10hipError_tPvRmT2_T3_mT4_P12ihipStream_tbEUlT_E_NS1_11comp_targetILNS1_3genE8ELNS1_11target_archE1030ELNS1_3gpuE2ELNS1_3repE0EEENS1_30default_config_static_selectorELNS0_4arch9wavefront6targetE0EEEvT1_ ; -- Begin function _ZN7rocprim17ROCPRIM_400000_NS6detail17trampoline_kernelINS0_14default_configENS1_35adjacent_difference_config_selectorILb0ExEEZNS1_24adjacent_difference_implIS3_Lb0ELb0EPxS7_N6thrust23THRUST_200600_302600_NS5minusIxEEEE10hipError_tPvRmT2_T3_mT4_P12ihipStream_tbEUlT_E_NS1_11comp_targetILNS1_3genE8ELNS1_11target_archE1030ELNS1_3gpuE2ELNS1_3repE0EEENS1_30default_config_static_selectorELNS0_4arch9wavefront6targetE0EEEvT1_
	.globl	_ZN7rocprim17ROCPRIM_400000_NS6detail17trampoline_kernelINS0_14default_configENS1_35adjacent_difference_config_selectorILb0ExEEZNS1_24adjacent_difference_implIS3_Lb0ELb0EPxS7_N6thrust23THRUST_200600_302600_NS5minusIxEEEE10hipError_tPvRmT2_T3_mT4_P12ihipStream_tbEUlT_E_NS1_11comp_targetILNS1_3genE8ELNS1_11target_archE1030ELNS1_3gpuE2ELNS1_3repE0EEENS1_30default_config_static_selectorELNS0_4arch9wavefront6targetE0EEEvT1_
	.p2align	8
	.type	_ZN7rocprim17ROCPRIM_400000_NS6detail17trampoline_kernelINS0_14default_configENS1_35adjacent_difference_config_selectorILb0ExEEZNS1_24adjacent_difference_implIS3_Lb0ELb0EPxS7_N6thrust23THRUST_200600_302600_NS5minusIxEEEE10hipError_tPvRmT2_T3_mT4_P12ihipStream_tbEUlT_E_NS1_11comp_targetILNS1_3genE8ELNS1_11target_archE1030ELNS1_3gpuE2ELNS1_3repE0EEENS1_30default_config_static_selectorELNS0_4arch9wavefront6targetE0EEEvT1_,@function
_ZN7rocprim17ROCPRIM_400000_NS6detail17trampoline_kernelINS0_14default_configENS1_35adjacent_difference_config_selectorILb0ExEEZNS1_24adjacent_difference_implIS3_Lb0ELb0EPxS7_N6thrust23THRUST_200600_302600_NS5minusIxEEEE10hipError_tPvRmT2_T3_mT4_P12ihipStream_tbEUlT_E_NS1_11comp_targetILNS1_3genE8ELNS1_11target_archE1030ELNS1_3gpuE2ELNS1_3repE0EEENS1_30default_config_static_selectorELNS0_4arch9wavefront6targetE0EEEvT1_: ; @_ZN7rocprim17ROCPRIM_400000_NS6detail17trampoline_kernelINS0_14default_configENS1_35adjacent_difference_config_selectorILb0ExEEZNS1_24adjacent_difference_implIS3_Lb0ELb0EPxS7_N6thrust23THRUST_200600_302600_NS5minusIxEEEE10hipError_tPvRmT2_T3_mT4_P12ihipStream_tbEUlT_E_NS1_11comp_targetILNS1_3genE8ELNS1_11target_archE1030ELNS1_3gpuE2ELNS1_3repE0EEENS1_30default_config_static_selectorELNS0_4arch9wavefront6targetE0EEEvT1_
; %bb.0:
	.section	.rodata,"a",@progbits
	.p2align	6, 0x0
	.amdhsa_kernel _ZN7rocprim17ROCPRIM_400000_NS6detail17trampoline_kernelINS0_14default_configENS1_35adjacent_difference_config_selectorILb0ExEEZNS1_24adjacent_difference_implIS3_Lb0ELb0EPxS7_N6thrust23THRUST_200600_302600_NS5minusIxEEEE10hipError_tPvRmT2_T3_mT4_P12ihipStream_tbEUlT_E_NS1_11comp_targetILNS1_3genE8ELNS1_11target_archE1030ELNS1_3gpuE2ELNS1_3repE0EEENS1_30default_config_static_selectorELNS0_4arch9wavefront6targetE0EEEvT1_
		.amdhsa_group_segment_fixed_size 0
		.amdhsa_private_segment_fixed_size 0
		.amdhsa_kernarg_size 56
		.amdhsa_user_sgpr_count 15
		.amdhsa_user_sgpr_dispatch_ptr 0
		.amdhsa_user_sgpr_queue_ptr 0
		.amdhsa_user_sgpr_kernarg_segment_ptr 1
		.amdhsa_user_sgpr_dispatch_id 0
		.amdhsa_user_sgpr_private_segment_size 0
		.amdhsa_wavefront_size32 1
		.amdhsa_uses_dynamic_stack 0
		.amdhsa_enable_private_segment 0
		.amdhsa_system_sgpr_workgroup_id_x 1
		.amdhsa_system_sgpr_workgroup_id_y 0
		.amdhsa_system_sgpr_workgroup_id_z 0
		.amdhsa_system_sgpr_workgroup_info 0
		.amdhsa_system_vgpr_workitem_id 0
		.amdhsa_next_free_vgpr 1
		.amdhsa_next_free_sgpr 1
		.amdhsa_reserve_vcc 0
		.amdhsa_float_round_mode_32 0
		.amdhsa_float_round_mode_16_64 0
		.amdhsa_float_denorm_mode_32 3
		.amdhsa_float_denorm_mode_16_64 3
		.amdhsa_dx10_clamp 1
		.amdhsa_ieee_mode 1
		.amdhsa_fp16_overflow 0
		.amdhsa_workgroup_processor_mode 1
		.amdhsa_memory_ordered 1
		.amdhsa_forward_progress 0
		.amdhsa_shared_vgpr_count 0
		.amdhsa_exception_fp_ieee_invalid_op 0
		.amdhsa_exception_fp_denorm_src 0
		.amdhsa_exception_fp_ieee_div_zero 0
		.amdhsa_exception_fp_ieee_overflow 0
		.amdhsa_exception_fp_ieee_underflow 0
		.amdhsa_exception_fp_ieee_inexact 0
		.amdhsa_exception_int_div_zero 0
	.end_amdhsa_kernel
	.section	.text._ZN7rocprim17ROCPRIM_400000_NS6detail17trampoline_kernelINS0_14default_configENS1_35adjacent_difference_config_selectorILb0ExEEZNS1_24adjacent_difference_implIS3_Lb0ELb0EPxS7_N6thrust23THRUST_200600_302600_NS5minusIxEEEE10hipError_tPvRmT2_T3_mT4_P12ihipStream_tbEUlT_E_NS1_11comp_targetILNS1_3genE8ELNS1_11target_archE1030ELNS1_3gpuE2ELNS1_3repE0EEENS1_30default_config_static_selectorELNS0_4arch9wavefront6targetE0EEEvT1_,"axG",@progbits,_ZN7rocprim17ROCPRIM_400000_NS6detail17trampoline_kernelINS0_14default_configENS1_35adjacent_difference_config_selectorILb0ExEEZNS1_24adjacent_difference_implIS3_Lb0ELb0EPxS7_N6thrust23THRUST_200600_302600_NS5minusIxEEEE10hipError_tPvRmT2_T3_mT4_P12ihipStream_tbEUlT_E_NS1_11comp_targetILNS1_3genE8ELNS1_11target_archE1030ELNS1_3gpuE2ELNS1_3repE0EEENS1_30default_config_static_selectorELNS0_4arch9wavefront6targetE0EEEvT1_,comdat
.Lfunc_end264:
	.size	_ZN7rocprim17ROCPRIM_400000_NS6detail17trampoline_kernelINS0_14default_configENS1_35adjacent_difference_config_selectorILb0ExEEZNS1_24adjacent_difference_implIS3_Lb0ELb0EPxS7_N6thrust23THRUST_200600_302600_NS5minusIxEEEE10hipError_tPvRmT2_T3_mT4_P12ihipStream_tbEUlT_E_NS1_11comp_targetILNS1_3genE8ELNS1_11target_archE1030ELNS1_3gpuE2ELNS1_3repE0EEENS1_30default_config_static_selectorELNS0_4arch9wavefront6targetE0EEEvT1_, .Lfunc_end264-_ZN7rocprim17ROCPRIM_400000_NS6detail17trampoline_kernelINS0_14default_configENS1_35adjacent_difference_config_selectorILb0ExEEZNS1_24adjacent_difference_implIS3_Lb0ELb0EPxS7_N6thrust23THRUST_200600_302600_NS5minusIxEEEE10hipError_tPvRmT2_T3_mT4_P12ihipStream_tbEUlT_E_NS1_11comp_targetILNS1_3genE8ELNS1_11target_archE1030ELNS1_3gpuE2ELNS1_3repE0EEENS1_30default_config_static_selectorELNS0_4arch9wavefront6targetE0EEEvT1_
                                        ; -- End function
	.section	.AMDGPU.csdata,"",@progbits
; Kernel info:
; codeLenInByte = 0
; NumSgprs: 0
; NumVgprs: 0
; ScratchSize: 0
; MemoryBound: 0
; FloatMode: 240
; IeeeMode: 1
; LDSByteSize: 0 bytes/workgroup (compile time only)
; SGPRBlocks: 0
; VGPRBlocks: 0
; NumSGPRsForWavesPerEU: 1
; NumVGPRsForWavesPerEU: 1
; Occupancy: 16
; WaveLimiterHint : 0
; COMPUTE_PGM_RSRC2:SCRATCH_EN: 0
; COMPUTE_PGM_RSRC2:USER_SGPR: 15
; COMPUTE_PGM_RSRC2:TRAP_HANDLER: 0
; COMPUTE_PGM_RSRC2:TGID_X_EN: 1
; COMPUTE_PGM_RSRC2:TGID_Y_EN: 0
; COMPUTE_PGM_RSRC2:TGID_Z_EN: 0
; COMPUTE_PGM_RSRC2:TIDIG_COMP_CNT: 0
	.section	.text._ZN7rocprim17ROCPRIM_400000_NS6detail17trampoline_kernelINS0_14default_configENS1_25transform_config_selectorIxLb0EEEZNS1_14transform_implILb0ES3_S5_NS0_18transform_iteratorINS0_17counting_iteratorImlEEZNS1_24adjacent_difference_implIS3_Lb1ELb0EPxSB_N6thrust23THRUST_200600_302600_NS5minusIxEEEE10hipError_tPvRmT2_T3_mT4_P12ihipStream_tbEUlmE_xEESB_NS0_8identityIvEEEESG_SJ_SK_mSL_SN_bEUlT_E_NS1_11comp_targetILNS1_3genE0ELNS1_11target_archE4294967295ELNS1_3gpuE0ELNS1_3repE0EEENS1_30default_config_static_selectorELNS0_4arch9wavefront6targetE0EEEvT1_,"axG",@progbits,_ZN7rocprim17ROCPRIM_400000_NS6detail17trampoline_kernelINS0_14default_configENS1_25transform_config_selectorIxLb0EEEZNS1_14transform_implILb0ES3_S5_NS0_18transform_iteratorINS0_17counting_iteratorImlEEZNS1_24adjacent_difference_implIS3_Lb1ELb0EPxSB_N6thrust23THRUST_200600_302600_NS5minusIxEEEE10hipError_tPvRmT2_T3_mT4_P12ihipStream_tbEUlmE_xEESB_NS0_8identityIvEEEESG_SJ_SK_mSL_SN_bEUlT_E_NS1_11comp_targetILNS1_3genE0ELNS1_11target_archE4294967295ELNS1_3gpuE0ELNS1_3repE0EEENS1_30default_config_static_selectorELNS0_4arch9wavefront6targetE0EEEvT1_,comdat
	.protected	_ZN7rocprim17ROCPRIM_400000_NS6detail17trampoline_kernelINS0_14default_configENS1_25transform_config_selectorIxLb0EEEZNS1_14transform_implILb0ES3_S5_NS0_18transform_iteratorINS0_17counting_iteratorImlEEZNS1_24adjacent_difference_implIS3_Lb1ELb0EPxSB_N6thrust23THRUST_200600_302600_NS5minusIxEEEE10hipError_tPvRmT2_T3_mT4_P12ihipStream_tbEUlmE_xEESB_NS0_8identityIvEEEESG_SJ_SK_mSL_SN_bEUlT_E_NS1_11comp_targetILNS1_3genE0ELNS1_11target_archE4294967295ELNS1_3gpuE0ELNS1_3repE0EEENS1_30default_config_static_selectorELNS0_4arch9wavefront6targetE0EEEvT1_ ; -- Begin function _ZN7rocprim17ROCPRIM_400000_NS6detail17trampoline_kernelINS0_14default_configENS1_25transform_config_selectorIxLb0EEEZNS1_14transform_implILb0ES3_S5_NS0_18transform_iteratorINS0_17counting_iteratorImlEEZNS1_24adjacent_difference_implIS3_Lb1ELb0EPxSB_N6thrust23THRUST_200600_302600_NS5minusIxEEEE10hipError_tPvRmT2_T3_mT4_P12ihipStream_tbEUlmE_xEESB_NS0_8identityIvEEEESG_SJ_SK_mSL_SN_bEUlT_E_NS1_11comp_targetILNS1_3genE0ELNS1_11target_archE4294967295ELNS1_3gpuE0ELNS1_3repE0EEENS1_30default_config_static_selectorELNS0_4arch9wavefront6targetE0EEEvT1_
	.globl	_ZN7rocprim17ROCPRIM_400000_NS6detail17trampoline_kernelINS0_14default_configENS1_25transform_config_selectorIxLb0EEEZNS1_14transform_implILb0ES3_S5_NS0_18transform_iteratorINS0_17counting_iteratorImlEEZNS1_24adjacent_difference_implIS3_Lb1ELb0EPxSB_N6thrust23THRUST_200600_302600_NS5minusIxEEEE10hipError_tPvRmT2_T3_mT4_P12ihipStream_tbEUlmE_xEESB_NS0_8identityIvEEEESG_SJ_SK_mSL_SN_bEUlT_E_NS1_11comp_targetILNS1_3genE0ELNS1_11target_archE4294967295ELNS1_3gpuE0ELNS1_3repE0EEENS1_30default_config_static_selectorELNS0_4arch9wavefront6targetE0EEEvT1_
	.p2align	8
	.type	_ZN7rocprim17ROCPRIM_400000_NS6detail17trampoline_kernelINS0_14default_configENS1_25transform_config_selectorIxLb0EEEZNS1_14transform_implILb0ES3_S5_NS0_18transform_iteratorINS0_17counting_iteratorImlEEZNS1_24adjacent_difference_implIS3_Lb1ELb0EPxSB_N6thrust23THRUST_200600_302600_NS5minusIxEEEE10hipError_tPvRmT2_T3_mT4_P12ihipStream_tbEUlmE_xEESB_NS0_8identityIvEEEESG_SJ_SK_mSL_SN_bEUlT_E_NS1_11comp_targetILNS1_3genE0ELNS1_11target_archE4294967295ELNS1_3gpuE0ELNS1_3repE0EEENS1_30default_config_static_selectorELNS0_4arch9wavefront6targetE0EEEvT1_,@function
_ZN7rocprim17ROCPRIM_400000_NS6detail17trampoline_kernelINS0_14default_configENS1_25transform_config_selectorIxLb0EEEZNS1_14transform_implILb0ES3_S5_NS0_18transform_iteratorINS0_17counting_iteratorImlEEZNS1_24adjacent_difference_implIS3_Lb1ELb0EPxSB_N6thrust23THRUST_200600_302600_NS5minusIxEEEE10hipError_tPvRmT2_T3_mT4_P12ihipStream_tbEUlmE_xEESB_NS0_8identityIvEEEESG_SJ_SK_mSL_SN_bEUlT_E_NS1_11comp_targetILNS1_3genE0ELNS1_11target_archE4294967295ELNS1_3gpuE0ELNS1_3repE0EEENS1_30default_config_static_selectorELNS0_4arch9wavefront6targetE0EEEvT1_: ; @_ZN7rocprim17ROCPRIM_400000_NS6detail17trampoline_kernelINS0_14default_configENS1_25transform_config_selectorIxLb0EEEZNS1_14transform_implILb0ES3_S5_NS0_18transform_iteratorINS0_17counting_iteratorImlEEZNS1_24adjacent_difference_implIS3_Lb1ELb0EPxSB_N6thrust23THRUST_200600_302600_NS5minusIxEEEE10hipError_tPvRmT2_T3_mT4_P12ihipStream_tbEUlmE_xEESB_NS0_8identityIvEEEESG_SJ_SK_mSL_SN_bEUlT_E_NS1_11comp_targetILNS1_3genE0ELNS1_11target_archE4294967295ELNS1_3gpuE0ELNS1_3repE0EEENS1_30default_config_static_selectorELNS0_4arch9wavefront6targetE0EEEvT1_
; %bb.0:
	.section	.rodata,"a",@progbits
	.p2align	6, 0x0
	.amdhsa_kernel _ZN7rocprim17ROCPRIM_400000_NS6detail17trampoline_kernelINS0_14default_configENS1_25transform_config_selectorIxLb0EEEZNS1_14transform_implILb0ES3_S5_NS0_18transform_iteratorINS0_17counting_iteratorImlEEZNS1_24adjacent_difference_implIS3_Lb1ELb0EPxSB_N6thrust23THRUST_200600_302600_NS5minusIxEEEE10hipError_tPvRmT2_T3_mT4_P12ihipStream_tbEUlmE_xEESB_NS0_8identityIvEEEESG_SJ_SK_mSL_SN_bEUlT_E_NS1_11comp_targetILNS1_3genE0ELNS1_11target_archE4294967295ELNS1_3gpuE0ELNS1_3repE0EEENS1_30default_config_static_selectorELNS0_4arch9wavefront6targetE0EEEvT1_
		.amdhsa_group_segment_fixed_size 0
		.amdhsa_private_segment_fixed_size 0
		.amdhsa_kernarg_size 56
		.amdhsa_user_sgpr_count 15
		.amdhsa_user_sgpr_dispatch_ptr 0
		.amdhsa_user_sgpr_queue_ptr 0
		.amdhsa_user_sgpr_kernarg_segment_ptr 1
		.amdhsa_user_sgpr_dispatch_id 0
		.amdhsa_user_sgpr_private_segment_size 0
		.amdhsa_wavefront_size32 1
		.amdhsa_uses_dynamic_stack 0
		.amdhsa_enable_private_segment 0
		.amdhsa_system_sgpr_workgroup_id_x 1
		.amdhsa_system_sgpr_workgroup_id_y 0
		.amdhsa_system_sgpr_workgroup_id_z 0
		.amdhsa_system_sgpr_workgroup_info 0
		.amdhsa_system_vgpr_workitem_id 0
		.amdhsa_next_free_vgpr 1
		.amdhsa_next_free_sgpr 1
		.amdhsa_reserve_vcc 0
		.amdhsa_float_round_mode_32 0
		.amdhsa_float_round_mode_16_64 0
		.amdhsa_float_denorm_mode_32 3
		.amdhsa_float_denorm_mode_16_64 3
		.amdhsa_dx10_clamp 1
		.amdhsa_ieee_mode 1
		.amdhsa_fp16_overflow 0
		.amdhsa_workgroup_processor_mode 1
		.amdhsa_memory_ordered 1
		.amdhsa_forward_progress 0
		.amdhsa_shared_vgpr_count 0
		.amdhsa_exception_fp_ieee_invalid_op 0
		.amdhsa_exception_fp_denorm_src 0
		.amdhsa_exception_fp_ieee_div_zero 0
		.amdhsa_exception_fp_ieee_overflow 0
		.amdhsa_exception_fp_ieee_underflow 0
		.amdhsa_exception_fp_ieee_inexact 0
		.amdhsa_exception_int_div_zero 0
	.end_amdhsa_kernel
	.section	.text._ZN7rocprim17ROCPRIM_400000_NS6detail17trampoline_kernelINS0_14default_configENS1_25transform_config_selectorIxLb0EEEZNS1_14transform_implILb0ES3_S5_NS0_18transform_iteratorINS0_17counting_iteratorImlEEZNS1_24adjacent_difference_implIS3_Lb1ELb0EPxSB_N6thrust23THRUST_200600_302600_NS5minusIxEEEE10hipError_tPvRmT2_T3_mT4_P12ihipStream_tbEUlmE_xEESB_NS0_8identityIvEEEESG_SJ_SK_mSL_SN_bEUlT_E_NS1_11comp_targetILNS1_3genE0ELNS1_11target_archE4294967295ELNS1_3gpuE0ELNS1_3repE0EEENS1_30default_config_static_selectorELNS0_4arch9wavefront6targetE0EEEvT1_,"axG",@progbits,_ZN7rocprim17ROCPRIM_400000_NS6detail17trampoline_kernelINS0_14default_configENS1_25transform_config_selectorIxLb0EEEZNS1_14transform_implILb0ES3_S5_NS0_18transform_iteratorINS0_17counting_iteratorImlEEZNS1_24adjacent_difference_implIS3_Lb1ELb0EPxSB_N6thrust23THRUST_200600_302600_NS5minusIxEEEE10hipError_tPvRmT2_T3_mT4_P12ihipStream_tbEUlmE_xEESB_NS0_8identityIvEEEESG_SJ_SK_mSL_SN_bEUlT_E_NS1_11comp_targetILNS1_3genE0ELNS1_11target_archE4294967295ELNS1_3gpuE0ELNS1_3repE0EEENS1_30default_config_static_selectorELNS0_4arch9wavefront6targetE0EEEvT1_,comdat
.Lfunc_end265:
	.size	_ZN7rocprim17ROCPRIM_400000_NS6detail17trampoline_kernelINS0_14default_configENS1_25transform_config_selectorIxLb0EEEZNS1_14transform_implILb0ES3_S5_NS0_18transform_iteratorINS0_17counting_iteratorImlEEZNS1_24adjacent_difference_implIS3_Lb1ELb0EPxSB_N6thrust23THRUST_200600_302600_NS5minusIxEEEE10hipError_tPvRmT2_T3_mT4_P12ihipStream_tbEUlmE_xEESB_NS0_8identityIvEEEESG_SJ_SK_mSL_SN_bEUlT_E_NS1_11comp_targetILNS1_3genE0ELNS1_11target_archE4294967295ELNS1_3gpuE0ELNS1_3repE0EEENS1_30default_config_static_selectorELNS0_4arch9wavefront6targetE0EEEvT1_, .Lfunc_end265-_ZN7rocprim17ROCPRIM_400000_NS6detail17trampoline_kernelINS0_14default_configENS1_25transform_config_selectorIxLb0EEEZNS1_14transform_implILb0ES3_S5_NS0_18transform_iteratorINS0_17counting_iteratorImlEEZNS1_24adjacent_difference_implIS3_Lb1ELb0EPxSB_N6thrust23THRUST_200600_302600_NS5minusIxEEEE10hipError_tPvRmT2_T3_mT4_P12ihipStream_tbEUlmE_xEESB_NS0_8identityIvEEEESG_SJ_SK_mSL_SN_bEUlT_E_NS1_11comp_targetILNS1_3genE0ELNS1_11target_archE4294967295ELNS1_3gpuE0ELNS1_3repE0EEENS1_30default_config_static_selectorELNS0_4arch9wavefront6targetE0EEEvT1_
                                        ; -- End function
	.section	.AMDGPU.csdata,"",@progbits
; Kernel info:
; codeLenInByte = 0
; NumSgprs: 0
; NumVgprs: 0
; ScratchSize: 0
; MemoryBound: 0
; FloatMode: 240
; IeeeMode: 1
; LDSByteSize: 0 bytes/workgroup (compile time only)
; SGPRBlocks: 0
; VGPRBlocks: 0
; NumSGPRsForWavesPerEU: 1
; NumVGPRsForWavesPerEU: 1
; Occupancy: 16
; WaveLimiterHint : 0
; COMPUTE_PGM_RSRC2:SCRATCH_EN: 0
; COMPUTE_PGM_RSRC2:USER_SGPR: 15
; COMPUTE_PGM_RSRC2:TRAP_HANDLER: 0
; COMPUTE_PGM_RSRC2:TGID_X_EN: 1
; COMPUTE_PGM_RSRC2:TGID_Y_EN: 0
; COMPUTE_PGM_RSRC2:TGID_Z_EN: 0
; COMPUTE_PGM_RSRC2:TIDIG_COMP_CNT: 0
	.section	.text._ZN7rocprim17ROCPRIM_400000_NS6detail17trampoline_kernelINS0_14default_configENS1_25transform_config_selectorIxLb0EEEZNS1_14transform_implILb0ES3_S5_NS0_18transform_iteratorINS0_17counting_iteratorImlEEZNS1_24adjacent_difference_implIS3_Lb1ELb0EPxSB_N6thrust23THRUST_200600_302600_NS5minusIxEEEE10hipError_tPvRmT2_T3_mT4_P12ihipStream_tbEUlmE_xEESB_NS0_8identityIvEEEESG_SJ_SK_mSL_SN_bEUlT_E_NS1_11comp_targetILNS1_3genE5ELNS1_11target_archE942ELNS1_3gpuE9ELNS1_3repE0EEENS1_30default_config_static_selectorELNS0_4arch9wavefront6targetE0EEEvT1_,"axG",@progbits,_ZN7rocprim17ROCPRIM_400000_NS6detail17trampoline_kernelINS0_14default_configENS1_25transform_config_selectorIxLb0EEEZNS1_14transform_implILb0ES3_S5_NS0_18transform_iteratorINS0_17counting_iteratorImlEEZNS1_24adjacent_difference_implIS3_Lb1ELb0EPxSB_N6thrust23THRUST_200600_302600_NS5minusIxEEEE10hipError_tPvRmT2_T3_mT4_P12ihipStream_tbEUlmE_xEESB_NS0_8identityIvEEEESG_SJ_SK_mSL_SN_bEUlT_E_NS1_11comp_targetILNS1_3genE5ELNS1_11target_archE942ELNS1_3gpuE9ELNS1_3repE0EEENS1_30default_config_static_selectorELNS0_4arch9wavefront6targetE0EEEvT1_,comdat
	.protected	_ZN7rocprim17ROCPRIM_400000_NS6detail17trampoline_kernelINS0_14default_configENS1_25transform_config_selectorIxLb0EEEZNS1_14transform_implILb0ES3_S5_NS0_18transform_iteratorINS0_17counting_iteratorImlEEZNS1_24adjacent_difference_implIS3_Lb1ELb0EPxSB_N6thrust23THRUST_200600_302600_NS5minusIxEEEE10hipError_tPvRmT2_T3_mT4_P12ihipStream_tbEUlmE_xEESB_NS0_8identityIvEEEESG_SJ_SK_mSL_SN_bEUlT_E_NS1_11comp_targetILNS1_3genE5ELNS1_11target_archE942ELNS1_3gpuE9ELNS1_3repE0EEENS1_30default_config_static_selectorELNS0_4arch9wavefront6targetE0EEEvT1_ ; -- Begin function _ZN7rocprim17ROCPRIM_400000_NS6detail17trampoline_kernelINS0_14default_configENS1_25transform_config_selectorIxLb0EEEZNS1_14transform_implILb0ES3_S5_NS0_18transform_iteratorINS0_17counting_iteratorImlEEZNS1_24adjacent_difference_implIS3_Lb1ELb0EPxSB_N6thrust23THRUST_200600_302600_NS5minusIxEEEE10hipError_tPvRmT2_T3_mT4_P12ihipStream_tbEUlmE_xEESB_NS0_8identityIvEEEESG_SJ_SK_mSL_SN_bEUlT_E_NS1_11comp_targetILNS1_3genE5ELNS1_11target_archE942ELNS1_3gpuE9ELNS1_3repE0EEENS1_30default_config_static_selectorELNS0_4arch9wavefront6targetE0EEEvT1_
	.globl	_ZN7rocprim17ROCPRIM_400000_NS6detail17trampoline_kernelINS0_14default_configENS1_25transform_config_selectorIxLb0EEEZNS1_14transform_implILb0ES3_S5_NS0_18transform_iteratorINS0_17counting_iteratorImlEEZNS1_24adjacent_difference_implIS3_Lb1ELb0EPxSB_N6thrust23THRUST_200600_302600_NS5minusIxEEEE10hipError_tPvRmT2_T3_mT4_P12ihipStream_tbEUlmE_xEESB_NS0_8identityIvEEEESG_SJ_SK_mSL_SN_bEUlT_E_NS1_11comp_targetILNS1_3genE5ELNS1_11target_archE942ELNS1_3gpuE9ELNS1_3repE0EEENS1_30default_config_static_selectorELNS0_4arch9wavefront6targetE0EEEvT1_
	.p2align	8
	.type	_ZN7rocprim17ROCPRIM_400000_NS6detail17trampoline_kernelINS0_14default_configENS1_25transform_config_selectorIxLb0EEEZNS1_14transform_implILb0ES3_S5_NS0_18transform_iteratorINS0_17counting_iteratorImlEEZNS1_24adjacent_difference_implIS3_Lb1ELb0EPxSB_N6thrust23THRUST_200600_302600_NS5minusIxEEEE10hipError_tPvRmT2_T3_mT4_P12ihipStream_tbEUlmE_xEESB_NS0_8identityIvEEEESG_SJ_SK_mSL_SN_bEUlT_E_NS1_11comp_targetILNS1_3genE5ELNS1_11target_archE942ELNS1_3gpuE9ELNS1_3repE0EEENS1_30default_config_static_selectorELNS0_4arch9wavefront6targetE0EEEvT1_,@function
_ZN7rocprim17ROCPRIM_400000_NS6detail17trampoline_kernelINS0_14default_configENS1_25transform_config_selectorIxLb0EEEZNS1_14transform_implILb0ES3_S5_NS0_18transform_iteratorINS0_17counting_iteratorImlEEZNS1_24adjacent_difference_implIS3_Lb1ELb0EPxSB_N6thrust23THRUST_200600_302600_NS5minusIxEEEE10hipError_tPvRmT2_T3_mT4_P12ihipStream_tbEUlmE_xEESB_NS0_8identityIvEEEESG_SJ_SK_mSL_SN_bEUlT_E_NS1_11comp_targetILNS1_3genE5ELNS1_11target_archE942ELNS1_3gpuE9ELNS1_3repE0EEENS1_30default_config_static_selectorELNS0_4arch9wavefront6targetE0EEEvT1_: ; @_ZN7rocprim17ROCPRIM_400000_NS6detail17trampoline_kernelINS0_14default_configENS1_25transform_config_selectorIxLb0EEEZNS1_14transform_implILb0ES3_S5_NS0_18transform_iteratorINS0_17counting_iteratorImlEEZNS1_24adjacent_difference_implIS3_Lb1ELb0EPxSB_N6thrust23THRUST_200600_302600_NS5minusIxEEEE10hipError_tPvRmT2_T3_mT4_P12ihipStream_tbEUlmE_xEESB_NS0_8identityIvEEEESG_SJ_SK_mSL_SN_bEUlT_E_NS1_11comp_targetILNS1_3genE5ELNS1_11target_archE942ELNS1_3gpuE9ELNS1_3repE0EEENS1_30default_config_static_selectorELNS0_4arch9wavefront6targetE0EEEvT1_
; %bb.0:
	.section	.rodata,"a",@progbits
	.p2align	6, 0x0
	.amdhsa_kernel _ZN7rocprim17ROCPRIM_400000_NS6detail17trampoline_kernelINS0_14default_configENS1_25transform_config_selectorIxLb0EEEZNS1_14transform_implILb0ES3_S5_NS0_18transform_iteratorINS0_17counting_iteratorImlEEZNS1_24adjacent_difference_implIS3_Lb1ELb0EPxSB_N6thrust23THRUST_200600_302600_NS5minusIxEEEE10hipError_tPvRmT2_T3_mT4_P12ihipStream_tbEUlmE_xEESB_NS0_8identityIvEEEESG_SJ_SK_mSL_SN_bEUlT_E_NS1_11comp_targetILNS1_3genE5ELNS1_11target_archE942ELNS1_3gpuE9ELNS1_3repE0EEENS1_30default_config_static_selectorELNS0_4arch9wavefront6targetE0EEEvT1_
		.amdhsa_group_segment_fixed_size 0
		.amdhsa_private_segment_fixed_size 0
		.amdhsa_kernarg_size 56
		.amdhsa_user_sgpr_count 15
		.amdhsa_user_sgpr_dispatch_ptr 0
		.amdhsa_user_sgpr_queue_ptr 0
		.amdhsa_user_sgpr_kernarg_segment_ptr 1
		.amdhsa_user_sgpr_dispatch_id 0
		.amdhsa_user_sgpr_private_segment_size 0
		.amdhsa_wavefront_size32 1
		.amdhsa_uses_dynamic_stack 0
		.amdhsa_enable_private_segment 0
		.amdhsa_system_sgpr_workgroup_id_x 1
		.amdhsa_system_sgpr_workgroup_id_y 0
		.amdhsa_system_sgpr_workgroup_id_z 0
		.amdhsa_system_sgpr_workgroup_info 0
		.amdhsa_system_vgpr_workitem_id 0
		.amdhsa_next_free_vgpr 1
		.amdhsa_next_free_sgpr 1
		.amdhsa_reserve_vcc 0
		.amdhsa_float_round_mode_32 0
		.amdhsa_float_round_mode_16_64 0
		.amdhsa_float_denorm_mode_32 3
		.amdhsa_float_denorm_mode_16_64 3
		.amdhsa_dx10_clamp 1
		.amdhsa_ieee_mode 1
		.amdhsa_fp16_overflow 0
		.amdhsa_workgroup_processor_mode 1
		.amdhsa_memory_ordered 1
		.amdhsa_forward_progress 0
		.amdhsa_shared_vgpr_count 0
		.amdhsa_exception_fp_ieee_invalid_op 0
		.amdhsa_exception_fp_denorm_src 0
		.amdhsa_exception_fp_ieee_div_zero 0
		.amdhsa_exception_fp_ieee_overflow 0
		.amdhsa_exception_fp_ieee_underflow 0
		.amdhsa_exception_fp_ieee_inexact 0
		.amdhsa_exception_int_div_zero 0
	.end_amdhsa_kernel
	.section	.text._ZN7rocprim17ROCPRIM_400000_NS6detail17trampoline_kernelINS0_14default_configENS1_25transform_config_selectorIxLb0EEEZNS1_14transform_implILb0ES3_S5_NS0_18transform_iteratorINS0_17counting_iteratorImlEEZNS1_24adjacent_difference_implIS3_Lb1ELb0EPxSB_N6thrust23THRUST_200600_302600_NS5minusIxEEEE10hipError_tPvRmT2_T3_mT4_P12ihipStream_tbEUlmE_xEESB_NS0_8identityIvEEEESG_SJ_SK_mSL_SN_bEUlT_E_NS1_11comp_targetILNS1_3genE5ELNS1_11target_archE942ELNS1_3gpuE9ELNS1_3repE0EEENS1_30default_config_static_selectorELNS0_4arch9wavefront6targetE0EEEvT1_,"axG",@progbits,_ZN7rocprim17ROCPRIM_400000_NS6detail17trampoline_kernelINS0_14default_configENS1_25transform_config_selectorIxLb0EEEZNS1_14transform_implILb0ES3_S5_NS0_18transform_iteratorINS0_17counting_iteratorImlEEZNS1_24adjacent_difference_implIS3_Lb1ELb0EPxSB_N6thrust23THRUST_200600_302600_NS5minusIxEEEE10hipError_tPvRmT2_T3_mT4_P12ihipStream_tbEUlmE_xEESB_NS0_8identityIvEEEESG_SJ_SK_mSL_SN_bEUlT_E_NS1_11comp_targetILNS1_3genE5ELNS1_11target_archE942ELNS1_3gpuE9ELNS1_3repE0EEENS1_30default_config_static_selectorELNS0_4arch9wavefront6targetE0EEEvT1_,comdat
.Lfunc_end266:
	.size	_ZN7rocprim17ROCPRIM_400000_NS6detail17trampoline_kernelINS0_14default_configENS1_25transform_config_selectorIxLb0EEEZNS1_14transform_implILb0ES3_S5_NS0_18transform_iteratorINS0_17counting_iteratorImlEEZNS1_24adjacent_difference_implIS3_Lb1ELb0EPxSB_N6thrust23THRUST_200600_302600_NS5minusIxEEEE10hipError_tPvRmT2_T3_mT4_P12ihipStream_tbEUlmE_xEESB_NS0_8identityIvEEEESG_SJ_SK_mSL_SN_bEUlT_E_NS1_11comp_targetILNS1_3genE5ELNS1_11target_archE942ELNS1_3gpuE9ELNS1_3repE0EEENS1_30default_config_static_selectorELNS0_4arch9wavefront6targetE0EEEvT1_, .Lfunc_end266-_ZN7rocprim17ROCPRIM_400000_NS6detail17trampoline_kernelINS0_14default_configENS1_25transform_config_selectorIxLb0EEEZNS1_14transform_implILb0ES3_S5_NS0_18transform_iteratorINS0_17counting_iteratorImlEEZNS1_24adjacent_difference_implIS3_Lb1ELb0EPxSB_N6thrust23THRUST_200600_302600_NS5minusIxEEEE10hipError_tPvRmT2_T3_mT4_P12ihipStream_tbEUlmE_xEESB_NS0_8identityIvEEEESG_SJ_SK_mSL_SN_bEUlT_E_NS1_11comp_targetILNS1_3genE5ELNS1_11target_archE942ELNS1_3gpuE9ELNS1_3repE0EEENS1_30default_config_static_selectorELNS0_4arch9wavefront6targetE0EEEvT1_
                                        ; -- End function
	.section	.AMDGPU.csdata,"",@progbits
; Kernel info:
; codeLenInByte = 0
; NumSgprs: 0
; NumVgprs: 0
; ScratchSize: 0
; MemoryBound: 0
; FloatMode: 240
; IeeeMode: 1
; LDSByteSize: 0 bytes/workgroup (compile time only)
; SGPRBlocks: 0
; VGPRBlocks: 0
; NumSGPRsForWavesPerEU: 1
; NumVGPRsForWavesPerEU: 1
; Occupancy: 16
; WaveLimiterHint : 0
; COMPUTE_PGM_RSRC2:SCRATCH_EN: 0
; COMPUTE_PGM_RSRC2:USER_SGPR: 15
; COMPUTE_PGM_RSRC2:TRAP_HANDLER: 0
; COMPUTE_PGM_RSRC2:TGID_X_EN: 1
; COMPUTE_PGM_RSRC2:TGID_Y_EN: 0
; COMPUTE_PGM_RSRC2:TGID_Z_EN: 0
; COMPUTE_PGM_RSRC2:TIDIG_COMP_CNT: 0
	.section	.text._ZN7rocprim17ROCPRIM_400000_NS6detail17trampoline_kernelINS0_14default_configENS1_25transform_config_selectorIxLb0EEEZNS1_14transform_implILb0ES3_S5_NS0_18transform_iteratorINS0_17counting_iteratorImlEEZNS1_24adjacent_difference_implIS3_Lb1ELb0EPxSB_N6thrust23THRUST_200600_302600_NS5minusIxEEEE10hipError_tPvRmT2_T3_mT4_P12ihipStream_tbEUlmE_xEESB_NS0_8identityIvEEEESG_SJ_SK_mSL_SN_bEUlT_E_NS1_11comp_targetILNS1_3genE4ELNS1_11target_archE910ELNS1_3gpuE8ELNS1_3repE0EEENS1_30default_config_static_selectorELNS0_4arch9wavefront6targetE0EEEvT1_,"axG",@progbits,_ZN7rocprim17ROCPRIM_400000_NS6detail17trampoline_kernelINS0_14default_configENS1_25transform_config_selectorIxLb0EEEZNS1_14transform_implILb0ES3_S5_NS0_18transform_iteratorINS0_17counting_iteratorImlEEZNS1_24adjacent_difference_implIS3_Lb1ELb0EPxSB_N6thrust23THRUST_200600_302600_NS5minusIxEEEE10hipError_tPvRmT2_T3_mT4_P12ihipStream_tbEUlmE_xEESB_NS0_8identityIvEEEESG_SJ_SK_mSL_SN_bEUlT_E_NS1_11comp_targetILNS1_3genE4ELNS1_11target_archE910ELNS1_3gpuE8ELNS1_3repE0EEENS1_30default_config_static_selectorELNS0_4arch9wavefront6targetE0EEEvT1_,comdat
	.protected	_ZN7rocprim17ROCPRIM_400000_NS6detail17trampoline_kernelINS0_14default_configENS1_25transform_config_selectorIxLb0EEEZNS1_14transform_implILb0ES3_S5_NS0_18transform_iteratorINS0_17counting_iteratorImlEEZNS1_24adjacent_difference_implIS3_Lb1ELb0EPxSB_N6thrust23THRUST_200600_302600_NS5minusIxEEEE10hipError_tPvRmT2_T3_mT4_P12ihipStream_tbEUlmE_xEESB_NS0_8identityIvEEEESG_SJ_SK_mSL_SN_bEUlT_E_NS1_11comp_targetILNS1_3genE4ELNS1_11target_archE910ELNS1_3gpuE8ELNS1_3repE0EEENS1_30default_config_static_selectorELNS0_4arch9wavefront6targetE0EEEvT1_ ; -- Begin function _ZN7rocprim17ROCPRIM_400000_NS6detail17trampoline_kernelINS0_14default_configENS1_25transform_config_selectorIxLb0EEEZNS1_14transform_implILb0ES3_S5_NS0_18transform_iteratorINS0_17counting_iteratorImlEEZNS1_24adjacent_difference_implIS3_Lb1ELb0EPxSB_N6thrust23THRUST_200600_302600_NS5minusIxEEEE10hipError_tPvRmT2_T3_mT4_P12ihipStream_tbEUlmE_xEESB_NS0_8identityIvEEEESG_SJ_SK_mSL_SN_bEUlT_E_NS1_11comp_targetILNS1_3genE4ELNS1_11target_archE910ELNS1_3gpuE8ELNS1_3repE0EEENS1_30default_config_static_selectorELNS0_4arch9wavefront6targetE0EEEvT1_
	.globl	_ZN7rocprim17ROCPRIM_400000_NS6detail17trampoline_kernelINS0_14default_configENS1_25transform_config_selectorIxLb0EEEZNS1_14transform_implILb0ES3_S5_NS0_18transform_iteratorINS0_17counting_iteratorImlEEZNS1_24adjacent_difference_implIS3_Lb1ELb0EPxSB_N6thrust23THRUST_200600_302600_NS5minusIxEEEE10hipError_tPvRmT2_T3_mT4_P12ihipStream_tbEUlmE_xEESB_NS0_8identityIvEEEESG_SJ_SK_mSL_SN_bEUlT_E_NS1_11comp_targetILNS1_3genE4ELNS1_11target_archE910ELNS1_3gpuE8ELNS1_3repE0EEENS1_30default_config_static_selectorELNS0_4arch9wavefront6targetE0EEEvT1_
	.p2align	8
	.type	_ZN7rocprim17ROCPRIM_400000_NS6detail17trampoline_kernelINS0_14default_configENS1_25transform_config_selectorIxLb0EEEZNS1_14transform_implILb0ES3_S5_NS0_18transform_iteratorINS0_17counting_iteratorImlEEZNS1_24adjacent_difference_implIS3_Lb1ELb0EPxSB_N6thrust23THRUST_200600_302600_NS5minusIxEEEE10hipError_tPvRmT2_T3_mT4_P12ihipStream_tbEUlmE_xEESB_NS0_8identityIvEEEESG_SJ_SK_mSL_SN_bEUlT_E_NS1_11comp_targetILNS1_3genE4ELNS1_11target_archE910ELNS1_3gpuE8ELNS1_3repE0EEENS1_30default_config_static_selectorELNS0_4arch9wavefront6targetE0EEEvT1_,@function
_ZN7rocprim17ROCPRIM_400000_NS6detail17trampoline_kernelINS0_14default_configENS1_25transform_config_selectorIxLb0EEEZNS1_14transform_implILb0ES3_S5_NS0_18transform_iteratorINS0_17counting_iteratorImlEEZNS1_24adjacent_difference_implIS3_Lb1ELb0EPxSB_N6thrust23THRUST_200600_302600_NS5minusIxEEEE10hipError_tPvRmT2_T3_mT4_P12ihipStream_tbEUlmE_xEESB_NS0_8identityIvEEEESG_SJ_SK_mSL_SN_bEUlT_E_NS1_11comp_targetILNS1_3genE4ELNS1_11target_archE910ELNS1_3gpuE8ELNS1_3repE0EEENS1_30default_config_static_selectorELNS0_4arch9wavefront6targetE0EEEvT1_: ; @_ZN7rocprim17ROCPRIM_400000_NS6detail17trampoline_kernelINS0_14default_configENS1_25transform_config_selectorIxLb0EEEZNS1_14transform_implILb0ES3_S5_NS0_18transform_iteratorINS0_17counting_iteratorImlEEZNS1_24adjacent_difference_implIS3_Lb1ELb0EPxSB_N6thrust23THRUST_200600_302600_NS5minusIxEEEE10hipError_tPvRmT2_T3_mT4_P12ihipStream_tbEUlmE_xEESB_NS0_8identityIvEEEESG_SJ_SK_mSL_SN_bEUlT_E_NS1_11comp_targetILNS1_3genE4ELNS1_11target_archE910ELNS1_3gpuE8ELNS1_3repE0EEENS1_30default_config_static_selectorELNS0_4arch9wavefront6targetE0EEEvT1_
; %bb.0:
	.section	.rodata,"a",@progbits
	.p2align	6, 0x0
	.amdhsa_kernel _ZN7rocprim17ROCPRIM_400000_NS6detail17trampoline_kernelINS0_14default_configENS1_25transform_config_selectorIxLb0EEEZNS1_14transform_implILb0ES3_S5_NS0_18transform_iteratorINS0_17counting_iteratorImlEEZNS1_24adjacent_difference_implIS3_Lb1ELb0EPxSB_N6thrust23THRUST_200600_302600_NS5minusIxEEEE10hipError_tPvRmT2_T3_mT4_P12ihipStream_tbEUlmE_xEESB_NS0_8identityIvEEEESG_SJ_SK_mSL_SN_bEUlT_E_NS1_11comp_targetILNS1_3genE4ELNS1_11target_archE910ELNS1_3gpuE8ELNS1_3repE0EEENS1_30default_config_static_selectorELNS0_4arch9wavefront6targetE0EEEvT1_
		.amdhsa_group_segment_fixed_size 0
		.amdhsa_private_segment_fixed_size 0
		.amdhsa_kernarg_size 56
		.amdhsa_user_sgpr_count 15
		.amdhsa_user_sgpr_dispatch_ptr 0
		.amdhsa_user_sgpr_queue_ptr 0
		.amdhsa_user_sgpr_kernarg_segment_ptr 1
		.amdhsa_user_sgpr_dispatch_id 0
		.amdhsa_user_sgpr_private_segment_size 0
		.amdhsa_wavefront_size32 1
		.amdhsa_uses_dynamic_stack 0
		.amdhsa_enable_private_segment 0
		.amdhsa_system_sgpr_workgroup_id_x 1
		.amdhsa_system_sgpr_workgroup_id_y 0
		.amdhsa_system_sgpr_workgroup_id_z 0
		.amdhsa_system_sgpr_workgroup_info 0
		.amdhsa_system_vgpr_workitem_id 0
		.amdhsa_next_free_vgpr 1
		.amdhsa_next_free_sgpr 1
		.amdhsa_reserve_vcc 0
		.amdhsa_float_round_mode_32 0
		.amdhsa_float_round_mode_16_64 0
		.amdhsa_float_denorm_mode_32 3
		.amdhsa_float_denorm_mode_16_64 3
		.amdhsa_dx10_clamp 1
		.amdhsa_ieee_mode 1
		.amdhsa_fp16_overflow 0
		.amdhsa_workgroup_processor_mode 1
		.amdhsa_memory_ordered 1
		.amdhsa_forward_progress 0
		.amdhsa_shared_vgpr_count 0
		.amdhsa_exception_fp_ieee_invalid_op 0
		.amdhsa_exception_fp_denorm_src 0
		.amdhsa_exception_fp_ieee_div_zero 0
		.amdhsa_exception_fp_ieee_overflow 0
		.amdhsa_exception_fp_ieee_underflow 0
		.amdhsa_exception_fp_ieee_inexact 0
		.amdhsa_exception_int_div_zero 0
	.end_amdhsa_kernel
	.section	.text._ZN7rocprim17ROCPRIM_400000_NS6detail17trampoline_kernelINS0_14default_configENS1_25transform_config_selectorIxLb0EEEZNS1_14transform_implILb0ES3_S5_NS0_18transform_iteratorINS0_17counting_iteratorImlEEZNS1_24adjacent_difference_implIS3_Lb1ELb0EPxSB_N6thrust23THRUST_200600_302600_NS5minusIxEEEE10hipError_tPvRmT2_T3_mT4_P12ihipStream_tbEUlmE_xEESB_NS0_8identityIvEEEESG_SJ_SK_mSL_SN_bEUlT_E_NS1_11comp_targetILNS1_3genE4ELNS1_11target_archE910ELNS1_3gpuE8ELNS1_3repE0EEENS1_30default_config_static_selectorELNS0_4arch9wavefront6targetE0EEEvT1_,"axG",@progbits,_ZN7rocprim17ROCPRIM_400000_NS6detail17trampoline_kernelINS0_14default_configENS1_25transform_config_selectorIxLb0EEEZNS1_14transform_implILb0ES3_S5_NS0_18transform_iteratorINS0_17counting_iteratorImlEEZNS1_24adjacent_difference_implIS3_Lb1ELb0EPxSB_N6thrust23THRUST_200600_302600_NS5minusIxEEEE10hipError_tPvRmT2_T3_mT4_P12ihipStream_tbEUlmE_xEESB_NS0_8identityIvEEEESG_SJ_SK_mSL_SN_bEUlT_E_NS1_11comp_targetILNS1_3genE4ELNS1_11target_archE910ELNS1_3gpuE8ELNS1_3repE0EEENS1_30default_config_static_selectorELNS0_4arch9wavefront6targetE0EEEvT1_,comdat
.Lfunc_end267:
	.size	_ZN7rocprim17ROCPRIM_400000_NS6detail17trampoline_kernelINS0_14default_configENS1_25transform_config_selectorIxLb0EEEZNS1_14transform_implILb0ES3_S5_NS0_18transform_iteratorINS0_17counting_iteratorImlEEZNS1_24adjacent_difference_implIS3_Lb1ELb0EPxSB_N6thrust23THRUST_200600_302600_NS5minusIxEEEE10hipError_tPvRmT2_T3_mT4_P12ihipStream_tbEUlmE_xEESB_NS0_8identityIvEEEESG_SJ_SK_mSL_SN_bEUlT_E_NS1_11comp_targetILNS1_3genE4ELNS1_11target_archE910ELNS1_3gpuE8ELNS1_3repE0EEENS1_30default_config_static_selectorELNS0_4arch9wavefront6targetE0EEEvT1_, .Lfunc_end267-_ZN7rocprim17ROCPRIM_400000_NS6detail17trampoline_kernelINS0_14default_configENS1_25transform_config_selectorIxLb0EEEZNS1_14transform_implILb0ES3_S5_NS0_18transform_iteratorINS0_17counting_iteratorImlEEZNS1_24adjacent_difference_implIS3_Lb1ELb0EPxSB_N6thrust23THRUST_200600_302600_NS5minusIxEEEE10hipError_tPvRmT2_T3_mT4_P12ihipStream_tbEUlmE_xEESB_NS0_8identityIvEEEESG_SJ_SK_mSL_SN_bEUlT_E_NS1_11comp_targetILNS1_3genE4ELNS1_11target_archE910ELNS1_3gpuE8ELNS1_3repE0EEENS1_30default_config_static_selectorELNS0_4arch9wavefront6targetE0EEEvT1_
                                        ; -- End function
	.section	.AMDGPU.csdata,"",@progbits
; Kernel info:
; codeLenInByte = 0
; NumSgprs: 0
; NumVgprs: 0
; ScratchSize: 0
; MemoryBound: 0
; FloatMode: 240
; IeeeMode: 1
; LDSByteSize: 0 bytes/workgroup (compile time only)
; SGPRBlocks: 0
; VGPRBlocks: 0
; NumSGPRsForWavesPerEU: 1
; NumVGPRsForWavesPerEU: 1
; Occupancy: 16
; WaveLimiterHint : 0
; COMPUTE_PGM_RSRC2:SCRATCH_EN: 0
; COMPUTE_PGM_RSRC2:USER_SGPR: 15
; COMPUTE_PGM_RSRC2:TRAP_HANDLER: 0
; COMPUTE_PGM_RSRC2:TGID_X_EN: 1
; COMPUTE_PGM_RSRC2:TGID_Y_EN: 0
; COMPUTE_PGM_RSRC2:TGID_Z_EN: 0
; COMPUTE_PGM_RSRC2:TIDIG_COMP_CNT: 0
	.section	.text._ZN7rocprim17ROCPRIM_400000_NS6detail17trampoline_kernelINS0_14default_configENS1_25transform_config_selectorIxLb0EEEZNS1_14transform_implILb0ES3_S5_NS0_18transform_iteratorINS0_17counting_iteratorImlEEZNS1_24adjacent_difference_implIS3_Lb1ELb0EPxSB_N6thrust23THRUST_200600_302600_NS5minusIxEEEE10hipError_tPvRmT2_T3_mT4_P12ihipStream_tbEUlmE_xEESB_NS0_8identityIvEEEESG_SJ_SK_mSL_SN_bEUlT_E_NS1_11comp_targetILNS1_3genE3ELNS1_11target_archE908ELNS1_3gpuE7ELNS1_3repE0EEENS1_30default_config_static_selectorELNS0_4arch9wavefront6targetE0EEEvT1_,"axG",@progbits,_ZN7rocprim17ROCPRIM_400000_NS6detail17trampoline_kernelINS0_14default_configENS1_25transform_config_selectorIxLb0EEEZNS1_14transform_implILb0ES3_S5_NS0_18transform_iteratorINS0_17counting_iteratorImlEEZNS1_24adjacent_difference_implIS3_Lb1ELb0EPxSB_N6thrust23THRUST_200600_302600_NS5minusIxEEEE10hipError_tPvRmT2_T3_mT4_P12ihipStream_tbEUlmE_xEESB_NS0_8identityIvEEEESG_SJ_SK_mSL_SN_bEUlT_E_NS1_11comp_targetILNS1_3genE3ELNS1_11target_archE908ELNS1_3gpuE7ELNS1_3repE0EEENS1_30default_config_static_selectorELNS0_4arch9wavefront6targetE0EEEvT1_,comdat
	.protected	_ZN7rocprim17ROCPRIM_400000_NS6detail17trampoline_kernelINS0_14default_configENS1_25transform_config_selectorIxLb0EEEZNS1_14transform_implILb0ES3_S5_NS0_18transform_iteratorINS0_17counting_iteratorImlEEZNS1_24adjacent_difference_implIS3_Lb1ELb0EPxSB_N6thrust23THRUST_200600_302600_NS5minusIxEEEE10hipError_tPvRmT2_T3_mT4_P12ihipStream_tbEUlmE_xEESB_NS0_8identityIvEEEESG_SJ_SK_mSL_SN_bEUlT_E_NS1_11comp_targetILNS1_3genE3ELNS1_11target_archE908ELNS1_3gpuE7ELNS1_3repE0EEENS1_30default_config_static_selectorELNS0_4arch9wavefront6targetE0EEEvT1_ ; -- Begin function _ZN7rocprim17ROCPRIM_400000_NS6detail17trampoline_kernelINS0_14default_configENS1_25transform_config_selectorIxLb0EEEZNS1_14transform_implILb0ES3_S5_NS0_18transform_iteratorINS0_17counting_iteratorImlEEZNS1_24adjacent_difference_implIS3_Lb1ELb0EPxSB_N6thrust23THRUST_200600_302600_NS5minusIxEEEE10hipError_tPvRmT2_T3_mT4_P12ihipStream_tbEUlmE_xEESB_NS0_8identityIvEEEESG_SJ_SK_mSL_SN_bEUlT_E_NS1_11comp_targetILNS1_3genE3ELNS1_11target_archE908ELNS1_3gpuE7ELNS1_3repE0EEENS1_30default_config_static_selectorELNS0_4arch9wavefront6targetE0EEEvT1_
	.globl	_ZN7rocprim17ROCPRIM_400000_NS6detail17trampoline_kernelINS0_14default_configENS1_25transform_config_selectorIxLb0EEEZNS1_14transform_implILb0ES3_S5_NS0_18transform_iteratorINS0_17counting_iteratorImlEEZNS1_24adjacent_difference_implIS3_Lb1ELb0EPxSB_N6thrust23THRUST_200600_302600_NS5minusIxEEEE10hipError_tPvRmT2_T3_mT4_P12ihipStream_tbEUlmE_xEESB_NS0_8identityIvEEEESG_SJ_SK_mSL_SN_bEUlT_E_NS1_11comp_targetILNS1_3genE3ELNS1_11target_archE908ELNS1_3gpuE7ELNS1_3repE0EEENS1_30default_config_static_selectorELNS0_4arch9wavefront6targetE0EEEvT1_
	.p2align	8
	.type	_ZN7rocprim17ROCPRIM_400000_NS6detail17trampoline_kernelINS0_14default_configENS1_25transform_config_selectorIxLb0EEEZNS1_14transform_implILb0ES3_S5_NS0_18transform_iteratorINS0_17counting_iteratorImlEEZNS1_24adjacent_difference_implIS3_Lb1ELb0EPxSB_N6thrust23THRUST_200600_302600_NS5minusIxEEEE10hipError_tPvRmT2_T3_mT4_P12ihipStream_tbEUlmE_xEESB_NS0_8identityIvEEEESG_SJ_SK_mSL_SN_bEUlT_E_NS1_11comp_targetILNS1_3genE3ELNS1_11target_archE908ELNS1_3gpuE7ELNS1_3repE0EEENS1_30default_config_static_selectorELNS0_4arch9wavefront6targetE0EEEvT1_,@function
_ZN7rocprim17ROCPRIM_400000_NS6detail17trampoline_kernelINS0_14default_configENS1_25transform_config_selectorIxLb0EEEZNS1_14transform_implILb0ES3_S5_NS0_18transform_iteratorINS0_17counting_iteratorImlEEZNS1_24adjacent_difference_implIS3_Lb1ELb0EPxSB_N6thrust23THRUST_200600_302600_NS5minusIxEEEE10hipError_tPvRmT2_T3_mT4_P12ihipStream_tbEUlmE_xEESB_NS0_8identityIvEEEESG_SJ_SK_mSL_SN_bEUlT_E_NS1_11comp_targetILNS1_3genE3ELNS1_11target_archE908ELNS1_3gpuE7ELNS1_3repE0EEENS1_30default_config_static_selectorELNS0_4arch9wavefront6targetE0EEEvT1_: ; @_ZN7rocprim17ROCPRIM_400000_NS6detail17trampoline_kernelINS0_14default_configENS1_25transform_config_selectorIxLb0EEEZNS1_14transform_implILb0ES3_S5_NS0_18transform_iteratorINS0_17counting_iteratorImlEEZNS1_24adjacent_difference_implIS3_Lb1ELb0EPxSB_N6thrust23THRUST_200600_302600_NS5minusIxEEEE10hipError_tPvRmT2_T3_mT4_P12ihipStream_tbEUlmE_xEESB_NS0_8identityIvEEEESG_SJ_SK_mSL_SN_bEUlT_E_NS1_11comp_targetILNS1_3genE3ELNS1_11target_archE908ELNS1_3gpuE7ELNS1_3repE0EEENS1_30default_config_static_selectorELNS0_4arch9wavefront6targetE0EEEvT1_
; %bb.0:
	.section	.rodata,"a",@progbits
	.p2align	6, 0x0
	.amdhsa_kernel _ZN7rocprim17ROCPRIM_400000_NS6detail17trampoline_kernelINS0_14default_configENS1_25transform_config_selectorIxLb0EEEZNS1_14transform_implILb0ES3_S5_NS0_18transform_iteratorINS0_17counting_iteratorImlEEZNS1_24adjacent_difference_implIS3_Lb1ELb0EPxSB_N6thrust23THRUST_200600_302600_NS5minusIxEEEE10hipError_tPvRmT2_T3_mT4_P12ihipStream_tbEUlmE_xEESB_NS0_8identityIvEEEESG_SJ_SK_mSL_SN_bEUlT_E_NS1_11comp_targetILNS1_3genE3ELNS1_11target_archE908ELNS1_3gpuE7ELNS1_3repE0EEENS1_30default_config_static_selectorELNS0_4arch9wavefront6targetE0EEEvT1_
		.amdhsa_group_segment_fixed_size 0
		.amdhsa_private_segment_fixed_size 0
		.amdhsa_kernarg_size 56
		.amdhsa_user_sgpr_count 15
		.amdhsa_user_sgpr_dispatch_ptr 0
		.amdhsa_user_sgpr_queue_ptr 0
		.amdhsa_user_sgpr_kernarg_segment_ptr 1
		.amdhsa_user_sgpr_dispatch_id 0
		.amdhsa_user_sgpr_private_segment_size 0
		.amdhsa_wavefront_size32 1
		.amdhsa_uses_dynamic_stack 0
		.amdhsa_enable_private_segment 0
		.amdhsa_system_sgpr_workgroup_id_x 1
		.amdhsa_system_sgpr_workgroup_id_y 0
		.amdhsa_system_sgpr_workgroup_id_z 0
		.amdhsa_system_sgpr_workgroup_info 0
		.amdhsa_system_vgpr_workitem_id 0
		.amdhsa_next_free_vgpr 1
		.amdhsa_next_free_sgpr 1
		.amdhsa_reserve_vcc 0
		.amdhsa_float_round_mode_32 0
		.amdhsa_float_round_mode_16_64 0
		.amdhsa_float_denorm_mode_32 3
		.amdhsa_float_denorm_mode_16_64 3
		.amdhsa_dx10_clamp 1
		.amdhsa_ieee_mode 1
		.amdhsa_fp16_overflow 0
		.amdhsa_workgroup_processor_mode 1
		.amdhsa_memory_ordered 1
		.amdhsa_forward_progress 0
		.amdhsa_shared_vgpr_count 0
		.amdhsa_exception_fp_ieee_invalid_op 0
		.amdhsa_exception_fp_denorm_src 0
		.amdhsa_exception_fp_ieee_div_zero 0
		.amdhsa_exception_fp_ieee_overflow 0
		.amdhsa_exception_fp_ieee_underflow 0
		.amdhsa_exception_fp_ieee_inexact 0
		.amdhsa_exception_int_div_zero 0
	.end_amdhsa_kernel
	.section	.text._ZN7rocprim17ROCPRIM_400000_NS6detail17trampoline_kernelINS0_14default_configENS1_25transform_config_selectorIxLb0EEEZNS1_14transform_implILb0ES3_S5_NS0_18transform_iteratorINS0_17counting_iteratorImlEEZNS1_24adjacent_difference_implIS3_Lb1ELb0EPxSB_N6thrust23THRUST_200600_302600_NS5minusIxEEEE10hipError_tPvRmT2_T3_mT4_P12ihipStream_tbEUlmE_xEESB_NS0_8identityIvEEEESG_SJ_SK_mSL_SN_bEUlT_E_NS1_11comp_targetILNS1_3genE3ELNS1_11target_archE908ELNS1_3gpuE7ELNS1_3repE0EEENS1_30default_config_static_selectorELNS0_4arch9wavefront6targetE0EEEvT1_,"axG",@progbits,_ZN7rocprim17ROCPRIM_400000_NS6detail17trampoline_kernelINS0_14default_configENS1_25transform_config_selectorIxLb0EEEZNS1_14transform_implILb0ES3_S5_NS0_18transform_iteratorINS0_17counting_iteratorImlEEZNS1_24adjacent_difference_implIS3_Lb1ELb0EPxSB_N6thrust23THRUST_200600_302600_NS5minusIxEEEE10hipError_tPvRmT2_T3_mT4_P12ihipStream_tbEUlmE_xEESB_NS0_8identityIvEEEESG_SJ_SK_mSL_SN_bEUlT_E_NS1_11comp_targetILNS1_3genE3ELNS1_11target_archE908ELNS1_3gpuE7ELNS1_3repE0EEENS1_30default_config_static_selectorELNS0_4arch9wavefront6targetE0EEEvT1_,comdat
.Lfunc_end268:
	.size	_ZN7rocprim17ROCPRIM_400000_NS6detail17trampoline_kernelINS0_14default_configENS1_25transform_config_selectorIxLb0EEEZNS1_14transform_implILb0ES3_S5_NS0_18transform_iteratorINS0_17counting_iteratorImlEEZNS1_24adjacent_difference_implIS3_Lb1ELb0EPxSB_N6thrust23THRUST_200600_302600_NS5minusIxEEEE10hipError_tPvRmT2_T3_mT4_P12ihipStream_tbEUlmE_xEESB_NS0_8identityIvEEEESG_SJ_SK_mSL_SN_bEUlT_E_NS1_11comp_targetILNS1_3genE3ELNS1_11target_archE908ELNS1_3gpuE7ELNS1_3repE0EEENS1_30default_config_static_selectorELNS0_4arch9wavefront6targetE0EEEvT1_, .Lfunc_end268-_ZN7rocprim17ROCPRIM_400000_NS6detail17trampoline_kernelINS0_14default_configENS1_25transform_config_selectorIxLb0EEEZNS1_14transform_implILb0ES3_S5_NS0_18transform_iteratorINS0_17counting_iteratorImlEEZNS1_24adjacent_difference_implIS3_Lb1ELb0EPxSB_N6thrust23THRUST_200600_302600_NS5minusIxEEEE10hipError_tPvRmT2_T3_mT4_P12ihipStream_tbEUlmE_xEESB_NS0_8identityIvEEEESG_SJ_SK_mSL_SN_bEUlT_E_NS1_11comp_targetILNS1_3genE3ELNS1_11target_archE908ELNS1_3gpuE7ELNS1_3repE0EEENS1_30default_config_static_selectorELNS0_4arch9wavefront6targetE0EEEvT1_
                                        ; -- End function
	.section	.AMDGPU.csdata,"",@progbits
; Kernel info:
; codeLenInByte = 0
; NumSgprs: 0
; NumVgprs: 0
; ScratchSize: 0
; MemoryBound: 0
; FloatMode: 240
; IeeeMode: 1
; LDSByteSize: 0 bytes/workgroup (compile time only)
; SGPRBlocks: 0
; VGPRBlocks: 0
; NumSGPRsForWavesPerEU: 1
; NumVGPRsForWavesPerEU: 1
; Occupancy: 16
; WaveLimiterHint : 0
; COMPUTE_PGM_RSRC2:SCRATCH_EN: 0
; COMPUTE_PGM_RSRC2:USER_SGPR: 15
; COMPUTE_PGM_RSRC2:TRAP_HANDLER: 0
; COMPUTE_PGM_RSRC2:TGID_X_EN: 1
; COMPUTE_PGM_RSRC2:TGID_Y_EN: 0
; COMPUTE_PGM_RSRC2:TGID_Z_EN: 0
; COMPUTE_PGM_RSRC2:TIDIG_COMP_CNT: 0
	.section	.text._ZN7rocprim17ROCPRIM_400000_NS6detail17trampoline_kernelINS0_14default_configENS1_25transform_config_selectorIxLb0EEEZNS1_14transform_implILb0ES3_S5_NS0_18transform_iteratorINS0_17counting_iteratorImlEEZNS1_24adjacent_difference_implIS3_Lb1ELb0EPxSB_N6thrust23THRUST_200600_302600_NS5minusIxEEEE10hipError_tPvRmT2_T3_mT4_P12ihipStream_tbEUlmE_xEESB_NS0_8identityIvEEEESG_SJ_SK_mSL_SN_bEUlT_E_NS1_11comp_targetILNS1_3genE2ELNS1_11target_archE906ELNS1_3gpuE6ELNS1_3repE0EEENS1_30default_config_static_selectorELNS0_4arch9wavefront6targetE0EEEvT1_,"axG",@progbits,_ZN7rocprim17ROCPRIM_400000_NS6detail17trampoline_kernelINS0_14default_configENS1_25transform_config_selectorIxLb0EEEZNS1_14transform_implILb0ES3_S5_NS0_18transform_iteratorINS0_17counting_iteratorImlEEZNS1_24adjacent_difference_implIS3_Lb1ELb0EPxSB_N6thrust23THRUST_200600_302600_NS5minusIxEEEE10hipError_tPvRmT2_T3_mT4_P12ihipStream_tbEUlmE_xEESB_NS0_8identityIvEEEESG_SJ_SK_mSL_SN_bEUlT_E_NS1_11comp_targetILNS1_3genE2ELNS1_11target_archE906ELNS1_3gpuE6ELNS1_3repE0EEENS1_30default_config_static_selectorELNS0_4arch9wavefront6targetE0EEEvT1_,comdat
	.protected	_ZN7rocprim17ROCPRIM_400000_NS6detail17trampoline_kernelINS0_14default_configENS1_25transform_config_selectorIxLb0EEEZNS1_14transform_implILb0ES3_S5_NS0_18transform_iteratorINS0_17counting_iteratorImlEEZNS1_24adjacent_difference_implIS3_Lb1ELb0EPxSB_N6thrust23THRUST_200600_302600_NS5minusIxEEEE10hipError_tPvRmT2_T3_mT4_P12ihipStream_tbEUlmE_xEESB_NS0_8identityIvEEEESG_SJ_SK_mSL_SN_bEUlT_E_NS1_11comp_targetILNS1_3genE2ELNS1_11target_archE906ELNS1_3gpuE6ELNS1_3repE0EEENS1_30default_config_static_selectorELNS0_4arch9wavefront6targetE0EEEvT1_ ; -- Begin function _ZN7rocprim17ROCPRIM_400000_NS6detail17trampoline_kernelINS0_14default_configENS1_25transform_config_selectorIxLb0EEEZNS1_14transform_implILb0ES3_S5_NS0_18transform_iteratorINS0_17counting_iteratorImlEEZNS1_24adjacent_difference_implIS3_Lb1ELb0EPxSB_N6thrust23THRUST_200600_302600_NS5minusIxEEEE10hipError_tPvRmT2_T3_mT4_P12ihipStream_tbEUlmE_xEESB_NS0_8identityIvEEEESG_SJ_SK_mSL_SN_bEUlT_E_NS1_11comp_targetILNS1_3genE2ELNS1_11target_archE906ELNS1_3gpuE6ELNS1_3repE0EEENS1_30default_config_static_selectorELNS0_4arch9wavefront6targetE0EEEvT1_
	.globl	_ZN7rocprim17ROCPRIM_400000_NS6detail17trampoline_kernelINS0_14default_configENS1_25transform_config_selectorIxLb0EEEZNS1_14transform_implILb0ES3_S5_NS0_18transform_iteratorINS0_17counting_iteratorImlEEZNS1_24adjacent_difference_implIS3_Lb1ELb0EPxSB_N6thrust23THRUST_200600_302600_NS5minusIxEEEE10hipError_tPvRmT2_T3_mT4_P12ihipStream_tbEUlmE_xEESB_NS0_8identityIvEEEESG_SJ_SK_mSL_SN_bEUlT_E_NS1_11comp_targetILNS1_3genE2ELNS1_11target_archE906ELNS1_3gpuE6ELNS1_3repE0EEENS1_30default_config_static_selectorELNS0_4arch9wavefront6targetE0EEEvT1_
	.p2align	8
	.type	_ZN7rocprim17ROCPRIM_400000_NS6detail17trampoline_kernelINS0_14default_configENS1_25transform_config_selectorIxLb0EEEZNS1_14transform_implILb0ES3_S5_NS0_18transform_iteratorINS0_17counting_iteratorImlEEZNS1_24adjacent_difference_implIS3_Lb1ELb0EPxSB_N6thrust23THRUST_200600_302600_NS5minusIxEEEE10hipError_tPvRmT2_T3_mT4_P12ihipStream_tbEUlmE_xEESB_NS0_8identityIvEEEESG_SJ_SK_mSL_SN_bEUlT_E_NS1_11comp_targetILNS1_3genE2ELNS1_11target_archE906ELNS1_3gpuE6ELNS1_3repE0EEENS1_30default_config_static_selectorELNS0_4arch9wavefront6targetE0EEEvT1_,@function
_ZN7rocprim17ROCPRIM_400000_NS6detail17trampoline_kernelINS0_14default_configENS1_25transform_config_selectorIxLb0EEEZNS1_14transform_implILb0ES3_S5_NS0_18transform_iteratorINS0_17counting_iteratorImlEEZNS1_24adjacent_difference_implIS3_Lb1ELb0EPxSB_N6thrust23THRUST_200600_302600_NS5minusIxEEEE10hipError_tPvRmT2_T3_mT4_P12ihipStream_tbEUlmE_xEESB_NS0_8identityIvEEEESG_SJ_SK_mSL_SN_bEUlT_E_NS1_11comp_targetILNS1_3genE2ELNS1_11target_archE906ELNS1_3gpuE6ELNS1_3repE0EEENS1_30default_config_static_selectorELNS0_4arch9wavefront6targetE0EEEvT1_: ; @_ZN7rocprim17ROCPRIM_400000_NS6detail17trampoline_kernelINS0_14default_configENS1_25transform_config_selectorIxLb0EEEZNS1_14transform_implILb0ES3_S5_NS0_18transform_iteratorINS0_17counting_iteratorImlEEZNS1_24adjacent_difference_implIS3_Lb1ELb0EPxSB_N6thrust23THRUST_200600_302600_NS5minusIxEEEE10hipError_tPvRmT2_T3_mT4_P12ihipStream_tbEUlmE_xEESB_NS0_8identityIvEEEESG_SJ_SK_mSL_SN_bEUlT_E_NS1_11comp_targetILNS1_3genE2ELNS1_11target_archE906ELNS1_3gpuE6ELNS1_3repE0EEENS1_30default_config_static_selectorELNS0_4arch9wavefront6targetE0EEEvT1_
; %bb.0:
	.section	.rodata,"a",@progbits
	.p2align	6, 0x0
	.amdhsa_kernel _ZN7rocprim17ROCPRIM_400000_NS6detail17trampoline_kernelINS0_14default_configENS1_25transform_config_selectorIxLb0EEEZNS1_14transform_implILb0ES3_S5_NS0_18transform_iteratorINS0_17counting_iteratorImlEEZNS1_24adjacent_difference_implIS3_Lb1ELb0EPxSB_N6thrust23THRUST_200600_302600_NS5minusIxEEEE10hipError_tPvRmT2_T3_mT4_P12ihipStream_tbEUlmE_xEESB_NS0_8identityIvEEEESG_SJ_SK_mSL_SN_bEUlT_E_NS1_11comp_targetILNS1_3genE2ELNS1_11target_archE906ELNS1_3gpuE6ELNS1_3repE0EEENS1_30default_config_static_selectorELNS0_4arch9wavefront6targetE0EEEvT1_
		.amdhsa_group_segment_fixed_size 0
		.amdhsa_private_segment_fixed_size 0
		.amdhsa_kernarg_size 56
		.amdhsa_user_sgpr_count 15
		.amdhsa_user_sgpr_dispatch_ptr 0
		.amdhsa_user_sgpr_queue_ptr 0
		.amdhsa_user_sgpr_kernarg_segment_ptr 1
		.amdhsa_user_sgpr_dispatch_id 0
		.amdhsa_user_sgpr_private_segment_size 0
		.amdhsa_wavefront_size32 1
		.amdhsa_uses_dynamic_stack 0
		.amdhsa_enable_private_segment 0
		.amdhsa_system_sgpr_workgroup_id_x 1
		.amdhsa_system_sgpr_workgroup_id_y 0
		.amdhsa_system_sgpr_workgroup_id_z 0
		.amdhsa_system_sgpr_workgroup_info 0
		.amdhsa_system_vgpr_workitem_id 0
		.amdhsa_next_free_vgpr 1
		.amdhsa_next_free_sgpr 1
		.amdhsa_reserve_vcc 0
		.amdhsa_float_round_mode_32 0
		.amdhsa_float_round_mode_16_64 0
		.amdhsa_float_denorm_mode_32 3
		.amdhsa_float_denorm_mode_16_64 3
		.amdhsa_dx10_clamp 1
		.amdhsa_ieee_mode 1
		.amdhsa_fp16_overflow 0
		.amdhsa_workgroup_processor_mode 1
		.amdhsa_memory_ordered 1
		.amdhsa_forward_progress 0
		.amdhsa_shared_vgpr_count 0
		.amdhsa_exception_fp_ieee_invalid_op 0
		.amdhsa_exception_fp_denorm_src 0
		.amdhsa_exception_fp_ieee_div_zero 0
		.amdhsa_exception_fp_ieee_overflow 0
		.amdhsa_exception_fp_ieee_underflow 0
		.amdhsa_exception_fp_ieee_inexact 0
		.amdhsa_exception_int_div_zero 0
	.end_amdhsa_kernel
	.section	.text._ZN7rocprim17ROCPRIM_400000_NS6detail17trampoline_kernelINS0_14default_configENS1_25transform_config_selectorIxLb0EEEZNS1_14transform_implILb0ES3_S5_NS0_18transform_iteratorINS0_17counting_iteratorImlEEZNS1_24adjacent_difference_implIS3_Lb1ELb0EPxSB_N6thrust23THRUST_200600_302600_NS5minusIxEEEE10hipError_tPvRmT2_T3_mT4_P12ihipStream_tbEUlmE_xEESB_NS0_8identityIvEEEESG_SJ_SK_mSL_SN_bEUlT_E_NS1_11comp_targetILNS1_3genE2ELNS1_11target_archE906ELNS1_3gpuE6ELNS1_3repE0EEENS1_30default_config_static_selectorELNS0_4arch9wavefront6targetE0EEEvT1_,"axG",@progbits,_ZN7rocprim17ROCPRIM_400000_NS6detail17trampoline_kernelINS0_14default_configENS1_25transform_config_selectorIxLb0EEEZNS1_14transform_implILb0ES3_S5_NS0_18transform_iteratorINS0_17counting_iteratorImlEEZNS1_24adjacent_difference_implIS3_Lb1ELb0EPxSB_N6thrust23THRUST_200600_302600_NS5minusIxEEEE10hipError_tPvRmT2_T3_mT4_P12ihipStream_tbEUlmE_xEESB_NS0_8identityIvEEEESG_SJ_SK_mSL_SN_bEUlT_E_NS1_11comp_targetILNS1_3genE2ELNS1_11target_archE906ELNS1_3gpuE6ELNS1_3repE0EEENS1_30default_config_static_selectorELNS0_4arch9wavefront6targetE0EEEvT1_,comdat
.Lfunc_end269:
	.size	_ZN7rocprim17ROCPRIM_400000_NS6detail17trampoline_kernelINS0_14default_configENS1_25transform_config_selectorIxLb0EEEZNS1_14transform_implILb0ES3_S5_NS0_18transform_iteratorINS0_17counting_iteratorImlEEZNS1_24adjacent_difference_implIS3_Lb1ELb0EPxSB_N6thrust23THRUST_200600_302600_NS5minusIxEEEE10hipError_tPvRmT2_T3_mT4_P12ihipStream_tbEUlmE_xEESB_NS0_8identityIvEEEESG_SJ_SK_mSL_SN_bEUlT_E_NS1_11comp_targetILNS1_3genE2ELNS1_11target_archE906ELNS1_3gpuE6ELNS1_3repE0EEENS1_30default_config_static_selectorELNS0_4arch9wavefront6targetE0EEEvT1_, .Lfunc_end269-_ZN7rocprim17ROCPRIM_400000_NS6detail17trampoline_kernelINS0_14default_configENS1_25transform_config_selectorIxLb0EEEZNS1_14transform_implILb0ES3_S5_NS0_18transform_iteratorINS0_17counting_iteratorImlEEZNS1_24adjacent_difference_implIS3_Lb1ELb0EPxSB_N6thrust23THRUST_200600_302600_NS5minusIxEEEE10hipError_tPvRmT2_T3_mT4_P12ihipStream_tbEUlmE_xEESB_NS0_8identityIvEEEESG_SJ_SK_mSL_SN_bEUlT_E_NS1_11comp_targetILNS1_3genE2ELNS1_11target_archE906ELNS1_3gpuE6ELNS1_3repE0EEENS1_30default_config_static_selectorELNS0_4arch9wavefront6targetE0EEEvT1_
                                        ; -- End function
	.section	.AMDGPU.csdata,"",@progbits
; Kernel info:
; codeLenInByte = 0
; NumSgprs: 0
; NumVgprs: 0
; ScratchSize: 0
; MemoryBound: 0
; FloatMode: 240
; IeeeMode: 1
; LDSByteSize: 0 bytes/workgroup (compile time only)
; SGPRBlocks: 0
; VGPRBlocks: 0
; NumSGPRsForWavesPerEU: 1
; NumVGPRsForWavesPerEU: 1
; Occupancy: 16
; WaveLimiterHint : 0
; COMPUTE_PGM_RSRC2:SCRATCH_EN: 0
; COMPUTE_PGM_RSRC2:USER_SGPR: 15
; COMPUTE_PGM_RSRC2:TRAP_HANDLER: 0
; COMPUTE_PGM_RSRC2:TGID_X_EN: 1
; COMPUTE_PGM_RSRC2:TGID_Y_EN: 0
; COMPUTE_PGM_RSRC2:TGID_Z_EN: 0
; COMPUTE_PGM_RSRC2:TIDIG_COMP_CNT: 0
	.section	.text._ZN7rocprim17ROCPRIM_400000_NS6detail17trampoline_kernelINS0_14default_configENS1_25transform_config_selectorIxLb0EEEZNS1_14transform_implILb0ES3_S5_NS0_18transform_iteratorINS0_17counting_iteratorImlEEZNS1_24adjacent_difference_implIS3_Lb1ELb0EPxSB_N6thrust23THRUST_200600_302600_NS5minusIxEEEE10hipError_tPvRmT2_T3_mT4_P12ihipStream_tbEUlmE_xEESB_NS0_8identityIvEEEESG_SJ_SK_mSL_SN_bEUlT_E_NS1_11comp_targetILNS1_3genE10ELNS1_11target_archE1201ELNS1_3gpuE5ELNS1_3repE0EEENS1_30default_config_static_selectorELNS0_4arch9wavefront6targetE0EEEvT1_,"axG",@progbits,_ZN7rocprim17ROCPRIM_400000_NS6detail17trampoline_kernelINS0_14default_configENS1_25transform_config_selectorIxLb0EEEZNS1_14transform_implILb0ES3_S5_NS0_18transform_iteratorINS0_17counting_iteratorImlEEZNS1_24adjacent_difference_implIS3_Lb1ELb0EPxSB_N6thrust23THRUST_200600_302600_NS5minusIxEEEE10hipError_tPvRmT2_T3_mT4_P12ihipStream_tbEUlmE_xEESB_NS0_8identityIvEEEESG_SJ_SK_mSL_SN_bEUlT_E_NS1_11comp_targetILNS1_3genE10ELNS1_11target_archE1201ELNS1_3gpuE5ELNS1_3repE0EEENS1_30default_config_static_selectorELNS0_4arch9wavefront6targetE0EEEvT1_,comdat
	.protected	_ZN7rocprim17ROCPRIM_400000_NS6detail17trampoline_kernelINS0_14default_configENS1_25transform_config_selectorIxLb0EEEZNS1_14transform_implILb0ES3_S5_NS0_18transform_iteratorINS0_17counting_iteratorImlEEZNS1_24adjacent_difference_implIS3_Lb1ELb0EPxSB_N6thrust23THRUST_200600_302600_NS5minusIxEEEE10hipError_tPvRmT2_T3_mT4_P12ihipStream_tbEUlmE_xEESB_NS0_8identityIvEEEESG_SJ_SK_mSL_SN_bEUlT_E_NS1_11comp_targetILNS1_3genE10ELNS1_11target_archE1201ELNS1_3gpuE5ELNS1_3repE0EEENS1_30default_config_static_selectorELNS0_4arch9wavefront6targetE0EEEvT1_ ; -- Begin function _ZN7rocprim17ROCPRIM_400000_NS6detail17trampoline_kernelINS0_14default_configENS1_25transform_config_selectorIxLb0EEEZNS1_14transform_implILb0ES3_S5_NS0_18transform_iteratorINS0_17counting_iteratorImlEEZNS1_24adjacent_difference_implIS3_Lb1ELb0EPxSB_N6thrust23THRUST_200600_302600_NS5minusIxEEEE10hipError_tPvRmT2_T3_mT4_P12ihipStream_tbEUlmE_xEESB_NS0_8identityIvEEEESG_SJ_SK_mSL_SN_bEUlT_E_NS1_11comp_targetILNS1_3genE10ELNS1_11target_archE1201ELNS1_3gpuE5ELNS1_3repE0EEENS1_30default_config_static_selectorELNS0_4arch9wavefront6targetE0EEEvT1_
	.globl	_ZN7rocprim17ROCPRIM_400000_NS6detail17trampoline_kernelINS0_14default_configENS1_25transform_config_selectorIxLb0EEEZNS1_14transform_implILb0ES3_S5_NS0_18transform_iteratorINS0_17counting_iteratorImlEEZNS1_24adjacent_difference_implIS3_Lb1ELb0EPxSB_N6thrust23THRUST_200600_302600_NS5minusIxEEEE10hipError_tPvRmT2_T3_mT4_P12ihipStream_tbEUlmE_xEESB_NS0_8identityIvEEEESG_SJ_SK_mSL_SN_bEUlT_E_NS1_11comp_targetILNS1_3genE10ELNS1_11target_archE1201ELNS1_3gpuE5ELNS1_3repE0EEENS1_30default_config_static_selectorELNS0_4arch9wavefront6targetE0EEEvT1_
	.p2align	8
	.type	_ZN7rocprim17ROCPRIM_400000_NS6detail17trampoline_kernelINS0_14default_configENS1_25transform_config_selectorIxLb0EEEZNS1_14transform_implILb0ES3_S5_NS0_18transform_iteratorINS0_17counting_iteratorImlEEZNS1_24adjacent_difference_implIS3_Lb1ELb0EPxSB_N6thrust23THRUST_200600_302600_NS5minusIxEEEE10hipError_tPvRmT2_T3_mT4_P12ihipStream_tbEUlmE_xEESB_NS0_8identityIvEEEESG_SJ_SK_mSL_SN_bEUlT_E_NS1_11comp_targetILNS1_3genE10ELNS1_11target_archE1201ELNS1_3gpuE5ELNS1_3repE0EEENS1_30default_config_static_selectorELNS0_4arch9wavefront6targetE0EEEvT1_,@function
_ZN7rocprim17ROCPRIM_400000_NS6detail17trampoline_kernelINS0_14default_configENS1_25transform_config_selectorIxLb0EEEZNS1_14transform_implILb0ES3_S5_NS0_18transform_iteratorINS0_17counting_iteratorImlEEZNS1_24adjacent_difference_implIS3_Lb1ELb0EPxSB_N6thrust23THRUST_200600_302600_NS5minusIxEEEE10hipError_tPvRmT2_T3_mT4_P12ihipStream_tbEUlmE_xEESB_NS0_8identityIvEEEESG_SJ_SK_mSL_SN_bEUlT_E_NS1_11comp_targetILNS1_3genE10ELNS1_11target_archE1201ELNS1_3gpuE5ELNS1_3repE0EEENS1_30default_config_static_selectorELNS0_4arch9wavefront6targetE0EEEvT1_: ; @_ZN7rocprim17ROCPRIM_400000_NS6detail17trampoline_kernelINS0_14default_configENS1_25transform_config_selectorIxLb0EEEZNS1_14transform_implILb0ES3_S5_NS0_18transform_iteratorINS0_17counting_iteratorImlEEZNS1_24adjacent_difference_implIS3_Lb1ELb0EPxSB_N6thrust23THRUST_200600_302600_NS5minusIxEEEE10hipError_tPvRmT2_T3_mT4_P12ihipStream_tbEUlmE_xEESB_NS0_8identityIvEEEESG_SJ_SK_mSL_SN_bEUlT_E_NS1_11comp_targetILNS1_3genE10ELNS1_11target_archE1201ELNS1_3gpuE5ELNS1_3repE0EEENS1_30default_config_static_selectorELNS0_4arch9wavefront6targetE0EEEvT1_
; %bb.0:
	.section	.rodata,"a",@progbits
	.p2align	6, 0x0
	.amdhsa_kernel _ZN7rocprim17ROCPRIM_400000_NS6detail17trampoline_kernelINS0_14default_configENS1_25transform_config_selectorIxLb0EEEZNS1_14transform_implILb0ES3_S5_NS0_18transform_iteratorINS0_17counting_iteratorImlEEZNS1_24adjacent_difference_implIS3_Lb1ELb0EPxSB_N6thrust23THRUST_200600_302600_NS5minusIxEEEE10hipError_tPvRmT2_T3_mT4_P12ihipStream_tbEUlmE_xEESB_NS0_8identityIvEEEESG_SJ_SK_mSL_SN_bEUlT_E_NS1_11comp_targetILNS1_3genE10ELNS1_11target_archE1201ELNS1_3gpuE5ELNS1_3repE0EEENS1_30default_config_static_selectorELNS0_4arch9wavefront6targetE0EEEvT1_
		.amdhsa_group_segment_fixed_size 0
		.amdhsa_private_segment_fixed_size 0
		.amdhsa_kernarg_size 56
		.amdhsa_user_sgpr_count 15
		.amdhsa_user_sgpr_dispatch_ptr 0
		.amdhsa_user_sgpr_queue_ptr 0
		.amdhsa_user_sgpr_kernarg_segment_ptr 1
		.amdhsa_user_sgpr_dispatch_id 0
		.amdhsa_user_sgpr_private_segment_size 0
		.amdhsa_wavefront_size32 1
		.amdhsa_uses_dynamic_stack 0
		.amdhsa_enable_private_segment 0
		.amdhsa_system_sgpr_workgroup_id_x 1
		.amdhsa_system_sgpr_workgroup_id_y 0
		.amdhsa_system_sgpr_workgroup_id_z 0
		.amdhsa_system_sgpr_workgroup_info 0
		.amdhsa_system_vgpr_workitem_id 0
		.amdhsa_next_free_vgpr 1
		.amdhsa_next_free_sgpr 1
		.amdhsa_reserve_vcc 0
		.amdhsa_float_round_mode_32 0
		.amdhsa_float_round_mode_16_64 0
		.amdhsa_float_denorm_mode_32 3
		.amdhsa_float_denorm_mode_16_64 3
		.amdhsa_dx10_clamp 1
		.amdhsa_ieee_mode 1
		.amdhsa_fp16_overflow 0
		.amdhsa_workgroup_processor_mode 1
		.amdhsa_memory_ordered 1
		.amdhsa_forward_progress 0
		.amdhsa_shared_vgpr_count 0
		.amdhsa_exception_fp_ieee_invalid_op 0
		.amdhsa_exception_fp_denorm_src 0
		.amdhsa_exception_fp_ieee_div_zero 0
		.amdhsa_exception_fp_ieee_overflow 0
		.amdhsa_exception_fp_ieee_underflow 0
		.amdhsa_exception_fp_ieee_inexact 0
		.amdhsa_exception_int_div_zero 0
	.end_amdhsa_kernel
	.section	.text._ZN7rocprim17ROCPRIM_400000_NS6detail17trampoline_kernelINS0_14default_configENS1_25transform_config_selectorIxLb0EEEZNS1_14transform_implILb0ES3_S5_NS0_18transform_iteratorINS0_17counting_iteratorImlEEZNS1_24adjacent_difference_implIS3_Lb1ELb0EPxSB_N6thrust23THRUST_200600_302600_NS5minusIxEEEE10hipError_tPvRmT2_T3_mT4_P12ihipStream_tbEUlmE_xEESB_NS0_8identityIvEEEESG_SJ_SK_mSL_SN_bEUlT_E_NS1_11comp_targetILNS1_3genE10ELNS1_11target_archE1201ELNS1_3gpuE5ELNS1_3repE0EEENS1_30default_config_static_selectorELNS0_4arch9wavefront6targetE0EEEvT1_,"axG",@progbits,_ZN7rocprim17ROCPRIM_400000_NS6detail17trampoline_kernelINS0_14default_configENS1_25transform_config_selectorIxLb0EEEZNS1_14transform_implILb0ES3_S5_NS0_18transform_iteratorINS0_17counting_iteratorImlEEZNS1_24adjacent_difference_implIS3_Lb1ELb0EPxSB_N6thrust23THRUST_200600_302600_NS5minusIxEEEE10hipError_tPvRmT2_T3_mT4_P12ihipStream_tbEUlmE_xEESB_NS0_8identityIvEEEESG_SJ_SK_mSL_SN_bEUlT_E_NS1_11comp_targetILNS1_3genE10ELNS1_11target_archE1201ELNS1_3gpuE5ELNS1_3repE0EEENS1_30default_config_static_selectorELNS0_4arch9wavefront6targetE0EEEvT1_,comdat
.Lfunc_end270:
	.size	_ZN7rocprim17ROCPRIM_400000_NS6detail17trampoline_kernelINS0_14default_configENS1_25transform_config_selectorIxLb0EEEZNS1_14transform_implILb0ES3_S5_NS0_18transform_iteratorINS0_17counting_iteratorImlEEZNS1_24adjacent_difference_implIS3_Lb1ELb0EPxSB_N6thrust23THRUST_200600_302600_NS5minusIxEEEE10hipError_tPvRmT2_T3_mT4_P12ihipStream_tbEUlmE_xEESB_NS0_8identityIvEEEESG_SJ_SK_mSL_SN_bEUlT_E_NS1_11comp_targetILNS1_3genE10ELNS1_11target_archE1201ELNS1_3gpuE5ELNS1_3repE0EEENS1_30default_config_static_selectorELNS0_4arch9wavefront6targetE0EEEvT1_, .Lfunc_end270-_ZN7rocprim17ROCPRIM_400000_NS6detail17trampoline_kernelINS0_14default_configENS1_25transform_config_selectorIxLb0EEEZNS1_14transform_implILb0ES3_S5_NS0_18transform_iteratorINS0_17counting_iteratorImlEEZNS1_24adjacent_difference_implIS3_Lb1ELb0EPxSB_N6thrust23THRUST_200600_302600_NS5minusIxEEEE10hipError_tPvRmT2_T3_mT4_P12ihipStream_tbEUlmE_xEESB_NS0_8identityIvEEEESG_SJ_SK_mSL_SN_bEUlT_E_NS1_11comp_targetILNS1_3genE10ELNS1_11target_archE1201ELNS1_3gpuE5ELNS1_3repE0EEENS1_30default_config_static_selectorELNS0_4arch9wavefront6targetE0EEEvT1_
                                        ; -- End function
	.section	.AMDGPU.csdata,"",@progbits
; Kernel info:
; codeLenInByte = 0
; NumSgprs: 0
; NumVgprs: 0
; ScratchSize: 0
; MemoryBound: 0
; FloatMode: 240
; IeeeMode: 1
; LDSByteSize: 0 bytes/workgroup (compile time only)
; SGPRBlocks: 0
; VGPRBlocks: 0
; NumSGPRsForWavesPerEU: 1
; NumVGPRsForWavesPerEU: 1
; Occupancy: 16
; WaveLimiterHint : 0
; COMPUTE_PGM_RSRC2:SCRATCH_EN: 0
; COMPUTE_PGM_RSRC2:USER_SGPR: 15
; COMPUTE_PGM_RSRC2:TRAP_HANDLER: 0
; COMPUTE_PGM_RSRC2:TGID_X_EN: 1
; COMPUTE_PGM_RSRC2:TGID_Y_EN: 0
; COMPUTE_PGM_RSRC2:TGID_Z_EN: 0
; COMPUTE_PGM_RSRC2:TIDIG_COMP_CNT: 0
	.section	.text._ZN7rocprim17ROCPRIM_400000_NS6detail17trampoline_kernelINS0_14default_configENS1_25transform_config_selectorIxLb0EEEZNS1_14transform_implILb0ES3_S5_NS0_18transform_iteratorINS0_17counting_iteratorImlEEZNS1_24adjacent_difference_implIS3_Lb1ELb0EPxSB_N6thrust23THRUST_200600_302600_NS5minusIxEEEE10hipError_tPvRmT2_T3_mT4_P12ihipStream_tbEUlmE_xEESB_NS0_8identityIvEEEESG_SJ_SK_mSL_SN_bEUlT_E_NS1_11comp_targetILNS1_3genE10ELNS1_11target_archE1200ELNS1_3gpuE4ELNS1_3repE0EEENS1_30default_config_static_selectorELNS0_4arch9wavefront6targetE0EEEvT1_,"axG",@progbits,_ZN7rocprim17ROCPRIM_400000_NS6detail17trampoline_kernelINS0_14default_configENS1_25transform_config_selectorIxLb0EEEZNS1_14transform_implILb0ES3_S5_NS0_18transform_iteratorINS0_17counting_iteratorImlEEZNS1_24adjacent_difference_implIS3_Lb1ELb0EPxSB_N6thrust23THRUST_200600_302600_NS5minusIxEEEE10hipError_tPvRmT2_T3_mT4_P12ihipStream_tbEUlmE_xEESB_NS0_8identityIvEEEESG_SJ_SK_mSL_SN_bEUlT_E_NS1_11comp_targetILNS1_3genE10ELNS1_11target_archE1200ELNS1_3gpuE4ELNS1_3repE0EEENS1_30default_config_static_selectorELNS0_4arch9wavefront6targetE0EEEvT1_,comdat
	.protected	_ZN7rocprim17ROCPRIM_400000_NS6detail17trampoline_kernelINS0_14default_configENS1_25transform_config_selectorIxLb0EEEZNS1_14transform_implILb0ES3_S5_NS0_18transform_iteratorINS0_17counting_iteratorImlEEZNS1_24adjacent_difference_implIS3_Lb1ELb0EPxSB_N6thrust23THRUST_200600_302600_NS5minusIxEEEE10hipError_tPvRmT2_T3_mT4_P12ihipStream_tbEUlmE_xEESB_NS0_8identityIvEEEESG_SJ_SK_mSL_SN_bEUlT_E_NS1_11comp_targetILNS1_3genE10ELNS1_11target_archE1200ELNS1_3gpuE4ELNS1_3repE0EEENS1_30default_config_static_selectorELNS0_4arch9wavefront6targetE0EEEvT1_ ; -- Begin function _ZN7rocprim17ROCPRIM_400000_NS6detail17trampoline_kernelINS0_14default_configENS1_25transform_config_selectorIxLb0EEEZNS1_14transform_implILb0ES3_S5_NS0_18transform_iteratorINS0_17counting_iteratorImlEEZNS1_24adjacent_difference_implIS3_Lb1ELb0EPxSB_N6thrust23THRUST_200600_302600_NS5minusIxEEEE10hipError_tPvRmT2_T3_mT4_P12ihipStream_tbEUlmE_xEESB_NS0_8identityIvEEEESG_SJ_SK_mSL_SN_bEUlT_E_NS1_11comp_targetILNS1_3genE10ELNS1_11target_archE1200ELNS1_3gpuE4ELNS1_3repE0EEENS1_30default_config_static_selectorELNS0_4arch9wavefront6targetE0EEEvT1_
	.globl	_ZN7rocprim17ROCPRIM_400000_NS6detail17trampoline_kernelINS0_14default_configENS1_25transform_config_selectorIxLb0EEEZNS1_14transform_implILb0ES3_S5_NS0_18transform_iteratorINS0_17counting_iteratorImlEEZNS1_24adjacent_difference_implIS3_Lb1ELb0EPxSB_N6thrust23THRUST_200600_302600_NS5minusIxEEEE10hipError_tPvRmT2_T3_mT4_P12ihipStream_tbEUlmE_xEESB_NS0_8identityIvEEEESG_SJ_SK_mSL_SN_bEUlT_E_NS1_11comp_targetILNS1_3genE10ELNS1_11target_archE1200ELNS1_3gpuE4ELNS1_3repE0EEENS1_30default_config_static_selectorELNS0_4arch9wavefront6targetE0EEEvT1_
	.p2align	8
	.type	_ZN7rocprim17ROCPRIM_400000_NS6detail17trampoline_kernelINS0_14default_configENS1_25transform_config_selectorIxLb0EEEZNS1_14transform_implILb0ES3_S5_NS0_18transform_iteratorINS0_17counting_iteratorImlEEZNS1_24adjacent_difference_implIS3_Lb1ELb0EPxSB_N6thrust23THRUST_200600_302600_NS5minusIxEEEE10hipError_tPvRmT2_T3_mT4_P12ihipStream_tbEUlmE_xEESB_NS0_8identityIvEEEESG_SJ_SK_mSL_SN_bEUlT_E_NS1_11comp_targetILNS1_3genE10ELNS1_11target_archE1200ELNS1_3gpuE4ELNS1_3repE0EEENS1_30default_config_static_selectorELNS0_4arch9wavefront6targetE0EEEvT1_,@function
_ZN7rocprim17ROCPRIM_400000_NS6detail17trampoline_kernelINS0_14default_configENS1_25transform_config_selectorIxLb0EEEZNS1_14transform_implILb0ES3_S5_NS0_18transform_iteratorINS0_17counting_iteratorImlEEZNS1_24adjacent_difference_implIS3_Lb1ELb0EPxSB_N6thrust23THRUST_200600_302600_NS5minusIxEEEE10hipError_tPvRmT2_T3_mT4_P12ihipStream_tbEUlmE_xEESB_NS0_8identityIvEEEESG_SJ_SK_mSL_SN_bEUlT_E_NS1_11comp_targetILNS1_3genE10ELNS1_11target_archE1200ELNS1_3gpuE4ELNS1_3repE0EEENS1_30default_config_static_selectorELNS0_4arch9wavefront6targetE0EEEvT1_: ; @_ZN7rocprim17ROCPRIM_400000_NS6detail17trampoline_kernelINS0_14default_configENS1_25transform_config_selectorIxLb0EEEZNS1_14transform_implILb0ES3_S5_NS0_18transform_iteratorINS0_17counting_iteratorImlEEZNS1_24adjacent_difference_implIS3_Lb1ELb0EPxSB_N6thrust23THRUST_200600_302600_NS5minusIxEEEE10hipError_tPvRmT2_T3_mT4_P12ihipStream_tbEUlmE_xEESB_NS0_8identityIvEEEESG_SJ_SK_mSL_SN_bEUlT_E_NS1_11comp_targetILNS1_3genE10ELNS1_11target_archE1200ELNS1_3gpuE4ELNS1_3repE0EEENS1_30default_config_static_selectorELNS0_4arch9wavefront6targetE0EEEvT1_
; %bb.0:
	.section	.rodata,"a",@progbits
	.p2align	6, 0x0
	.amdhsa_kernel _ZN7rocprim17ROCPRIM_400000_NS6detail17trampoline_kernelINS0_14default_configENS1_25transform_config_selectorIxLb0EEEZNS1_14transform_implILb0ES3_S5_NS0_18transform_iteratorINS0_17counting_iteratorImlEEZNS1_24adjacent_difference_implIS3_Lb1ELb0EPxSB_N6thrust23THRUST_200600_302600_NS5minusIxEEEE10hipError_tPvRmT2_T3_mT4_P12ihipStream_tbEUlmE_xEESB_NS0_8identityIvEEEESG_SJ_SK_mSL_SN_bEUlT_E_NS1_11comp_targetILNS1_3genE10ELNS1_11target_archE1200ELNS1_3gpuE4ELNS1_3repE0EEENS1_30default_config_static_selectorELNS0_4arch9wavefront6targetE0EEEvT1_
		.amdhsa_group_segment_fixed_size 0
		.amdhsa_private_segment_fixed_size 0
		.amdhsa_kernarg_size 56
		.amdhsa_user_sgpr_count 15
		.amdhsa_user_sgpr_dispatch_ptr 0
		.amdhsa_user_sgpr_queue_ptr 0
		.amdhsa_user_sgpr_kernarg_segment_ptr 1
		.amdhsa_user_sgpr_dispatch_id 0
		.amdhsa_user_sgpr_private_segment_size 0
		.amdhsa_wavefront_size32 1
		.amdhsa_uses_dynamic_stack 0
		.amdhsa_enable_private_segment 0
		.amdhsa_system_sgpr_workgroup_id_x 1
		.amdhsa_system_sgpr_workgroup_id_y 0
		.amdhsa_system_sgpr_workgroup_id_z 0
		.amdhsa_system_sgpr_workgroup_info 0
		.amdhsa_system_vgpr_workitem_id 0
		.amdhsa_next_free_vgpr 1
		.amdhsa_next_free_sgpr 1
		.amdhsa_reserve_vcc 0
		.amdhsa_float_round_mode_32 0
		.amdhsa_float_round_mode_16_64 0
		.amdhsa_float_denorm_mode_32 3
		.amdhsa_float_denorm_mode_16_64 3
		.amdhsa_dx10_clamp 1
		.amdhsa_ieee_mode 1
		.amdhsa_fp16_overflow 0
		.amdhsa_workgroup_processor_mode 1
		.amdhsa_memory_ordered 1
		.amdhsa_forward_progress 0
		.amdhsa_shared_vgpr_count 0
		.amdhsa_exception_fp_ieee_invalid_op 0
		.amdhsa_exception_fp_denorm_src 0
		.amdhsa_exception_fp_ieee_div_zero 0
		.amdhsa_exception_fp_ieee_overflow 0
		.amdhsa_exception_fp_ieee_underflow 0
		.amdhsa_exception_fp_ieee_inexact 0
		.amdhsa_exception_int_div_zero 0
	.end_amdhsa_kernel
	.section	.text._ZN7rocprim17ROCPRIM_400000_NS6detail17trampoline_kernelINS0_14default_configENS1_25transform_config_selectorIxLb0EEEZNS1_14transform_implILb0ES3_S5_NS0_18transform_iteratorINS0_17counting_iteratorImlEEZNS1_24adjacent_difference_implIS3_Lb1ELb0EPxSB_N6thrust23THRUST_200600_302600_NS5minusIxEEEE10hipError_tPvRmT2_T3_mT4_P12ihipStream_tbEUlmE_xEESB_NS0_8identityIvEEEESG_SJ_SK_mSL_SN_bEUlT_E_NS1_11comp_targetILNS1_3genE10ELNS1_11target_archE1200ELNS1_3gpuE4ELNS1_3repE0EEENS1_30default_config_static_selectorELNS0_4arch9wavefront6targetE0EEEvT1_,"axG",@progbits,_ZN7rocprim17ROCPRIM_400000_NS6detail17trampoline_kernelINS0_14default_configENS1_25transform_config_selectorIxLb0EEEZNS1_14transform_implILb0ES3_S5_NS0_18transform_iteratorINS0_17counting_iteratorImlEEZNS1_24adjacent_difference_implIS3_Lb1ELb0EPxSB_N6thrust23THRUST_200600_302600_NS5minusIxEEEE10hipError_tPvRmT2_T3_mT4_P12ihipStream_tbEUlmE_xEESB_NS0_8identityIvEEEESG_SJ_SK_mSL_SN_bEUlT_E_NS1_11comp_targetILNS1_3genE10ELNS1_11target_archE1200ELNS1_3gpuE4ELNS1_3repE0EEENS1_30default_config_static_selectorELNS0_4arch9wavefront6targetE0EEEvT1_,comdat
.Lfunc_end271:
	.size	_ZN7rocprim17ROCPRIM_400000_NS6detail17trampoline_kernelINS0_14default_configENS1_25transform_config_selectorIxLb0EEEZNS1_14transform_implILb0ES3_S5_NS0_18transform_iteratorINS0_17counting_iteratorImlEEZNS1_24adjacent_difference_implIS3_Lb1ELb0EPxSB_N6thrust23THRUST_200600_302600_NS5minusIxEEEE10hipError_tPvRmT2_T3_mT4_P12ihipStream_tbEUlmE_xEESB_NS0_8identityIvEEEESG_SJ_SK_mSL_SN_bEUlT_E_NS1_11comp_targetILNS1_3genE10ELNS1_11target_archE1200ELNS1_3gpuE4ELNS1_3repE0EEENS1_30default_config_static_selectorELNS0_4arch9wavefront6targetE0EEEvT1_, .Lfunc_end271-_ZN7rocprim17ROCPRIM_400000_NS6detail17trampoline_kernelINS0_14default_configENS1_25transform_config_selectorIxLb0EEEZNS1_14transform_implILb0ES3_S5_NS0_18transform_iteratorINS0_17counting_iteratorImlEEZNS1_24adjacent_difference_implIS3_Lb1ELb0EPxSB_N6thrust23THRUST_200600_302600_NS5minusIxEEEE10hipError_tPvRmT2_T3_mT4_P12ihipStream_tbEUlmE_xEESB_NS0_8identityIvEEEESG_SJ_SK_mSL_SN_bEUlT_E_NS1_11comp_targetILNS1_3genE10ELNS1_11target_archE1200ELNS1_3gpuE4ELNS1_3repE0EEENS1_30default_config_static_selectorELNS0_4arch9wavefront6targetE0EEEvT1_
                                        ; -- End function
	.section	.AMDGPU.csdata,"",@progbits
; Kernel info:
; codeLenInByte = 0
; NumSgprs: 0
; NumVgprs: 0
; ScratchSize: 0
; MemoryBound: 0
; FloatMode: 240
; IeeeMode: 1
; LDSByteSize: 0 bytes/workgroup (compile time only)
; SGPRBlocks: 0
; VGPRBlocks: 0
; NumSGPRsForWavesPerEU: 1
; NumVGPRsForWavesPerEU: 1
; Occupancy: 16
; WaveLimiterHint : 0
; COMPUTE_PGM_RSRC2:SCRATCH_EN: 0
; COMPUTE_PGM_RSRC2:USER_SGPR: 15
; COMPUTE_PGM_RSRC2:TRAP_HANDLER: 0
; COMPUTE_PGM_RSRC2:TGID_X_EN: 1
; COMPUTE_PGM_RSRC2:TGID_Y_EN: 0
; COMPUTE_PGM_RSRC2:TGID_Z_EN: 0
; COMPUTE_PGM_RSRC2:TIDIG_COMP_CNT: 0
	.section	.text._ZN7rocprim17ROCPRIM_400000_NS6detail17trampoline_kernelINS0_14default_configENS1_25transform_config_selectorIxLb0EEEZNS1_14transform_implILb0ES3_S5_NS0_18transform_iteratorINS0_17counting_iteratorImlEEZNS1_24adjacent_difference_implIS3_Lb1ELb0EPxSB_N6thrust23THRUST_200600_302600_NS5minusIxEEEE10hipError_tPvRmT2_T3_mT4_P12ihipStream_tbEUlmE_xEESB_NS0_8identityIvEEEESG_SJ_SK_mSL_SN_bEUlT_E_NS1_11comp_targetILNS1_3genE9ELNS1_11target_archE1100ELNS1_3gpuE3ELNS1_3repE0EEENS1_30default_config_static_selectorELNS0_4arch9wavefront6targetE0EEEvT1_,"axG",@progbits,_ZN7rocprim17ROCPRIM_400000_NS6detail17trampoline_kernelINS0_14default_configENS1_25transform_config_selectorIxLb0EEEZNS1_14transform_implILb0ES3_S5_NS0_18transform_iteratorINS0_17counting_iteratorImlEEZNS1_24adjacent_difference_implIS3_Lb1ELb0EPxSB_N6thrust23THRUST_200600_302600_NS5minusIxEEEE10hipError_tPvRmT2_T3_mT4_P12ihipStream_tbEUlmE_xEESB_NS0_8identityIvEEEESG_SJ_SK_mSL_SN_bEUlT_E_NS1_11comp_targetILNS1_3genE9ELNS1_11target_archE1100ELNS1_3gpuE3ELNS1_3repE0EEENS1_30default_config_static_selectorELNS0_4arch9wavefront6targetE0EEEvT1_,comdat
	.protected	_ZN7rocprim17ROCPRIM_400000_NS6detail17trampoline_kernelINS0_14default_configENS1_25transform_config_selectorIxLb0EEEZNS1_14transform_implILb0ES3_S5_NS0_18transform_iteratorINS0_17counting_iteratorImlEEZNS1_24adjacent_difference_implIS3_Lb1ELb0EPxSB_N6thrust23THRUST_200600_302600_NS5minusIxEEEE10hipError_tPvRmT2_T3_mT4_P12ihipStream_tbEUlmE_xEESB_NS0_8identityIvEEEESG_SJ_SK_mSL_SN_bEUlT_E_NS1_11comp_targetILNS1_3genE9ELNS1_11target_archE1100ELNS1_3gpuE3ELNS1_3repE0EEENS1_30default_config_static_selectorELNS0_4arch9wavefront6targetE0EEEvT1_ ; -- Begin function _ZN7rocprim17ROCPRIM_400000_NS6detail17trampoline_kernelINS0_14default_configENS1_25transform_config_selectorIxLb0EEEZNS1_14transform_implILb0ES3_S5_NS0_18transform_iteratorINS0_17counting_iteratorImlEEZNS1_24adjacent_difference_implIS3_Lb1ELb0EPxSB_N6thrust23THRUST_200600_302600_NS5minusIxEEEE10hipError_tPvRmT2_T3_mT4_P12ihipStream_tbEUlmE_xEESB_NS0_8identityIvEEEESG_SJ_SK_mSL_SN_bEUlT_E_NS1_11comp_targetILNS1_3genE9ELNS1_11target_archE1100ELNS1_3gpuE3ELNS1_3repE0EEENS1_30default_config_static_selectorELNS0_4arch9wavefront6targetE0EEEvT1_
	.globl	_ZN7rocprim17ROCPRIM_400000_NS6detail17trampoline_kernelINS0_14default_configENS1_25transform_config_selectorIxLb0EEEZNS1_14transform_implILb0ES3_S5_NS0_18transform_iteratorINS0_17counting_iteratorImlEEZNS1_24adjacent_difference_implIS3_Lb1ELb0EPxSB_N6thrust23THRUST_200600_302600_NS5minusIxEEEE10hipError_tPvRmT2_T3_mT4_P12ihipStream_tbEUlmE_xEESB_NS0_8identityIvEEEESG_SJ_SK_mSL_SN_bEUlT_E_NS1_11comp_targetILNS1_3genE9ELNS1_11target_archE1100ELNS1_3gpuE3ELNS1_3repE0EEENS1_30default_config_static_selectorELNS0_4arch9wavefront6targetE0EEEvT1_
	.p2align	8
	.type	_ZN7rocprim17ROCPRIM_400000_NS6detail17trampoline_kernelINS0_14default_configENS1_25transform_config_selectorIxLb0EEEZNS1_14transform_implILb0ES3_S5_NS0_18transform_iteratorINS0_17counting_iteratorImlEEZNS1_24adjacent_difference_implIS3_Lb1ELb0EPxSB_N6thrust23THRUST_200600_302600_NS5minusIxEEEE10hipError_tPvRmT2_T3_mT4_P12ihipStream_tbEUlmE_xEESB_NS0_8identityIvEEEESG_SJ_SK_mSL_SN_bEUlT_E_NS1_11comp_targetILNS1_3genE9ELNS1_11target_archE1100ELNS1_3gpuE3ELNS1_3repE0EEENS1_30default_config_static_selectorELNS0_4arch9wavefront6targetE0EEEvT1_,@function
_ZN7rocprim17ROCPRIM_400000_NS6detail17trampoline_kernelINS0_14default_configENS1_25transform_config_selectorIxLb0EEEZNS1_14transform_implILb0ES3_S5_NS0_18transform_iteratorINS0_17counting_iteratorImlEEZNS1_24adjacent_difference_implIS3_Lb1ELb0EPxSB_N6thrust23THRUST_200600_302600_NS5minusIxEEEE10hipError_tPvRmT2_T3_mT4_P12ihipStream_tbEUlmE_xEESB_NS0_8identityIvEEEESG_SJ_SK_mSL_SN_bEUlT_E_NS1_11comp_targetILNS1_3genE9ELNS1_11target_archE1100ELNS1_3gpuE3ELNS1_3repE0EEENS1_30default_config_static_selectorELNS0_4arch9wavefront6targetE0EEEvT1_: ; @_ZN7rocprim17ROCPRIM_400000_NS6detail17trampoline_kernelINS0_14default_configENS1_25transform_config_selectorIxLb0EEEZNS1_14transform_implILb0ES3_S5_NS0_18transform_iteratorINS0_17counting_iteratorImlEEZNS1_24adjacent_difference_implIS3_Lb1ELb0EPxSB_N6thrust23THRUST_200600_302600_NS5minusIxEEEE10hipError_tPvRmT2_T3_mT4_P12ihipStream_tbEUlmE_xEESB_NS0_8identityIvEEEESG_SJ_SK_mSL_SN_bEUlT_E_NS1_11comp_targetILNS1_3genE9ELNS1_11target_archE1100ELNS1_3gpuE3ELNS1_3repE0EEENS1_30default_config_static_selectorELNS0_4arch9wavefront6targetE0EEEvT1_
; %bb.0:
	s_clause 0x4
	s_load_b128 s[4:7], s[0:1], 0x0
	s_load_b64 s[2:3], s[0:1], 0x18
	s_load_b64 s[12:13], s[0:1], 0x28
	s_load_b32 s11, s[0:1], 0x38
	s_load_b32 s8, s[0:1], 0x10
	s_waitcnt lgkmcnt(0)
	s_add_u32 s9, s2, s4
	s_addc_u32 s10, s3, s5
	s_lshl_b64 s[2:3], s[2:3], 3
	s_delay_alu instid0(SALU_CYCLE_1)
	s_add_u32 s4, s12, s2
	s_addc_u32 s5, s13, s3
	s_add_i32 s11, s11, -1
	s_lshl_b32 s2, s15, 9
	s_mov_b32 s3, 0
	s_cmp_lg_u32 s15, s11
	s_mov_b32 s11, -1
	s_cbranch_scc0 .LBB272_2
; %bb.1:
	s_add_u32 s11, s9, s2
	s_addc_u32 s12, s10, 0
	v_add_co_u32 v3, s11, s11, v0
	s_delay_alu instid0(VALU_DEP_1) | instskip(SKIP_1) | instid1(VALU_DEP_2)
	v_add_co_ci_u32_e64 v5, null, s12, 0, s11
	s_lshl_b64 s[12:13], s[2:3], 3
	v_mad_u64_u32 v[1:2], null, v3, s8, 0
	s_add_u32 s12, s4, s12
	s_addc_u32 s13, s5, s13
	s_mov_b32 s11, s3
	s_delay_alu instid0(VALU_DEP_1) | instskip(NEXT) | instid1(VALU_DEP_1)
	v_mad_u64_u32 v[3:4], null, v5, s8, v[2:3]
	v_dual_mov_b32 v2, v3 :: v_dual_lshlrev_b32 v3, 3, v0
	s_delay_alu instid0(VALU_DEP_1) | instskip(NEXT) | instid1(VALU_DEP_1)
	v_lshlrev_b64 v[1:2], 3, v[1:2]
	v_add_co_u32 v1, vcc_lo, s6, v1
	s_delay_alu instid0(VALU_DEP_2)
	v_add_co_ci_u32_e32 v2, vcc_lo, s7, v2, vcc_lo
	global_load_b64 v[1:2], v[1:2], off
	s_waitcnt vmcnt(0)
	global_store_b64 v3, v[1:2], s[12:13]
.LBB272_2:
	s_and_not1_b32 vcc_lo, exec_lo, s11
	s_cbranch_vccnz .LBB272_7
; %bb.3:
	s_load_b32 s0, s[0:1], 0x20
                                        ; implicit-def: $vgpr1_vgpr2
	s_waitcnt lgkmcnt(0)
	s_sub_i32 s0, s0, s2
	s_delay_alu instid0(SALU_CYCLE_1)
	v_cmp_gt_u32_e32 vcc_lo, s0, v0
	s_and_saveexec_b32 s1, vcc_lo
	s_cbranch_execz .LBB272_5
; %bb.4:
	s_add_u32 s0, s9, s2
	s_addc_u32 s9, s10, 0
	v_add_co_u32 v3, s0, s0, v0
	s_delay_alu instid0(VALU_DEP_1) | instskip(NEXT) | instid1(VALU_DEP_2)
	v_add_co_ci_u32_e64 v5, null, s9, 0, s0
	v_mad_u64_u32 v[1:2], null, v3, s8, 0
	s_delay_alu instid0(VALU_DEP_1) | instskip(NEXT) | instid1(VALU_DEP_1)
	v_mad_u64_u32 v[3:4], null, v5, s8, v[2:3]
	v_mov_b32_e32 v2, v3
	s_delay_alu instid0(VALU_DEP_1) | instskip(NEXT) | instid1(VALU_DEP_1)
	v_lshlrev_b64 v[1:2], 3, v[1:2]
	v_add_co_u32 v1, s0, s6, v1
	s_delay_alu instid0(VALU_DEP_1)
	v_add_co_ci_u32_e64 v2, s0, s7, v2, s0
	global_load_b64 v[1:2], v[1:2], off
.LBB272_5:
	s_or_b32 exec_lo, exec_lo, s1
	s_and_saveexec_b32 s0, vcc_lo
	s_cbranch_execz .LBB272_7
; %bb.6:
	s_lshl_b64 s[0:1], s[2:3], 3
	v_lshlrev_b32_e32 v0, 3, v0
	s_add_u32 s0, s4, s0
	s_addc_u32 s1, s5, s1
	s_waitcnt vmcnt(0)
	global_store_b64 v0, v[1:2], s[0:1]
.LBB272_7:
	s_nop 0
	s_sendmsg sendmsg(MSG_DEALLOC_VGPRS)
	s_endpgm
	.section	.rodata,"a",@progbits
	.p2align	6, 0x0
	.amdhsa_kernel _ZN7rocprim17ROCPRIM_400000_NS6detail17trampoline_kernelINS0_14default_configENS1_25transform_config_selectorIxLb0EEEZNS1_14transform_implILb0ES3_S5_NS0_18transform_iteratorINS0_17counting_iteratorImlEEZNS1_24adjacent_difference_implIS3_Lb1ELb0EPxSB_N6thrust23THRUST_200600_302600_NS5minusIxEEEE10hipError_tPvRmT2_T3_mT4_P12ihipStream_tbEUlmE_xEESB_NS0_8identityIvEEEESG_SJ_SK_mSL_SN_bEUlT_E_NS1_11comp_targetILNS1_3genE9ELNS1_11target_archE1100ELNS1_3gpuE3ELNS1_3repE0EEENS1_30default_config_static_selectorELNS0_4arch9wavefront6targetE0EEEvT1_
		.amdhsa_group_segment_fixed_size 0
		.amdhsa_private_segment_fixed_size 0
		.amdhsa_kernarg_size 312
		.amdhsa_user_sgpr_count 15
		.amdhsa_user_sgpr_dispatch_ptr 0
		.amdhsa_user_sgpr_queue_ptr 0
		.amdhsa_user_sgpr_kernarg_segment_ptr 1
		.amdhsa_user_sgpr_dispatch_id 0
		.amdhsa_user_sgpr_private_segment_size 0
		.amdhsa_wavefront_size32 1
		.amdhsa_uses_dynamic_stack 0
		.amdhsa_enable_private_segment 0
		.amdhsa_system_sgpr_workgroup_id_x 1
		.amdhsa_system_sgpr_workgroup_id_y 0
		.amdhsa_system_sgpr_workgroup_id_z 0
		.amdhsa_system_sgpr_workgroup_info 0
		.amdhsa_system_vgpr_workitem_id 0
		.amdhsa_next_free_vgpr 6
		.amdhsa_next_free_sgpr 16
		.amdhsa_reserve_vcc 1
		.amdhsa_float_round_mode_32 0
		.amdhsa_float_round_mode_16_64 0
		.amdhsa_float_denorm_mode_32 3
		.amdhsa_float_denorm_mode_16_64 3
		.amdhsa_dx10_clamp 1
		.amdhsa_ieee_mode 1
		.amdhsa_fp16_overflow 0
		.amdhsa_workgroup_processor_mode 1
		.amdhsa_memory_ordered 1
		.amdhsa_forward_progress 0
		.amdhsa_shared_vgpr_count 0
		.amdhsa_exception_fp_ieee_invalid_op 0
		.amdhsa_exception_fp_denorm_src 0
		.amdhsa_exception_fp_ieee_div_zero 0
		.amdhsa_exception_fp_ieee_overflow 0
		.amdhsa_exception_fp_ieee_underflow 0
		.amdhsa_exception_fp_ieee_inexact 0
		.amdhsa_exception_int_div_zero 0
	.end_amdhsa_kernel
	.section	.text._ZN7rocprim17ROCPRIM_400000_NS6detail17trampoline_kernelINS0_14default_configENS1_25transform_config_selectorIxLb0EEEZNS1_14transform_implILb0ES3_S5_NS0_18transform_iteratorINS0_17counting_iteratorImlEEZNS1_24adjacent_difference_implIS3_Lb1ELb0EPxSB_N6thrust23THRUST_200600_302600_NS5minusIxEEEE10hipError_tPvRmT2_T3_mT4_P12ihipStream_tbEUlmE_xEESB_NS0_8identityIvEEEESG_SJ_SK_mSL_SN_bEUlT_E_NS1_11comp_targetILNS1_3genE9ELNS1_11target_archE1100ELNS1_3gpuE3ELNS1_3repE0EEENS1_30default_config_static_selectorELNS0_4arch9wavefront6targetE0EEEvT1_,"axG",@progbits,_ZN7rocprim17ROCPRIM_400000_NS6detail17trampoline_kernelINS0_14default_configENS1_25transform_config_selectorIxLb0EEEZNS1_14transform_implILb0ES3_S5_NS0_18transform_iteratorINS0_17counting_iteratorImlEEZNS1_24adjacent_difference_implIS3_Lb1ELb0EPxSB_N6thrust23THRUST_200600_302600_NS5minusIxEEEE10hipError_tPvRmT2_T3_mT4_P12ihipStream_tbEUlmE_xEESB_NS0_8identityIvEEEESG_SJ_SK_mSL_SN_bEUlT_E_NS1_11comp_targetILNS1_3genE9ELNS1_11target_archE1100ELNS1_3gpuE3ELNS1_3repE0EEENS1_30default_config_static_selectorELNS0_4arch9wavefront6targetE0EEEvT1_,comdat
.Lfunc_end272:
	.size	_ZN7rocprim17ROCPRIM_400000_NS6detail17trampoline_kernelINS0_14default_configENS1_25transform_config_selectorIxLb0EEEZNS1_14transform_implILb0ES3_S5_NS0_18transform_iteratorINS0_17counting_iteratorImlEEZNS1_24adjacent_difference_implIS3_Lb1ELb0EPxSB_N6thrust23THRUST_200600_302600_NS5minusIxEEEE10hipError_tPvRmT2_T3_mT4_P12ihipStream_tbEUlmE_xEESB_NS0_8identityIvEEEESG_SJ_SK_mSL_SN_bEUlT_E_NS1_11comp_targetILNS1_3genE9ELNS1_11target_archE1100ELNS1_3gpuE3ELNS1_3repE0EEENS1_30default_config_static_selectorELNS0_4arch9wavefront6targetE0EEEvT1_, .Lfunc_end272-_ZN7rocprim17ROCPRIM_400000_NS6detail17trampoline_kernelINS0_14default_configENS1_25transform_config_selectorIxLb0EEEZNS1_14transform_implILb0ES3_S5_NS0_18transform_iteratorINS0_17counting_iteratorImlEEZNS1_24adjacent_difference_implIS3_Lb1ELb0EPxSB_N6thrust23THRUST_200600_302600_NS5minusIxEEEE10hipError_tPvRmT2_T3_mT4_P12ihipStream_tbEUlmE_xEESB_NS0_8identityIvEEEESG_SJ_SK_mSL_SN_bEUlT_E_NS1_11comp_targetILNS1_3genE9ELNS1_11target_archE1100ELNS1_3gpuE3ELNS1_3repE0EEENS1_30default_config_static_selectorELNS0_4arch9wavefront6targetE0EEEvT1_
                                        ; -- End function
	.section	.AMDGPU.csdata,"",@progbits
; Kernel info:
; codeLenInByte = 400
; NumSgprs: 18
; NumVgprs: 6
; ScratchSize: 0
; MemoryBound: 0
; FloatMode: 240
; IeeeMode: 1
; LDSByteSize: 0 bytes/workgroup (compile time only)
; SGPRBlocks: 2
; VGPRBlocks: 0
; NumSGPRsForWavesPerEU: 18
; NumVGPRsForWavesPerEU: 6
; Occupancy: 16
; WaveLimiterHint : 0
; COMPUTE_PGM_RSRC2:SCRATCH_EN: 0
; COMPUTE_PGM_RSRC2:USER_SGPR: 15
; COMPUTE_PGM_RSRC2:TRAP_HANDLER: 0
; COMPUTE_PGM_RSRC2:TGID_X_EN: 1
; COMPUTE_PGM_RSRC2:TGID_Y_EN: 0
; COMPUTE_PGM_RSRC2:TGID_Z_EN: 0
; COMPUTE_PGM_RSRC2:TIDIG_COMP_CNT: 0
	.section	.text._ZN7rocprim17ROCPRIM_400000_NS6detail17trampoline_kernelINS0_14default_configENS1_25transform_config_selectorIxLb0EEEZNS1_14transform_implILb0ES3_S5_NS0_18transform_iteratorINS0_17counting_iteratorImlEEZNS1_24adjacent_difference_implIS3_Lb1ELb0EPxSB_N6thrust23THRUST_200600_302600_NS5minusIxEEEE10hipError_tPvRmT2_T3_mT4_P12ihipStream_tbEUlmE_xEESB_NS0_8identityIvEEEESG_SJ_SK_mSL_SN_bEUlT_E_NS1_11comp_targetILNS1_3genE8ELNS1_11target_archE1030ELNS1_3gpuE2ELNS1_3repE0EEENS1_30default_config_static_selectorELNS0_4arch9wavefront6targetE0EEEvT1_,"axG",@progbits,_ZN7rocprim17ROCPRIM_400000_NS6detail17trampoline_kernelINS0_14default_configENS1_25transform_config_selectorIxLb0EEEZNS1_14transform_implILb0ES3_S5_NS0_18transform_iteratorINS0_17counting_iteratorImlEEZNS1_24adjacent_difference_implIS3_Lb1ELb0EPxSB_N6thrust23THRUST_200600_302600_NS5minusIxEEEE10hipError_tPvRmT2_T3_mT4_P12ihipStream_tbEUlmE_xEESB_NS0_8identityIvEEEESG_SJ_SK_mSL_SN_bEUlT_E_NS1_11comp_targetILNS1_3genE8ELNS1_11target_archE1030ELNS1_3gpuE2ELNS1_3repE0EEENS1_30default_config_static_selectorELNS0_4arch9wavefront6targetE0EEEvT1_,comdat
	.protected	_ZN7rocprim17ROCPRIM_400000_NS6detail17trampoline_kernelINS0_14default_configENS1_25transform_config_selectorIxLb0EEEZNS1_14transform_implILb0ES3_S5_NS0_18transform_iteratorINS0_17counting_iteratorImlEEZNS1_24adjacent_difference_implIS3_Lb1ELb0EPxSB_N6thrust23THRUST_200600_302600_NS5minusIxEEEE10hipError_tPvRmT2_T3_mT4_P12ihipStream_tbEUlmE_xEESB_NS0_8identityIvEEEESG_SJ_SK_mSL_SN_bEUlT_E_NS1_11comp_targetILNS1_3genE8ELNS1_11target_archE1030ELNS1_3gpuE2ELNS1_3repE0EEENS1_30default_config_static_selectorELNS0_4arch9wavefront6targetE0EEEvT1_ ; -- Begin function _ZN7rocprim17ROCPRIM_400000_NS6detail17trampoline_kernelINS0_14default_configENS1_25transform_config_selectorIxLb0EEEZNS1_14transform_implILb0ES3_S5_NS0_18transform_iteratorINS0_17counting_iteratorImlEEZNS1_24adjacent_difference_implIS3_Lb1ELb0EPxSB_N6thrust23THRUST_200600_302600_NS5minusIxEEEE10hipError_tPvRmT2_T3_mT4_P12ihipStream_tbEUlmE_xEESB_NS0_8identityIvEEEESG_SJ_SK_mSL_SN_bEUlT_E_NS1_11comp_targetILNS1_3genE8ELNS1_11target_archE1030ELNS1_3gpuE2ELNS1_3repE0EEENS1_30default_config_static_selectorELNS0_4arch9wavefront6targetE0EEEvT1_
	.globl	_ZN7rocprim17ROCPRIM_400000_NS6detail17trampoline_kernelINS0_14default_configENS1_25transform_config_selectorIxLb0EEEZNS1_14transform_implILb0ES3_S5_NS0_18transform_iteratorINS0_17counting_iteratorImlEEZNS1_24adjacent_difference_implIS3_Lb1ELb0EPxSB_N6thrust23THRUST_200600_302600_NS5minusIxEEEE10hipError_tPvRmT2_T3_mT4_P12ihipStream_tbEUlmE_xEESB_NS0_8identityIvEEEESG_SJ_SK_mSL_SN_bEUlT_E_NS1_11comp_targetILNS1_3genE8ELNS1_11target_archE1030ELNS1_3gpuE2ELNS1_3repE0EEENS1_30default_config_static_selectorELNS0_4arch9wavefront6targetE0EEEvT1_
	.p2align	8
	.type	_ZN7rocprim17ROCPRIM_400000_NS6detail17trampoline_kernelINS0_14default_configENS1_25transform_config_selectorIxLb0EEEZNS1_14transform_implILb0ES3_S5_NS0_18transform_iteratorINS0_17counting_iteratorImlEEZNS1_24adjacent_difference_implIS3_Lb1ELb0EPxSB_N6thrust23THRUST_200600_302600_NS5minusIxEEEE10hipError_tPvRmT2_T3_mT4_P12ihipStream_tbEUlmE_xEESB_NS0_8identityIvEEEESG_SJ_SK_mSL_SN_bEUlT_E_NS1_11comp_targetILNS1_3genE8ELNS1_11target_archE1030ELNS1_3gpuE2ELNS1_3repE0EEENS1_30default_config_static_selectorELNS0_4arch9wavefront6targetE0EEEvT1_,@function
_ZN7rocprim17ROCPRIM_400000_NS6detail17trampoline_kernelINS0_14default_configENS1_25transform_config_selectorIxLb0EEEZNS1_14transform_implILb0ES3_S5_NS0_18transform_iteratorINS0_17counting_iteratorImlEEZNS1_24adjacent_difference_implIS3_Lb1ELb0EPxSB_N6thrust23THRUST_200600_302600_NS5minusIxEEEE10hipError_tPvRmT2_T3_mT4_P12ihipStream_tbEUlmE_xEESB_NS0_8identityIvEEEESG_SJ_SK_mSL_SN_bEUlT_E_NS1_11comp_targetILNS1_3genE8ELNS1_11target_archE1030ELNS1_3gpuE2ELNS1_3repE0EEENS1_30default_config_static_selectorELNS0_4arch9wavefront6targetE0EEEvT1_: ; @_ZN7rocprim17ROCPRIM_400000_NS6detail17trampoline_kernelINS0_14default_configENS1_25transform_config_selectorIxLb0EEEZNS1_14transform_implILb0ES3_S5_NS0_18transform_iteratorINS0_17counting_iteratorImlEEZNS1_24adjacent_difference_implIS3_Lb1ELb0EPxSB_N6thrust23THRUST_200600_302600_NS5minusIxEEEE10hipError_tPvRmT2_T3_mT4_P12ihipStream_tbEUlmE_xEESB_NS0_8identityIvEEEESG_SJ_SK_mSL_SN_bEUlT_E_NS1_11comp_targetILNS1_3genE8ELNS1_11target_archE1030ELNS1_3gpuE2ELNS1_3repE0EEENS1_30default_config_static_selectorELNS0_4arch9wavefront6targetE0EEEvT1_
; %bb.0:
	.section	.rodata,"a",@progbits
	.p2align	6, 0x0
	.amdhsa_kernel _ZN7rocprim17ROCPRIM_400000_NS6detail17trampoline_kernelINS0_14default_configENS1_25transform_config_selectorIxLb0EEEZNS1_14transform_implILb0ES3_S5_NS0_18transform_iteratorINS0_17counting_iteratorImlEEZNS1_24adjacent_difference_implIS3_Lb1ELb0EPxSB_N6thrust23THRUST_200600_302600_NS5minusIxEEEE10hipError_tPvRmT2_T3_mT4_P12ihipStream_tbEUlmE_xEESB_NS0_8identityIvEEEESG_SJ_SK_mSL_SN_bEUlT_E_NS1_11comp_targetILNS1_3genE8ELNS1_11target_archE1030ELNS1_3gpuE2ELNS1_3repE0EEENS1_30default_config_static_selectorELNS0_4arch9wavefront6targetE0EEEvT1_
		.amdhsa_group_segment_fixed_size 0
		.amdhsa_private_segment_fixed_size 0
		.amdhsa_kernarg_size 56
		.amdhsa_user_sgpr_count 15
		.amdhsa_user_sgpr_dispatch_ptr 0
		.amdhsa_user_sgpr_queue_ptr 0
		.amdhsa_user_sgpr_kernarg_segment_ptr 1
		.amdhsa_user_sgpr_dispatch_id 0
		.amdhsa_user_sgpr_private_segment_size 0
		.amdhsa_wavefront_size32 1
		.amdhsa_uses_dynamic_stack 0
		.amdhsa_enable_private_segment 0
		.amdhsa_system_sgpr_workgroup_id_x 1
		.amdhsa_system_sgpr_workgroup_id_y 0
		.amdhsa_system_sgpr_workgroup_id_z 0
		.amdhsa_system_sgpr_workgroup_info 0
		.amdhsa_system_vgpr_workitem_id 0
		.amdhsa_next_free_vgpr 1
		.amdhsa_next_free_sgpr 1
		.amdhsa_reserve_vcc 0
		.amdhsa_float_round_mode_32 0
		.amdhsa_float_round_mode_16_64 0
		.amdhsa_float_denorm_mode_32 3
		.amdhsa_float_denorm_mode_16_64 3
		.amdhsa_dx10_clamp 1
		.amdhsa_ieee_mode 1
		.amdhsa_fp16_overflow 0
		.amdhsa_workgroup_processor_mode 1
		.amdhsa_memory_ordered 1
		.amdhsa_forward_progress 0
		.amdhsa_shared_vgpr_count 0
		.amdhsa_exception_fp_ieee_invalid_op 0
		.amdhsa_exception_fp_denorm_src 0
		.amdhsa_exception_fp_ieee_div_zero 0
		.amdhsa_exception_fp_ieee_overflow 0
		.amdhsa_exception_fp_ieee_underflow 0
		.amdhsa_exception_fp_ieee_inexact 0
		.amdhsa_exception_int_div_zero 0
	.end_amdhsa_kernel
	.section	.text._ZN7rocprim17ROCPRIM_400000_NS6detail17trampoline_kernelINS0_14default_configENS1_25transform_config_selectorIxLb0EEEZNS1_14transform_implILb0ES3_S5_NS0_18transform_iteratorINS0_17counting_iteratorImlEEZNS1_24adjacent_difference_implIS3_Lb1ELb0EPxSB_N6thrust23THRUST_200600_302600_NS5minusIxEEEE10hipError_tPvRmT2_T3_mT4_P12ihipStream_tbEUlmE_xEESB_NS0_8identityIvEEEESG_SJ_SK_mSL_SN_bEUlT_E_NS1_11comp_targetILNS1_3genE8ELNS1_11target_archE1030ELNS1_3gpuE2ELNS1_3repE0EEENS1_30default_config_static_selectorELNS0_4arch9wavefront6targetE0EEEvT1_,"axG",@progbits,_ZN7rocprim17ROCPRIM_400000_NS6detail17trampoline_kernelINS0_14default_configENS1_25transform_config_selectorIxLb0EEEZNS1_14transform_implILb0ES3_S5_NS0_18transform_iteratorINS0_17counting_iteratorImlEEZNS1_24adjacent_difference_implIS3_Lb1ELb0EPxSB_N6thrust23THRUST_200600_302600_NS5minusIxEEEE10hipError_tPvRmT2_T3_mT4_P12ihipStream_tbEUlmE_xEESB_NS0_8identityIvEEEESG_SJ_SK_mSL_SN_bEUlT_E_NS1_11comp_targetILNS1_3genE8ELNS1_11target_archE1030ELNS1_3gpuE2ELNS1_3repE0EEENS1_30default_config_static_selectorELNS0_4arch9wavefront6targetE0EEEvT1_,comdat
.Lfunc_end273:
	.size	_ZN7rocprim17ROCPRIM_400000_NS6detail17trampoline_kernelINS0_14default_configENS1_25transform_config_selectorIxLb0EEEZNS1_14transform_implILb0ES3_S5_NS0_18transform_iteratorINS0_17counting_iteratorImlEEZNS1_24adjacent_difference_implIS3_Lb1ELb0EPxSB_N6thrust23THRUST_200600_302600_NS5minusIxEEEE10hipError_tPvRmT2_T3_mT4_P12ihipStream_tbEUlmE_xEESB_NS0_8identityIvEEEESG_SJ_SK_mSL_SN_bEUlT_E_NS1_11comp_targetILNS1_3genE8ELNS1_11target_archE1030ELNS1_3gpuE2ELNS1_3repE0EEENS1_30default_config_static_selectorELNS0_4arch9wavefront6targetE0EEEvT1_, .Lfunc_end273-_ZN7rocprim17ROCPRIM_400000_NS6detail17trampoline_kernelINS0_14default_configENS1_25transform_config_selectorIxLb0EEEZNS1_14transform_implILb0ES3_S5_NS0_18transform_iteratorINS0_17counting_iteratorImlEEZNS1_24adjacent_difference_implIS3_Lb1ELb0EPxSB_N6thrust23THRUST_200600_302600_NS5minusIxEEEE10hipError_tPvRmT2_T3_mT4_P12ihipStream_tbEUlmE_xEESB_NS0_8identityIvEEEESG_SJ_SK_mSL_SN_bEUlT_E_NS1_11comp_targetILNS1_3genE8ELNS1_11target_archE1030ELNS1_3gpuE2ELNS1_3repE0EEENS1_30default_config_static_selectorELNS0_4arch9wavefront6targetE0EEEvT1_
                                        ; -- End function
	.section	.AMDGPU.csdata,"",@progbits
; Kernel info:
; codeLenInByte = 0
; NumSgprs: 0
; NumVgprs: 0
; ScratchSize: 0
; MemoryBound: 0
; FloatMode: 240
; IeeeMode: 1
; LDSByteSize: 0 bytes/workgroup (compile time only)
; SGPRBlocks: 0
; VGPRBlocks: 0
; NumSGPRsForWavesPerEU: 1
; NumVGPRsForWavesPerEU: 1
; Occupancy: 16
; WaveLimiterHint : 0
; COMPUTE_PGM_RSRC2:SCRATCH_EN: 0
; COMPUTE_PGM_RSRC2:USER_SGPR: 15
; COMPUTE_PGM_RSRC2:TRAP_HANDLER: 0
; COMPUTE_PGM_RSRC2:TGID_X_EN: 1
; COMPUTE_PGM_RSRC2:TGID_Y_EN: 0
; COMPUTE_PGM_RSRC2:TGID_Z_EN: 0
; COMPUTE_PGM_RSRC2:TIDIG_COMP_CNT: 0
	.section	.text._ZN7rocprim17ROCPRIM_400000_NS6detail17trampoline_kernelINS0_14default_configENS1_35adjacent_difference_config_selectorILb1ExEEZNS1_24adjacent_difference_implIS3_Lb1ELb0EPxS7_N6thrust23THRUST_200600_302600_NS5minusIxEEEE10hipError_tPvRmT2_T3_mT4_P12ihipStream_tbEUlT_E_NS1_11comp_targetILNS1_3genE0ELNS1_11target_archE4294967295ELNS1_3gpuE0ELNS1_3repE0EEENS1_30default_config_static_selectorELNS0_4arch9wavefront6targetE0EEEvT1_,"axG",@progbits,_ZN7rocprim17ROCPRIM_400000_NS6detail17trampoline_kernelINS0_14default_configENS1_35adjacent_difference_config_selectorILb1ExEEZNS1_24adjacent_difference_implIS3_Lb1ELb0EPxS7_N6thrust23THRUST_200600_302600_NS5minusIxEEEE10hipError_tPvRmT2_T3_mT4_P12ihipStream_tbEUlT_E_NS1_11comp_targetILNS1_3genE0ELNS1_11target_archE4294967295ELNS1_3gpuE0ELNS1_3repE0EEENS1_30default_config_static_selectorELNS0_4arch9wavefront6targetE0EEEvT1_,comdat
	.protected	_ZN7rocprim17ROCPRIM_400000_NS6detail17trampoline_kernelINS0_14default_configENS1_35adjacent_difference_config_selectorILb1ExEEZNS1_24adjacent_difference_implIS3_Lb1ELb0EPxS7_N6thrust23THRUST_200600_302600_NS5minusIxEEEE10hipError_tPvRmT2_T3_mT4_P12ihipStream_tbEUlT_E_NS1_11comp_targetILNS1_3genE0ELNS1_11target_archE4294967295ELNS1_3gpuE0ELNS1_3repE0EEENS1_30default_config_static_selectorELNS0_4arch9wavefront6targetE0EEEvT1_ ; -- Begin function _ZN7rocprim17ROCPRIM_400000_NS6detail17trampoline_kernelINS0_14default_configENS1_35adjacent_difference_config_selectorILb1ExEEZNS1_24adjacent_difference_implIS3_Lb1ELb0EPxS7_N6thrust23THRUST_200600_302600_NS5minusIxEEEE10hipError_tPvRmT2_T3_mT4_P12ihipStream_tbEUlT_E_NS1_11comp_targetILNS1_3genE0ELNS1_11target_archE4294967295ELNS1_3gpuE0ELNS1_3repE0EEENS1_30default_config_static_selectorELNS0_4arch9wavefront6targetE0EEEvT1_
	.globl	_ZN7rocprim17ROCPRIM_400000_NS6detail17trampoline_kernelINS0_14default_configENS1_35adjacent_difference_config_selectorILb1ExEEZNS1_24adjacent_difference_implIS3_Lb1ELb0EPxS7_N6thrust23THRUST_200600_302600_NS5minusIxEEEE10hipError_tPvRmT2_T3_mT4_P12ihipStream_tbEUlT_E_NS1_11comp_targetILNS1_3genE0ELNS1_11target_archE4294967295ELNS1_3gpuE0ELNS1_3repE0EEENS1_30default_config_static_selectorELNS0_4arch9wavefront6targetE0EEEvT1_
	.p2align	8
	.type	_ZN7rocprim17ROCPRIM_400000_NS6detail17trampoline_kernelINS0_14default_configENS1_35adjacent_difference_config_selectorILb1ExEEZNS1_24adjacent_difference_implIS3_Lb1ELb0EPxS7_N6thrust23THRUST_200600_302600_NS5minusIxEEEE10hipError_tPvRmT2_T3_mT4_P12ihipStream_tbEUlT_E_NS1_11comp_targetILNS1_3genE0ELNS1_11target_archE4294967295ELNS1_3gpuE0ELNS1_3repE0EEENS1_30default_config_static_selectorELNS0_4arch9wavefront6targetE0EEEvT1_,@function
_ZN7rocprim17ROCPRIM_400000_NS6detail17trampoline_kernelINS0_14default_configENS1_35adjacent_difference_config_selectorILb1ExEEZNS1_24adjacent_difference_implIS3_Lb1ELb0EPxS7_N6thrust23THRUST_200600_302600_NS5minusIxEEEE10hipError_tPvRmT2_T3_mT4_P12ihipStream_tbEUlT_E_NS1_11comp_targetILNS1_3genE0ELNS1_11target_archE4294967295ELNS1_3gpuE0ELNS1_3repE0EEENS1_30default_config_static_selectorELNS0_4arch9wavefront6targetE0EEEvT1_: ; @_ZN7rocprim17ROCPRIM_400000_NS6detail17trampoline_kernelINS0_14default_configENS1_35adjacent_difference_config_selectorILb1ExEEZNS1_24adjacent_difference_implIS3_Lb1ELb0EPxS7_N6thrust23THRUST_200600_302600_NS5minusIxEEEE10hipError_tPvRmT2_T3_mT4_P12ihipStream_tbEUlT_E_NS1_11comp_targetILNS1_3genE0ELNS1_11target_archE4294967295ELNS1_3gpuE0ELNS1_3repE0EEENS1_30default_config_static_selectorELNS0_4arch9wavefront6targetE0EEEvT1_
; %bb.0:
	.section	.rodata,"a",@progbits
	.p2align	6, 0x0
	.amdhsa_kernel _ZN7rocprim17ROCPRIM_400000_NS6detail17trampoline_kernelINS0_14default_configENS1_35adjacent_difference_config_selectorILb1ExEEZNS1_24adjacent_difference_implIS3_Lb1ELb0EPxS7_N6thrust23THRUST_200600_302600_NS5minusIxEEEE10hipError_tPvRmT2_T3_mT4_P12ihipStream_tbEUlT_E_NS1_11comp_targetILNS1_3genE0ELNS1_11target_archE4294967295ELNS1_3gpuE0ELNS1_3repE0EEENS1_30default_config_static_selectorELNS0_4arch9wavefront6targetE0EEEvT1_
		.amdhsa_group_segment_fixed_size 0
		.amdhsa_private_segment_fixed_size 0
		.amdhsa_kernarg_size 56
		.amdhsa_user_sgpr_count 15
		.amdhsa_user_sgpr_dispatch_ptr 0
		.amdhsa_user_sgpr_queue_ptr 0
		.amdhsa_user_sgpr_kernarg_segment_ptr 1
		.amdhsa_user_sgpr_dispatch_id 0
		.amdhsa_user_sgpr_private_segment_size 0
		.amdhsa_wavefront_size32 1
		.amdhsa_uses_dynamic_stack 0
		.amdhsa_enable_private_segment 0
		.amdhsa_system_sgpr_workgroup_id_x 1
		.amdhsa_system_sgpr_workgroup_id_y 0
		.amdhsa_system_sgpr_workgroup_id_z 0
		.amdhsa_system_sgpr_workgroup_info 0
		.amdhsa_system_vgpr_workitem_id 0
		.amdhsa_next_free_vgpr 1
		.amdhsa_next_free_sgpr 1
		.amdhsa_reserve_vcc 0
		.amdhsa_float_round_mode_32 0
		.amdhsa_float_round_mode_16_64 0
		.amdhsa_float_denorm_mode_32 3
		.amdhsa_float_denorm_mode_16_64 3
		.amdhsa_dx10_clamp 1
		.amdhsa_ieee_mode 1
		.amdhsa_fp16_overflow 0
		.amdhsa_workgroup_processor_mode 1
		.amdhsa_memory_ordered 1
		.amdhsa_forward_progress 0
		.amdhsa_shared_vgpr_count 0
		.amdhsa_exception_fp_ieee_invalid_op 0
		.amdhsa_exception_fp_denorm_src 0
		.amdhsa_exception_fp_ieee_div_zero 0
		.amdhsa_exception_fp_ieee_overflow 0
		.amdhsa_exception_fp_ieee_underflow 0
		.amdhsa_exception_fp_ieee_inexact 0
		.amdhsa_exception_int_div_zero 0
	.end_amdhsa_kernel
	.section	.text._ZN7rocprim17ROCPRIM_400000_NS6detail17trampoline_kernelINS0_14default_configENS1_35adjacent_difference_config_selectorILb1ExEEZNS1_24adjacent_difference_implIS3_Lb1ELb0EPxS7_N6thrust23THRUST_200600_302600_NS5minusIxEEEE10hipError_tPvRmT2_T3_mT4_P12ihipStream_tbEUlT_E_NS1_11comp_targetILNS1_3genE0ELNS1_11target_archE4294967295ELNS1_3gpuE0ELNS1_3repE0EEENS1_30default_config_static_selectorELNS0_4arch9wavefront6targetE0EEEvT1_,"axG",@progbits,_ZN7rocprim17ROCPRIM_400000_NS6detail17trampoline_kernelINS0_14default_configENS1_35adjacent_difference_config_selectorILb1ExEEZNS1_24adjacent_difference_implIS3_Lb1ELb0EPxS7_N6thrust23THRUST_200600_302600_NS5minusIxEEEE10hipError_tPvRmT2_T3_mT4_P12ihipStream_tbEUlT_E_NS1_11comp_targetILNS1_3genE0ELNS1_11target_archE4294967295ELNS1_3gpuE0ELNS1_3repE0EEENS1_30default_config_static_selectorELNS0_4arch9wavefront6targetE0EEEvT1_,comdat
.Lfunc_end274:
	.size	_ZN7rocprim17ROCPRIM_400000_NS6detail17trampoline_kernelINS0_14default_configENS1_35adjacent_difference_config_selectorILb1ExEEZNS1_24adjacent_difference_implIS3_Lb1ELb0EPxS7_N6thrust23THRUST_200600_302600_NS5minusIxEEEE10hipError_tPvRmT2_T3_mT4_P12ihipStream_tbEUlT_E_NS1_11comp_targetILNS1_3genE0ELNS1_11target_archE4294967295ELNS1_3gpuE0ELNS1_3repE0EEENS1_30default_config_static_selectorELNS0_4arch9wavefront6targetE0EEEvT1_, .Lfunc_end274-_ZN7rocprim17ROCPRIM_400000_NS6detail17trampoline_kernelINS0_14default_configENS1_35adjacent_difference_config_selectorILb1ExEEZNS1_24adjacent_difference_implIS3_Lb1ELb0EPxS7_N6thrust23THRUST_200600_302600_NS5minusIxEEEE10hipError_tPvRmT2_T3_mT4_P12ihipStream_tbEUlT_E_NS1_11comp_targetILNS1_3genE0ELNS1_11target_archE4294967295ELNS1_3gpuE0ELNS1_3repE0EEENS1_30default_config_static_selectorELNS0_4arch9wavefront6targetE0EEEvT1_
                                        ; -- End function
	.section	.AMDGPU.csdata,"",@progbits
; Kernel info:
; codeLenInByte = 0
; NumSgprs: 0
; NumVgprs: 0
; ScratchSize: 0
; MemoryBound: 0
; FloatMode: 240
; IeeeMode: 1
; LDSByteSize: 0 bytes/workgroup (compile time only)
; SGPRBlocks: 0
; VGPRBlocks: 0
; NumSGPRsForWavesPerEU: 1
; NumVGPRsForWavesPerEU: 1
; Occupancy: 16
; WaveLimiterHint : 0
; COMPUTE_PGM_RSRC2:SCRATCH_EN: 0
; COMPUTE_PGM_RSRC2:USER_SGPR: 15
; COMPUTE_PGM_RSRC2:TRAP_HANDLER: 0
; COMPUTE_PGM_RSRC2:TGID_X_EN: 1
; COMPUTE_PGM_RSRC2:TGID_Y_EN: 0
; COMPUTE_PGM_RSRC2:TGID_Z_EN: 0
; COMPUTE_PGM_RSRC2:TIDIG_COMP_CNT: 0
	.section	.text._ZN7rocprim17ROCPRIM_400000_NS6detail17trampoline_kernelINS0_14default_configENS1_35adjacent_difference_config_selectorILb1ExEEZNS1_24adjacent_difference_implIS3_Lb1ELb0EPxS7_N6thrust23THRUST_200600_302600_NS5minusIxEEEE10hipError_tPvRmT2_T3_mT4_P12ihipStream_tbEUlT_E_NS1_11comp_targetILNS1_3genE10ELNS1_11target_archE1201ELNS1_3gpuE5ELNS1_3repE0EEENS1_30default_config_static_selectorELNS0_4arch9wavefront6targetE0EEEvT1_,"axG",@progbits,_ZN7rocprim17ROCPRIM_400000_NS6detail17trampoline_kernelINS0_14default_configENS1_35adjacent_difference_config_selectorILb1ExEEZNS1_24adjacent_difference_implIS3_Lb1ELb0EPxS7_N6thrust23THRUST_200600_302600_NS5minusIxEEEE10hipError_tPvRmT2_T3_mT4_P12ihipStream_tbEUlT_E_NS1_11comp_targetILNS1_3genE10ELNS1_11target_archE1201ELNS1_3gpuE5ELNS1_3repE0EEENS1_30default_config_static_selectorELNS0_4arch9wavefront6targetE0EEEvT1_,comdat
	.protected	_ZN7rocprim17ROCPRIM_400000_NS6detail17trampoline_kernelINS0_14default_configENS1_35adjacent_difference_config_selectorILb1ExEEZNS1_24adjacent_difference_implIS3_Lb1ELb0EPxS7_N6thrust23THRUST_200600_302600_NS5minusIxEEEE10hipError_tPvRmT2_T3_mT4_P12ihipStream_tbEUlT_E_NS1_11comp_targetILNS1_3genE10ELNS1_11target_archE1201ELNS1_3gpuE5ELNS1_3repE0EEENS1_30default_config_static_selectorELNS0_4arch9wavefront6targetE0EEEvT1_ ; -- Begin function _ZN7rocprim17ROCPRIM_400000_NS6detail17trampoline_kernelINS0_14default_configENS1_35adjacent_difference_config_selectorILb1ExEEZNS1_24adjacent_difference_implIS3_Lb1ELb0EPxS7_N6thrust23THRUST_200600_302600_NS5minusIxEEEE10hipError_tPvRmT2_T3_mT4_P12ihipStream_tbEUlT_E_NS1_11comp_targetILNS1_3genE10ELNS1_11target_archE1201ELNS1_3gpuE5ELNS1_3repE0EEENS1_30default_config_static_selectorELNS0_4arch9wavefront6targetE0EEEvT1_
	.globl	_ZN7rocprim17ROCPRIM_400000_NS6detail17trampoline_kernelINS0_14default_configENS1_35adjacent_difference_config_selectorILb1ExEEZNS1_24adjacent_difference_implIS3_Lb1ELb0EPxS7_N6thrust23THRUST_200600_302600_NS5minusIxEEEE10hipError_tPvRmT2_T3_mT4_P12ihipStream_tbEUlT_E_NS1_11comp_targetILNS1_3genE10ELNS1_11target_archE1201ELNS1_3gpuE5ELNS1_3repE0EEENS1_30default_config_static_selectorELNS0_4arch9wavefront6targetE0EEEvT1_
	.p2align	8
	.type	_ZN7rocprim17ROCPRIM_400000_NS6detail17trampoline_kernelINS0_14default_configENS1_35adjacent_difference_config_selectorILb1ExEEZNS1_24adjacent_difference_implIS3_Lb1ELb0EPxS7_N6thrust23THRUST_200600_302600_NS5minusIxEEEE10hipError_tPvRmT2_T3_mT4_P12ihipStream_tbEUlT_E_NS1_11comp_targetILNS1_3genE10ELNS1_11target_archE1201ELNS1_3gpuE5ELNS1_3repE0EEENS1_30default_config_static_selectorELNS0_4arch9wavefront6targetE0EEEvT1_,@function
_ZN7rocprim17ROCPRIM_400000_NS6detail17trampoline_kernelINS0_14default_configENS1_35adjacent_difference_config_selectorILb1ExEEZNS1_24adjacent_difference_implIS3_Lb1ELb0EPxS7_N6thrust23THRUST_200600_302600_NS5minusIxEEEE10hipError_tPvRmT2_T3_mT4_P12ihipStream_tbEUlT_E_NS1_11comp_targetILNS1_3genE10ELNS1_11target_archE1201ELNS1_3gpuE5ELNS1_3repE0EEENS1_30default_config_static_selectorELNS0_4arch9wavefront6targetE0EEEvT1_: ; @_ZN7rocprim17ROCPRIM_400000_NS6detail17trampoline_kernelINS0_14default_configENS1_35adjacent_difference_config_selectorILb1ExEEZNS1_24adjacent_difference_implIS3_Lb1ELb0EPxS7_N6thrust23THRUST_200600_302600_NS5minusIxEEEE10hipError_tPvRmT2_T3_mT4_P12ihipStream_tbEUlT_E_NS1_11comp_targetILNS1_3genE10ELNS1_11target_archE1201ELNS1_3gpuE5ELNS1_3repE0EEENS1_30default_config_static_selectorELNS0_4arch9wavefront6targetE0EEEvT1_
; %bb.0:
	.section	.rodata,"a",@progbits
	.p2align	6, 0x0
	.amdhsa_kernel _ZN7rocprim17ROCPRIM_400000_NS6detail17trampoline_kernelINS0_14default_configENS1_35adjacent_difference_config_selectorILb1ExEEZNS1_24adjacent_difference_implIS3_Lb1ELb0EPxS7_N6thrust23THRUST_200600_302600_NS5minusIxEEEE10hipError_tPvRmT2_T3_mT4_P12ihipStream_tbEUlT_E_NS1_11comp_targetILNS1_3genE10ELNS1_11target_archE1201ELNS1_3gpuE5ELNS1_3repE0EEENS1_30default_config_static_selectorELNS0_4arch9wavefront6targetE0EEEvT1_
		.amdhsa_group_segment_fixed_size 0
		.amdhsa_private_segment_fixed_size 0
		.amdhsa_kernarg_size 56
		.amdhsa_user_sgpr_count 15
		.amdhsa_user_sgpr_dispatch_ptr 0
		.amdhsa_user_sgpr_queue_ptr 0
		.amdhsa_user_sgpr_kernarg_segment_ptr 1
		.amdhsa_user_sgpr_dispatch_id 0
		.amdhsa_user_sgpr_private_segment_size 0
		.amdhsa_wavefront_size32 1
		.amdhsa_uses_dynamic_stack 0
		.amdhsa_enable_private_segment 0
		.amdhsa_system_sgpr_workgroup_id_x 1
		.amdhsa_system_sgpr_workgroup_id_y 0
		.amdhsa_system_sgpr_workgroup_id_z 0
		.amdhsa_system_sgpr_workgroup_info 0
		.amdhsa_system_vgpr_workitem_id 0
		.amdhsa_next_free_vgpr 1
		.amdhsa_next_free_sgpr 1
		.amdhsa_reserve_vcc 0
		.amdhsa_float_round_mode_32 0
		.amdhsa_float_round_mode_16_64 0
		.amdhsa_float_denorm_mode_32 3
		.amdhsa_float_denorm_mode_16_64 3
		.amdhsa_dx10_clamp 1
		.amdhsa_ieee_mode 1
		.amdhsa_fp16_overflow 0
		.amdhsa_workgroup_processor_mode 1
		.amdhsa_memory_ordered 1
		.amdhsa_forward_progress 0
		.amdhsa_shared_vgpr_count 0
		.amdhsa_exception_fp_ieee_invalid_op 0
		.amdhsa_exception_fp_denorm_src 0
		.amdhsa_exception_fp_ieee_div_zero 0
		.amdhsa_exception_fp_ieee_overflow 0
		.amdhsa_exception_fp_ieee_underflow 0
		.amdhsa_exception_fp_ieee_inexact 0
		.amdhsa_exception_int_div_zero 0
	.end_amdhsa_kernel
	.section	.text._ZN7rocprim17ROCPRIM_400000_NS6detail17trampoline_kernelINS0_14default_configENS1_35adjacent_difference_config_selectorILb1ExEEZNS1_24adjacent_difference_implIS3_Lb1ELb0EPxS7_N6thrust23THRUST_200600_302600_NS5minusIxEEEE10hipError_tPvRmT2_T3_mT4_P12ihipStream_tbEUlT_E_NS1_11comp_targetILNS1_3genE10ELNS1_11target_archE1201ELNS1_3gpuE5ELNS1_3repE0EEENS1_30default_config_static_selectorELNS0_4arch9wavefront6targetE0EEEvT1_,"axG",@progbits,_ZN7rocprim17ROCPRIM_400000_NS6detail17trampoline_kernelINS0_14default_configENS1_35adjacent_difference_config_selectorILb1ExEEZNS1_24adjacent_difference_implIS3_Lb1ELb0EPxS7_N6thrust23THRUST_200600_302600_NS5minusIxEEEE10hipError_tPvRmT2_T3_mT4_P12ihipStream_tbEUlT_E_NS1_11comp_targetILNS1_3genE10ELNS1_11target_archE1201ELNS1_3gpuE5ELNS1_3repE0EEENS1_30default_config_static_selectorELNS0_4arch9wavefront6targetE0EEEvT1_,comdat
.Lfunc_end275:
	.size	_ZN7rocprim17ROCPRIM_400000_NS6detail17trampoline_kernelINS0_14default_configENS1_35adjacent_difference_config_selectorILb1ExEEZNS1_24adjacent_difference_implIS3_Lb1ELb0EPxS7_N6thrust23THRUST_200600_302600_NS5minusIxEEEE10hipError_tPvRmT2_T3_mT4_P12ihipStream_tbEUlT_E_NS1_11comp_targetILNS1_3genE10ELNS1_11target_archE1201ELNS1_3gpuE5ELNS1_3repE0EEENS1_30default_config_static_selectorELNS0_4arch9wavefront6targetE0EEEvT1_, .Lfunc_end275-_ZN7rocprim17ROCPRIM_400000_NS6detail17trampoline_kernelINS0_14default_configENS1_35adjacent_difference_config_selectorILb1ExEEZNS1_24adjacent_difference_implIS3_Lb1ELb0EPxS7_N6thrust23THRUST_200600_302600_NS5minusIxEEEE10hipError_tPvRmT2_T3_mT4_P12ihipStream_tbEUlT_E_NS1_11comp_targetILNS1_3genE10ELNS1_11target_archE1201ELNS1_3gpuE5ELNS1_3repE0EEENS1_30default_config_static_selectorELNS0_4arch9wavefront6targetE0EEEvT1_
                                        ; -- End function
	.section	.AMDGPU.csdata,"",@progbits
; Kernel info:
; codeLenInByte = 0
; NumSgprs: 0
; NumVgprs: 0
; ScratchSize: 0
; MemoryBound: 0
; FloatMode: 240
; IeeeMode: 1
; LDSByteSize: 0 bytes/workgroup (compile time only)
; SGPRBlocks: 0
; VGPRBlocks: 0
; NumSGPRsForWavesPerEU: 1
; NumVGPRsForWavesPerEU: 1
; Occupancy: 16
; WaveLimiterHint : 0
; COMPUTE_PGM_RSRC2:SCRATCH_EN: 0
; COMPUTE_PGM_RSRC2:USER_SGPR: 15
; COMPUTE_PGM_RSRC2:TRAP_HANDLER: 0
; COMPUTE_PGM_RSRC2:TGID_X_EN: 1
; COMPUTE_PGM_RSRC2:TGID_Y_EN: 0
; COMPUTE_PGM_RSRC2:TGID_Z_EN: 0
; COMPUTE_PGM_RSRC2:TIDIG_COMP_CNT: 0
	.section	.text._ZN7rocprim17ROCPRIM_400000_NS6detail17trampoline_kernelINS0_14default_configENS1_35adjacent_difference_config_selectorILb1ExEEZNS1_24adjacent_difference_implIS3_Lb1ELb0EPxS7_N6thrust23THRUST_200600_302600_NS5minusIxEEEE10hipError_tPvRmT2_T3_mT4_P12ihipStream_tbEUlT_E_NS1_11comp_targetILNS1_3genE5ELNS1_11target_archE942ELNS1_3gpuE9ELNS1_3repE0EEENS1_30default_config_static_selectorELNS0_4arch9wavefront6targetE0EEEvT1_,"axG",@progbits,_ZN7rocprim17ROCPRIM_400000_NS6detail17trampoline_kernelINS0_14default_configENS1_35adjacent_difference_config_selectorILb1ExEEZNS1_24adjacent_difference_implIS3_Lb1ELb0EPxS7_N6thrust23THRUST_200600_302600_NS5minusIxEEEE10hipError_tPvRmT2_T3_mT4_P12ihipStream_tbEUlT_E_NS1_11comp_targetILNS1_3genE5ELNS1_11target_archE942ELNS1_3gpuE9ELNS1_3repE0EEENS1_30default_config_static_selectorELNS0_4arch9wavefront6targetE0EEEvT1_,comdat
	.protected	_ZN7rocprim17ROCPRIM_400000_NS6detail17trampoline_kernelINS0_14default_configENS1_35adjacent_difference_config_selectorILb1ExEEZNS1_24adjacent_difference_implIS3_Lb1ELb0EPxS7_N6thrust23THRUST_200600_302600_NS5minusIxEEEE10hipError_tPvRmT2_T3_mT4_P12ihipStream_tbEUlT_E_NS1_11comp_targetILNS1_3genE5ELNS1_11target_archE942ELNS1_3gpuE9ELNS1_3repE0EEENS1_30default_config_static_selectorELNS0_4arch9wavefront6targetE0EEEvT1_ ; -- Begin function _ZN7rocprim17ROCPRIM_400000_NS6detail17trampoline_kernelINS0_14default_configENS1_35adjacent_difference_config_selectorILb1ExEEZNS1_24adjacent_difference_implIS3_Lb1ELb0EPxS7_N6thrust23THRUST_200600_302600_NS5minusIxEEEE10hipError_tPvRmT2_T3_mT4_P12ihipStream_tbEUlT_E_NS1_11comp_targetILNS1_3genE5ELNS1_11target_archE942ELNS1_3gpuE9ELNS1_3repE0EEENS1_30default_config_static_selectorELNS0_4arch9wavefront6targetE0EEEvT1_
	.globl	_ZN7rocprim17ROCPRIM_400000_NS6detail17trampoline_kernelINS0_14default_configENS1_35adjacent_difference_config_selectorILb1ExEEZNS1_24adjacent_difference_implIS3_Lb1ELb0EPxS7_N6thrust23THRUST_200600_302600_NS5minusIxEEEE10hipError_tPvRmT2_T3_mT4_P12ihipStream_tbEUlT_E_NS1_11comp_targetILNS1_3genE5ELNS1_11target_archE942ELNS1_3gpuE9ELNS1_3repE0EEENS1_30default_config_static_selectorELNS0_4arch9wavefront6targetE0EEEvT1_
	.p2align	8
	.type	_ZN7rocprim17ROCPRIM_400000_NS6detail17trampoline_kernelINS0_14default_configENS1_35adjacent_difference_config_selectorILb1ExEEZNS1_24adjacent_difference_implIS3_Lb1ELb0EPxS7_N6thrust23THRUST_200600_302600_NS5minusIxEEEE10hipError_tPvRmT2_T3_mT4_P12ihipStream_tbEUlT_E_NS1_11comp_targetILNS1_3genE5ELNS1_11target_archE942ELNS1_3gpuE9ELNS1_3repE0EEENS1_30default_config_static_selectorELNS0_4arch9wavefront6targetE0EEEvT1_,@function
_ZN7rocprim17ROCPRIM_400000_NS6detail17trampoline_kernelINS0_14default_configENS1_35adjacent_difference_config_selectorILb1ExEEZNS1_24adjacent_difference_implIS3_Lb1ELb0EPxS7_N6thrust23THRUST_200600_302600_NS5minusIxEEEE10hipError_tPvRmT2_T3_mT4_P12ihipStream_tbEUlT_E_NS1_11comp_targetILNS1_3genE5ELNS1_11target_archE942ELNS1_3gpuE9ELNS1_3repE0EEENS1_30default_config_static_selectorELNS0_4arch9wavefront6targetE0EEEvT1_: ; @_ZN7rocprim17ROCPRIM_400000_NS6detail17trampoline_kernelINS0_14default_configENS1_35adjacent_difference_config_selectorILb1ExEEZNS1_24adjacent_difference_implIS3_Lb1ELb0EPxS7_N6thrust23THRUST_200600_302600_NS5minusIxEEEE10hipError_tPvRmT2_T3_mT4_P12ihipStream_tbEUlT_E_NS1_11comp_targetILNS1_3genE5ELNS1_11target_archE942ELNS1_3gpuE9ELNS1_3repE0EEENS1_30default_config_static_selectorELNS0_4arch9wavefront6targetE0EEEvT1_
; %bb.0:
	.section	.rodata,"a",@progbits
	.p2align	6, 0x0
	.amdhsa_kernel _ZN7rocprim17ROCPRIM_400000_NS6detail17trampoline_kernelINS0_14default_configENS1_35adjacent_difference_config_selectorILb1ExEEZNS1_24adjacent_difference_implIS3_Lb1ELb0EPxS7_N6thrust23THRUST_200600_302600_NS5minusIxEEEE10hipError_tPvRmT2_T3_mT4_P12ihipStream_tbEUlT_E_NS1_11comp_targetILNS1_3genE5ELNS1_11target_archE942ELNS1_3gpuE9ELNS1_3repE0EEENS1_30default_config_static_selectorELNS0_4arch9wavefront6targetE0EEEvT1_
		.amdhsa_group_segment_fixed_size 0
		.amdhsa_private_segment_fixed_size 0
		.amdhsa_kernarg_size 56
		.amdhsa_user_sgpr_count 15
		.amdhsa_user_sgpr_dispatch_ptr 0
		.amdhsa_user_sgpr_queue_ptr 0
		.amdhsa_user_sgpr_kernarg_segment_ptr 1
		.amdhsa_user_sgpr_dispatch_id 0
		.amdhsa_user_sgpr_private_segment_size 0
		.amdhsa_wavefront_size32 1
		.amdhsa_uses_dynamic_stack 0
		.amdhsa_enable_private_segment 0
		.amdhsa_system_sgpr_workgroup_id_x 1
		.amdhsa_system_sgpr_workgroup_id_y 0
		.amdhsa_system_sgpr_workgroup_id_z 0
		.amdhsa_system_sgpr_workgroup_info 0
		.amdhsa_system_vgpr_workitem_id 0
		.amdhsa_next_free_vgpr 1
		.amdhsa_next_free_sgpr 1
		.amdhsa_reserve_vcc 0
		.amdhsa_float_round_mode_32 0
		.amdhsa_float_round_mode_16_64 0
		.amdhsa_float_denorm_mode_32 3
		.amdhsa_float_denorm_mode_16_64 3
		.amdhsa_dx10_clamp 1
		.amdhsa_ieee_mode 1
		.amdhsa_fp16_overflow 0
		.amdhsa_workgroup_processor_mode 1
		.amdhsa_memory_ordered 1
		.amdhsa_forward_progress 0
		.amdhsa_shared_vgpr_count 0
		.amdhsa_exception_fp_ieee_invalid_op 0
		.amdhsa_exception_fp_denorm_src 0
		.amdhsa_exception_fp_ieee_div_zero 0
		.amdhsa_exception_fp_ieee_overflow 0
		.amdhsa_exception_fp_ieee_underflow 0
		.amdhsa_exception_fp_ieee_inexact 0
		.amdhsa_exception_int_div_zero 0
	.end_amdhsa_kernel
	.section	.text._ZN7rocprim17ROCPRIM_400000_NS6detail17trampoline_kernelINS0_14default_configENS1_35adjacent_difference_config_selectorILb1ExEEZNS1_24adjacent_difference_implIS3_Lb1ELb0EPxS7_N6thrust23THRUST_200600_302600_NS5minusIxEEEE10hipError_tPvRmT2_T3_mT4_P12ihipStream_tbEUlT_E_NS1_11comp_targetILNS1_3genE5ELNS1_11target_archE942ELNS1_3gpuE9ELNS1_3repE0EEENS1_30default_config_static_selectorELNS0_4arch9wavefront6targetE0EEEvT1_,"axG",@progbits,_ZN7rocprim17ROCPRIM_400000_NS6detail17trampoline_kernelINS0_14default_configENS1_35adjacent_difference_config_selectorILb1ExEEZNS1_24adjacent_difference_implIS3_Lb1ELb0EPxS7_N6thrust23THRUST_200600_302600_NS5minusIxEEEE10hipError_tPvRmT2_T3_mT4_P12ihipStream_tbEUlT_E_NS1_11comp_targetILNS1_3genE5ELNS1_11target_archE942ELNS1_3gpuE9ELNS1_3repE0EEENS1_30default_config_static_selectorELNS0_4arch9wavefront6targetE0EEEvT1_,comdat
.Lfunc_end276:
	.size	_ZN7rocprim17ROCPRIM_400000_NS6detail17trampoline_kernelINS0_14default_configENS1_35adjacent_difference_config_selectorILb1ExEEZNS1_24adjacent_difference_implIS3_Lb1ELb0EPxS7_N6thrust23THRUST_200600_302600_NS5minusIxEEEE10hipError_tPvRmT2_T3_mT4_P12ihipStream_tbEUlT_E_NS1_11comp_targetILNS1_3genE5ELNS1_11target_archE942ELNS1_3gpuE9ELNS1_3repE0EEENS1_30default_config_static_selectorELNS0_4arch9wavefront6targetE0EEEvT1_, .Lfunc_end276-_ZN7rocprim17ROCPRIM_400000_NS6detail17trampoline_kernelINS0_14default_configENS1_35adjacent_difference_config_selectorILb1ExEEZNS1_24adjacent_difference_implIS3_Lb1ELb0EPxS7_N6thrust23THRUST_200600_302600_NS5minusIxEEEE10hipError_tPvRmT2_T3_mT4_P12ihipStream_tbEUlT_E_NS1_11comp_targetILNS1_3genE5ELNS1_11target_archE942ELNS1_3gpuE9ELNS1_3repE0EEENS1_30default_config_static_selectorELNS0_4arch9wavefront6targetE0EEEvT1_
                                        ; -- End function
	.section	.AMDGPU.csdata,"",@progbits
; Kernel info:
; codeLenInByte = 0
; NumSgprs: 0
; NumVgprs: 0
; ScratchSize: 0
; MemoryBound: 0
; FloatMode: 240
; IeeeMode: 1
; LDSByteSize: 0 bytes/workgroup (compile time only)
; SGPRBlocks: 0
; VGPRBlocks: 0
; NumSGPRsForWavesPerEU: 1
; NumVGPRsForWavesPerEU: 1
; Occupancy: 16
; WaveLimiterHint : 0
; COMPUTE_PGM_RSRC2:SCRATCH_EN: 0
; COMPUTE_PGM_RSRC2:USER_SGPR: 15
; COMPUTE_PGM_RSRC2:TRAP_HANDLER: 0
; COMPUTE_PGM_RSRC2:TGID_X_EN: 1
; COMPUTE_PGM_RSRC2:TGID_Y_EN: 0
; COMPUTE_PGM_RSRC2:TGID_Z_EN: 0
; COMPUTE_PGM_RSRC2:TIDIG_COMP_CNT: 0
	.section	.text._ZN7rocprim17ROCPRIM_400000_NS6detail17trampoline_kernelINS0_14default_configENS1_35adjacent_difference_config_selectorILb1ExEEZNS1_24adjacent_difference_implIS3_Lb1ELb0EPxS7_N6thrust23THRUST_200600_302600_NS5minusIxEEEE10hipError_tPvRmT2_T3_mT4_P12ihipStream_tbEUlT_E_NS1_11comp_targetILNS1_3genE4ELNS1_11target_archE910ELNS1_3gpuE8ELNS1_3repE0EEENS1_30default_config_static_selectorELNS0_4arch9wavefront6targetE0EEEvT1_,"axG",@progbits,_ZN7rocprim17ROCPRIM_400000_NS6detail17trampoline_kernelINS0_14default_configENS1_35adjacent_difference_config_selectorILb1ExEEZNS1_24adjacent_difference_implIS3_Lb1ELb0EPxS7_N6thrust23THRUST_200600_302600_NS5minusIxEEEE10hipError_tPvRmT2_T3_mT4_P12ihipStream_tbEUlT_E_NS1_11comp_targetILNS1_3genE4ELNS1_11target_archE910ELNS1_3gpuE8ELNS1_3repE0EEENS1_30default_config_static_selectorELNS0_4arch9wavefront6targetE0EEEvT1_,comdat
	.protected	_ZN7rocprim17ROCPRIM_400000_NS6detail17trampoline_kernelINS0_14default_configENS1_35adjacent_difference_config_selectorILb1ExEEZNS1_24adjacent_difference_implIS3_Lb1ELb0EPxS7_N6thrust23THRUST_200600_302600_NS5minusIxEEEE10hipError_tPvRmT2_T3_mT4_P12ihipStream_tbEUlT_E_NS1_11comp_targetILNS1_3genE4ELNS1_11target_archE910ELNS1_3gpuE8ELNS1_3repE0EEENS1_30default_config_static_selectorELNS0_4arch9wavefront6targetE0EEEvT1_ ; -- Begin function _ZN7rocprim17ROCPRIM_400000_NS6detail17trampoline_kernelINS0_14default_configENS1_35adjacent_difference_config_selectorILb1ExEEZNS1_24adjacent_difference_implIS3_Lb1ELb0EPxS7_N6thrust23THRUST_200600_302600_NS5minusIxEEEE10hipError_tPvRmT2_T3_mT4_P12ihipStream_tbEUlT_E_NS1_11comp_targetILNS1_3genE4ELNS1_11target_archE910ELNS1_3gpuE8ELNS1_3repE0EEENS1_30default_config_static_selectorELNS0_4arch9wavefront6targetE0EEEvT1_
	.globl	_ZN7rocprim17ROCPRIM_400000_NS6detail17trampoline_kernelINS0_14default_configENS1_35adjacent_difference_config_selectorILb1ExEEZNS1_24adjacent_difference_implIS3_Lb1ELb0EPxS7_N6thrust23THRUST_200600_302600_NS5minusIxEEEE10hipError_tPvRmT2_T3_mT4_P12ihipStream_tbEUlT_E_NS1_11comp_targetILNS1_3genE4ELNS1_11target_archE910ELNS1_3gpuE8ELNS1_3repE0EEENS1_30default_config_static_selectorELNS0_4arch9wavefront6targetE0EEEvT1_
	.p2align	8
	.type	_ZN7rocprim17ROCPRIM_400000_NS6detail17trampoline_kernelINS0_14default_configENS1_35adjacent_difference_config_selectorILb1ExEEZNS1_24adjacent_difference_implIS3_Lb1ELb0EPxS7_N6thrust23THRUST_200600_302600_NS5minusIxEEEE10hipError_tPvRmT2_T3_mT4_P12ihipStream_tbEUlT_E_NS1_11comp_targetILNS1_3genE4ELNS1_11target_archE910ELNS1_3gpuE8ELNS1_3repE0EEENS1_30default_config_static_selectorELNS0_4arch9wavefront6targetE0EEEvT1_,@function
_ZN7rocprim17ROCPRIM_400000_NS6detail17trampoline_kernelINS0_14default_configENS1_35adjacent_difference_config_selectorILb1ExEEZNS1_24adjacent_difference_implIS3_Lb1ELb0EPxS7_N6thrust23THRUST_200600_302600_NS5minusIxEEEE10hipError_tPvRmT2_T3_mT4_P12ihipStream_tbEUlT_E_NS1_11comp_targetILNS1_3genE4ELNS1_11target_archE910ELNS1_3gpuE8ELNS1_3repE0EEENS1_30default_config_static_selectorELNS0_4arch9wavefront6targetE0EEEvT1_: ; @_ZN7rocprim17ROCPRIM_400000_NS6detail17trampoline_kernelINS0_14default_configENS1_35adjacent_difference_config_selectorILb1ExEEZNS1_24adjacent_difference_implIS3_Lb1ELb0EPxS7_N6thrust23THRUST_200600_302600_NS5minusIxEEEE10hipError_tPvRmT2_T3_mT4_P12ihipStream_tbEUlT_E_NS1_11comp_targetILNS1_3genE4ELNS1_11target_archE910ELNS1_3gpuE8ELNS1_3repE0EEENS1_30default_config_static_selectorELNS0_4arch9wavefront6targetE0EEEvT1_
; %bb.0:
	.section	.rodata,"a",@progbits
	.p2align	6, 0x0
	.amdhsa_kernel _ZN7rocprim17ROCPRIM_400000_NS6detail17trampoline_kernelINS0_14default_configENS1_35adjacent_difference_config_selectorILb1ExEEZNS1_24adjacent_difference_implIS3_Lb1ELb0EPxS7_N6thrust23THRUST_200600_302600_NS5minusIxEEEE10hipError_tPvRmT2_T3_mT4_P12ihipStream_tbEUlT_E_NS1_11comp_targetILNS1_3genE4ELNS1_11target_archE910ELNS1_3gpuE8ELNS1_3repE0EEENS1_30default_config_static_selectorELNS0_4arch9wavefront6targetE0EEEvT1_
		.amdhsa_group_segment_fixed_size 0
		.amdhsa_private_segment_fixed_size 0
		.amdhsa_kernarg_size 56
		.amdhsa_user_sgpr_count 15
		.amdhsa_user_sgpr_dispatch_ptr 0
		.amdhsa_user_sgpr_queue_ptr 0
		.amdhsa_user_sgpr_kernarg_segment_ptr 1
		.amdhsa_user_sgpr_dispatch_id 0
		.amdhsa_user_sgpr_private_segment_size 0
		.amdhsa_wavefront_size32 1
		.amdhsa_uses_dynamic_stack 0
		.amdhsa_enable_private_segment 0
		.amdhsa_system_sgpr_workgroup_id_x 1
		.amdhsa_system_sgpr_workgroup_id_y 0
		.amdhsa_system_sgpr_workgroup_id_z 0
		.amdhsa_system_sgpr_workgroup_info 0
		.amdhsa_system_vgpr_workitem_id 0
		.amdhsa_next_free_vgpr 1
		.amdhsa_next_free_sgpr 1
		.amdhsa_reserve_vcc 0
		.amdhsa_float_round_mode_32 0
		.amdhsa_float_round_mode_16_64 0
		.amdhsa_float_denorm_mode_32 3
		.amdhsa_float_denorm_mode_16_64 3
		.amdhsa_dx10_clamp 1
		.amdhsa_ieee_mode 1
		.amdhsa_fp16_overflow 0
		.amdhsa_workgroup_processor_mode 1
		.amdhsa_memory_ordered 1
		.amdhsa_forward_progress 0
		.amdhsa_shared_vgpr_count 0
		.amdhsa_exception_fp_ieee_invalid_op 0
		.amdhsa_exception_fp_denorm_src 0
		.amdhsa_exception_fp_ieee_div_zero 0
		.amdhsa_exception_fp_ieee_overflow 0
		.amdhsa_exception_fp_ieee_underflow 0
		.amdhsa_exception_fp_ieee_inexact 0
		.amdhsa_exception_int_div_zero 0
	.end_amdhsa_kernel
	.section	.text._ZN7rocprim17ROCPRIM_400000_NS6detail17trampoline_kernelINS0_14default_configENS1_35adjacent_difference_config_selectorILb1ExEEZNS1_24adjacent_difference_implIS3_Lb1ELb0EPxS7_N6thrust23THRUST_200600_302600_NS5minusIxEEEE10hipError_tPvRmT2_T3_mT4_P12ihipStream_tbEUlT_E_NS1_11comp_targetILNS1_3genE4ELNS1_11target_archE910ELNS1_3gpuE8ELNS1_3repE0EEENS1_30default_config_static_selectorELNS0_4arch9wavefront6targetE0EEEvT1_,"axG",@progbits,_ZN7rocprim17ROCPRIM_400000_NS6detail17trampoline_kernelINS0_14default_configENS1_35adjacent_difference_config_selectorILb1ExEEZNS1_24adjacent_difference_implIS3_Lb1ELb0EPxS7_N6thrust23THRUST_200600_302600_NS5minusIxEEEE10hipError_tPvRmT2_T3_mT4_P12ihipStream_tbEUlT_E_NS1_11comp_targetILNS1_3genE4ELNS1_11target_archE910ELNS1_3gpuE8ELNS1_3repE0EEENS1_30default_config_static_selectorELNS0_4arch9wavefront6targetE0EEEvT1_,comdat
.Lfunc_end277:
	.size	_ZN7rocprim17ROCPRIM_400000_NS6detail17trampoline_kernelINS0_14default_configENS1_35adjacent_difference_config_selectorILb1ExEEZNS1_24adjacent_difference_implIS3_Lb1ELb0EPxS7_N6thrust23THRUST_200600_302600_NS5minusIxEEEE10hipError_tPvRmT2_T3_mT4_P12ihipStream_tbEUlT_E_NS1_11comp_targetILNS1_3genE4ELNS1_11target_archE910ELNS1_3gpuE8ELNS1_3repE0EEENS1_30default_config_static_selectorELNS0_4arch9wavefront6targetE0EEEvT1_, .Lfunc_end277-_ZN7rocprim17ROCPRIM_400000_NS6detail17trampoline_kernelINS0_14default_configENS1_35adjacent_difference_config_selectorILb1ExEEZNS1_24adjacent_difference_implIS3_Lb1ELb0EPxS7_N6thrust23THRUST_200600_302600_NS5minusIxEEEE10hipError_tPvRmT2_T3_mT4_P12ihipStream_tbEUlT_E_NS1_11comp_targetILNS1_3genE4ELNS1_11target_archE910ELNS1_3gpuE8ELNS1_3repE0EEENS1_30default_config_static_selectorELNS0_4arch9wavefront6targetE0EEEvT1_
                                        ; -- End function
	.section	.AMDGPU.csdata,"",@progbits
; Kernel info:
; codeLenInByte = 0
; NumSgprs: 0
; NumVgprs: 0
; ScratchSize: 0
; MemoryBound: 0
; FloatMode: 240
; IeeeMode: 1
; LDSByteSize: 0 bytes/workgroup (compile time only)
; SGPRBlocks: 0
; VGPRBlocks: 0
; NumSGPRsForWavesPerEU: 1
; NumVGPRsForWavesPerEU: 1
; Occupancy: 16
; WaveLimiterHint : 0
; COMPUTE_PGM_RSRC2:SCRATCH_EN: 0
; COMPUTE_PGM_RSRC2:USER_SGPR: 15
; COMPUTE_PGM_RSRC2:TRAP_HANDLER: 0
; COMPUTE_PGM_RSRC2:TGID_X_EN: 1
; COMPUTE_PGM_RSRC2:TGID_Y_EN: 0
; COMPUTE_PGM_RSRC2:TGID_Z_EN: 0
; COMPUTE_PGM_RSRC2:TIDIG_COMP_CNT: 0
	.section	.text._ZN7rocprim17ROCPRIM_400000_NS6detail17trampoline_kernelINS0_14default_configENS1_35adjacent_difference_config_selectorILb1ExEEZNS1_24adjacent_difference_implIS3_Lb1ELb0EPxS7_N6thrust23THRUST_200600_302600_NS5minusIxEEEE10hipError_tPvRmT2_T3_mT4_P12ihipStream_tbEUlT_E_NS1_11comp_targetILNS1_3genE3ELNS1_11target_archE908ELNS1_3gpuE7ELNS1_3repE0EEENS1_30default_config_static_selectorELNS0_4arch9wavefront6targetE0EEEvT1_,"axG",@progbits,_ZN7rocprim17ROCPRIM_400000_NS6detail17trampoline_kernelINS0_14default_configENS1_35adjacent_difference_config_selectorILb1ExEEZNS1_24adjacent_difference_implIS3_Lb1ELb0EPxS7_N6thrust23THRUST_200600_302600_NS5minusIxEEEE10hipError_tPvRmT2_T3_mT4_P12ihipStream_tbEUlT_E_NS1_11comp_targetILNS1_3genE3ELNS1_11target_archE908ELNS1_3gpuE7ELNS1_3repE0EEENS1_30default_config_static_selectorELNS0_4arch9wavefront6targetE0EEEvT1_,comdat
	.protected	_ZN7rocprim17ROCPRIM_400000_NS6detail17trampoline_kernelINS0_14default_configENS1_35adjacent_difference_config_selectorILb1ExEEZNS1_24adjacent_difference_implIS3_Lb1ELb0EPxS7_N6thrust23THRUST_200600_302600_NS5minusIxEEEE10hipError_tPvRmT2_T3_mT4_P12ihipStream_tbEUlT_E_NS1_11comp_targetILNS1_3genE3ELNS1_11target_archE908ELNS1_3gpuE7ELNS1_3repE0EEENS1_30default_config_static_selectorELNS0_4arch9wavefront6targetE0EEEvT1_ ; -- Begin function _ZN7rocprim17ROCPRIM_400000_NS6detail17trampoline_kernelINS0_14default_configENS1_35adjacent_difference_config_selectorILb1ExEEZNS1_24adjacent_difference_implIS3_Lb1ELb0EPxS7_N6thrust23THRUST_200600_302600_NS5minusIxEEEE10hipError_tPvRmT2_T3_mT4_P12ihipStream_tbEUlT_E_NS1_11comp_targetILNS1_3genE3ELNS1_11target_archE908ELNS1_3gpuE7ELNS1_3repE0EEENS1_30default_config_static_selectorELNS0_4arch9wavefront6targetE0EEEvT1_
	.globl	_ZN7rocprim17ROCPRIM_400000_NS6detail17trampoline_kernelINS0_14default_configENS1_35adjacent_difference_config_selectorILb1ExEEZNS1_24adjacent_difference_implIS3_Lb1ELb0EPxS7_N6thrust23THRUST_200600_302600_NS5minusIxEEEE10hipError_tPvRmT2_T3_mT4_P12ihipStream_tbEUlT_E_NS1_11comp_targetILNS1_3genE3ELNS1_11target_archE908ELNS1_3gpuE7ELNS1_3repE0EEENS1_30default_config_static_selectorELNS0_4arch9wavefront6targetE0EEEvT1_
	.p2align	8
	.type	_ZN7rocprim17ROCPRIM_400000_NS6detail17trampoline_kernelINS0_14default_configENS1_35adjacent_difference_config_selectorILb1ExEEZNS1_24adjacent_difference_implIS3_Lb1ELb0EPxS7_N6thrust23THRUST_200600_302600_NS5minusIxEEEE10hipError_tPvRmT2_T3_mT4_P12ihipStream_tbEUlT_E_NS1_11comp_targetILNS1_3genE3ELNS1_11target_archE908ELNS1_3gpuE7ELNS1_3repE0EEENS1_30default_config_static_selectorELNS0_4arch9wavefront6targetE0EEEvT1_,@function
_ZN7rocprim17ROCPRIM_400000_NS6detail17trampoline_kernelINS0_14default_configENS1_35adjacent_difference_config_selectorILb1ExEEZNS1_24adjacent_difference_implIS3_Lb1ELb0EPxS7_N6thrust23THRUST_200600_302600_NS5minusIxEEEE10hipError_tPvRmT2_T3_mT4_P12ihipStream_tbEUlT_E_NS1_11comp_targetILNS1_3genE3ELNS1_11target_archE908ELNS1_3gpuE7ELNS1_3repE0EEENS1_30default_config_static_selectorELNS0_4arch9wavefront6targetE0EEEvT1_: ; @_ZN7rocprim17ROCPRIM_400000_NS6detail17trampoline_kernelINS0_14default_configENS1_35adjacent_difference_config_selectorILb1ExEEZNS1_24adjacent_difference_implIS3_Lb1ELb0EPxS7_N6thrust23THRUST_200600_302600_NS5minusIxEEEE10hipError_tPvRmT2_T3_mT4_P12ihipStream_tbEUlT_E_NS1_11comp_targetILNS1_3genE3ELNS1_11target_archE908ELNS1_3gpuE7ELNS1_3repE0EEENS1_30default_config_static_selectorELNS0_4arch9wavefront6targetE0EEEvT1_
; %bb.0:
	.section	.rodata,"a",@progbits
	.p2align	6, 0x0
	.amdhsa_kernel _ZN7rocprim17ROCPRIM_400000_NS6detail17trampoline_kernelINS0_14default_configENS1_35adjacent_difference_config_selectorILb1ExEEZNS1_24adjacent_difference_implIS3_Lb1ELb0EPxS7_N6thrust23THRUST_200600_302600_NS5minusIxEEEE10hipError_tPvRmT2_T3_mT4_P12ihipStream_tbEUlT_E_NS1_11comp_targetILNS1_3genE3ELNS1_11target_archE908ELNS1_3gpuE7ELNS1_3repE0EEENS1_30default_config_static_selectorELNS0_4arch9wavefront6targetE0EEEvT1_
		.amdhsa_group_segment_fixed_size 0
		.amdhsa_private_segment_fixed_size 0
		.amdhsa_kernarg_size 56
		.amdhsa_user_sgpr_count 15
		.amdhsa_user_sgpr_dispatch_ptr 0
		.amdhsa_user_sgpr_queue_ptr 0
		.amdhsa_user_sgpr_kernarg_segment_ptr 1
		.amdhsa_user_sgpr_dispatch_id 0
		.amdhsa_user_sgpr_private_segment_size 0
		.amdhsa_wavefront_size32 1
		.amdhsa_uses_dynamic_stack 0
		.amdhsa_enable_private_segment 0
		.amdhsa_system_sgpr_workgroup_id_x 1
		.amdhsa_system_sgpr_workgroup_id_y 0
		.amdhsa_system_sgpr_workgroup_id_z 0
		.amdhsa_system_sgpr_workgroup_info 0
		.amdhsa_system_vgpr_workitem_id 0
		.amdhsa_next_free_vgpr 1
		.amdhsa_next_free_sgpr 1
		.amdhsa_reserve_vcc 0
		.amdhsa_float_round_mode_32 0
		.amdhsa_float_round_mode_16_64 0
		.amdhsa_float_denorm_mode_32 3
		.amdhsa_float_denorm_mode_16_64 3
		.amdhsa_dx10_clamp 1
		.amdhsa_ieee_mode 1
		.amdhsa_fp16_overflow 0
		.amdhsa_workgroup_processor_mode 1
		.amdhsa_memory_ordered 1
		.amdhsa_forward_progress 0
		.amdhsa_shared_vgpr_count 0
		.amdhsa_exception_fp_ieee_invalid_op 0
		.amdhsa_exception_fp_denorm_src 0
		.amdhsa_exception_fp_ieee_div_zero 0
		.amdhsa_exception_fp_ieee_overflow 0
		.amdhsa_exception_fp_ieee_underflow 0
		.amdhsa_exception_fp_ieee_inexact 0
		.amdhsa_exception_int_div_zero 0
	.end_amdhsa_kernel
	.section	.text._ZN7rocprim17ROCPRIM_400000_NS6detail17trampoline_kernelINS0_14default_configENS1_35adjacent_difference_config_selectorILb1ExEEZNS1_24adjacent_difference_implIS3_Lb1ELb0EPxS7_N6thrust23THRUST_200600_302600_NS5minusIxEEEE10hipError_tPvRmT2_T3_mT4_P12ihipStream_tbEUlT_E_NS1_11comp_targetILNS1_3genE3ELNS1_11target_archE908ELNS1_3gpuE7ELNS1_3repE0EEENS1_30default_config_static_selectorELNS0_4arch9wavefront6targetE0EEEvT1_,"axG",@progbits,_ZN7rocprim17ROCPRIM_400000_NS6detail17trampoline_kernelINS0_14default_configENS1_35adjacent_difference_config_selectorILb1ExEEZNS1_24adjacent_difference_implIS3_Lb1ELb0EPxS7_N6thrust23THRUST_200600_302600_NS5minusIxEEEE10hipError_tPvRmT2_T3_mT4_P12ihipStream_tbEUlT_E_NS1_11comp_targetILNS1_3genE3ELNS1_11target_archE908ELNS1_3gpuE7ELNS1_3repE0EEENS1_30default_config_static_selectorELNS0_4arch9wavefront6targetE0EEEvT1_,comdat
.Lfunc_end278:
	.size	_ZN7rocprim17ROCPRIM_400000_NS6detail17trampoline_kernelINS0_14default_configENS1_35adjacent_difference_config_selectorILb1ExEEZNS1_24adjacent_difference_implIS3_Lb1ELb0EPxS7_N6thrust23THRUST_200600_302600_NS5minusIxEEEE10hipError_tPvRmT2_T3_mT4_P12ihipStream_tbEUlT_E_NS1_11comp_targetILNS1_3genE3ELNS1_11target_archE908ELNS1_3gpuE7ELNS1_3repE0EEENS1_30default_config_static_selectorELNS0_4arch9wavefront6targetE0EEEvT1_, .Lfunc_end278-_ZN7rocprim17ROCPRIM_400000_NS6detail17trampoline_kernelINS0_14default_configENS1_35adjacent_difference_config_selectorILb1ExEEZNS1_24adjacent_difference_implIS3_Lb1ELb0EPxS7_N6thrust23THRUST_200600_302600_NS5minusIxEEEE10hipError_tPvRmT2_T3_mT4_P12ihipStream_tbEUlT_E_NS1_11comp_targetILNS1_3genE3ELNS1_11target_archE908ELNS1_3gpuE7ELNS1_3repE0EEENS1_30default_config_static_selectorELNS0_4arch9wavefront6targetE0EEEvT1_
                                        ; -- End function
	.section	.AMDGPU.csdata,"",@progbits
; Kernel info:
; codeLenInByte = 0
; NumSgprs: 0
; NumVgprs: 0
; ScratchSize: 0
; MemoryBound: 0
; FloatMode: 240
; IeeeMode: 1
; LDSByteSize: 0 bytes/workgroup (compile time only)
; SGPRBlocks: 0
; VGPRBlocks: 0
; NumSGPRsForWavesPerEU: 1
; NumVGPRsForWavesPerEU: 1
; Occupancy: 16
; WaveLimiterHint : 0
; COMPUTE_PGM_RSRC2:SCRATCH_EN: 0
; COMPUTE_PGM_RSRC2:USER_SGPR: 15
; COMPUTE_PGM_RSRC2:TRAP_HANDLER: 0
; COMPUTE_PGM_RSRC2:TGID_X_EN: 1
; COMPUTE_PGM_RSRC2:TGID_Y_EN: 0
; COMPUTE_PGM_RSRC2:TGID_Z_EN: 0
; COMPUTE_PGM_RSRC2:TIDIG_COMP_CNT: 0
	.section	.text._ZN7rocprim17ROCPRIM_400000_NS6detail17trampoline_kernelINS0_14default_configENS1_35adjacent_difference_config_selectorILb1ExEEZNS1_24adjacent_difference_implIS3_Lb1ELb0EPxS7_N6thrust23THRUST_200600_302600_NS5minusIxEEEE10hipError_tPvRmT2_T3_mT4_P12ihipStream_tbEUlT_E_NS1_11comp_targetILNS1_3genE2ELNS1_11target_archE906ELNS1_3gpuE6ELNS1_3repE0EEENS1_30default_config_static_selectorELNS0_4arch9wavefront6targetE0EEEvT1_,"axG",@progbits,_ZN7rocprim17ROCPRIM_400000_NS6detail17trampoline_kernelINS0_14default_configENS1_35adjacent_difference_config_selectorILb1ExEEZNS1_24adjacent_difference_implIS3_Lb1ELb0EPxS7_N6thrust23THRUST_200600_302600_NS5minusIxEEEE10hipError_tPvRmT2_T3_mT4_P12ihipStream_tbEUlT_E_NS1_11comp_targetILNS1_3genE2ELNS1_11target_archE906ELNS1_3gpuE6ELNS1_3repE0EEENS1_30default_config_static_selectorELNS0_4arch9wavefront6targetE0EEEvT1_,comdat
	.protected	_ZN7rocprim17ROCPRIM_400000_NS6detail17trampoline_kernelINS0_14default_configENS1_35adjacent_difference_config_selectorILb1ExEEZNS1_24adjacent_difference_implIS3_Lb1ELb0EPxS7_N6thrust23THRUST_200600_302600_NS5minusIxEEEE10hipError_tPvRmT2_T3_mT4_P12ihipStream_tbEUlT_E_NS1_11comp_targetILNS1_3genE2ELNS1_11target_archE906ELNS1_3gpuE6ELNS1_3repE0EEENS1_30default_config_static_selectorELNS0_4arch9wavefront6targetE0EEEvT1_ ; -- Begin function _ZN7rocprim17ROCPRIM_400000_NS6detail17trampoline_kernelINS0_14default_configENS1_35adjacent_difference_config_selectorILb1ExEEZNS1_24adjacent_difference_implIS3_Lb1ELb0EPxS7_N6thrust23THRUST_200600_302600_NS5minusIxEEEE10hipError_tPvRmT2_T3_mT4_P12ihipStream_tbEUlT_E_NS1_11comp_targetILNS1_3genE2ELNS1_11target_archE906ELNS1_3gpuE6ELNS1_3repE0EEENS1_30default_config_static_selectorELNS0_4arch9wavefront6targetE0EEEvT1_
	.globl	_ZN7rocprim17ROCPRIM_400000_NS6detail17trampoline_kernelINS0_14default_configENS1_35adjacent_difference_config_selectorILb1ExEEZNS1_24adjacent_difference_implIS3_Lb1ELb0EPxS7_N6thrust23THRUST_200600_302600_NS5minusIxEEEE10hipError_tPvRmT2_T3_mT4_P12ihipStream_tbEUlT_E_NS1_11comp_targetILNS1_3genE2ELNS1_11target_archE906ELNS1_3gpuE6ELNS1_3repE0EEENS1_30default_config_static_selectorELNS0_4arch9wavefront6targetE0EEEvT1_
	.p2align	8
	.type	_ZN7rocprim17ROCPRIM_400000_NS6detail17trampoline_kernelINS0_14default_configENS1_35adjacent_difference_config_selectorILb1ExEEZNS1_24adjacent_difference_implIS3_Lb1ELb0EPxS7_N6thrust23THRUST_200600_302600_NS5minusIxEEEE10hipError_tPvRmT2_T3_mT4_P12ihipStream_tbEUlT_E_NS1_11comp_targetILNS1_3genE2ELNS1_11target_archE906ELNS1_3gpuE6ELNS1_3repE0EEENS1_30default_config_static_selectorELNS0_4arch9wavefront6targetE0EEEvT1_,@function
_ZN7rocprim17ROCPRIM_400000_NS6detail17trampoline_kernelINS0_14default_configENS1_35adjacent_difference_config_selectorILb1ExEEZNS1_24adjacent_difference_implIS3_Lb1ELb0EPxS7_N6thrust23THRUST_200600_302600_NS5minusIxEEEE10hipError_tPvRmT2_T3_mT4_P12ihipStream_tbEUlT_E_NS1_11comp_targetILNS1_3genE2ELNS1_11target_archE906ELNS1_3gpuE6ELNS1_3repE0EEENS1_30default_config_static_selectorELNS0_4arch9wavefront6targetE0EEEvT1_: ; @_ZN7rocprim17ROCPRIM_400000_NS6detail17trampoline_kernelINS0_14default_configENS1_35adjacent_difference_config_selectorILb1ExEEZNS1_24adjacent_difference_implIS3_Lb1ELb0EPxS7_N6thrust23THRUST_200600_302600_NS5minusIxEEEE10hipError_tPvRmT2_T3_mT4_P12ihipStream_tbEUlT_E_NS1_11comp_targetILNS1_3genE2ELNS1_11target_archE906ELNS1_3gpuE6ELNS1_3repE0EEENS1_30default_config_static_selectorELNS0_4arch9wavefront6targetE0EEEvT1_
; %bb.0:
	.section	.rodata,"a",@progbits
	.p2align	6, 0x0
	.amdhsa_kernel _ZN7rocprim17ROCPRIM_400000_NS6detail17trampoline_kernelINS0_14default_configENS1_35adjacent_difference_config_selectorILb1ExEEZNS1_24adjacent_difference_implIS3_Lb1ELb0EPxS7_N6thrust23THRUST_200600_302600_NS5minusIxEEEE10hipError_tPvRmT2_T3_mT4_P12ihipStream_tbEUlT_E_NS1_11comp_targetILNS1_3genE2ELNS1_11target_archE906ELNS1_3gpuE6ELNS1_3repE0EEENS1_30default_config_static_selectorELNS0_4arch9wavefront6targetE0EEEvT1_
		.amdhsa_group_segment_fixed_size 0
		.amdhsa_private_segment_fixed_size 0
		.amdhsa_kernarg_size 56
		.amdhsa_user_sgpr_count 15
		.amdhsa_user_sgpr_dispatch_ptr 0
		.amdhsa_user_sgpr_queue_ptr 0
		.amdhsa_user_sgpr_kernarg_segment_ptr 1
		.amdhsa_user_sgpr_dispatch_id 0
		.amdhsa_user_sgpr_private_segment_size 0
		.amdhsa_wavefront_size32 1
		.amdhsa_uses_dynamic_stack 0
		.amdhsa_enable_private_segment 0
		.amdhsa_system_sgpr_workgroup_id_x 1
		.amdhsa_system_sgpr_workgroup_id_y 0
		.amdhsa_system_sgpr_workgroup_id_z 0
		.amdhsa_system_sgpr_workgroup_info 0
		.amdhsa_system_vgpr_workitem_id 0
		.amdhsa_next_free_vgpr 1
		.amdhsa_next_free_sgpr 1
		.amdhsa_reserve_vcc 0
		.amdhsa_float_round_mode_32 0
		.amdhsa_float_round_mode_16_64 0
		.amdhsa_float_denorm_mode_32 3
		.amdhsa_float_denorm_mode_16_64 3
		.amdhsa_dx10_clamp 1
		.amdhsa_ieee_mode 1
		.amdhsa_fp16_overflow 0
		.amdhsa_workgroup_processor_mode 1
		.amdhsa_memory_ordered 1
		.amdhsa_forward_progress 0
		.amdhsa_shared_vgpr_count 0
		.amdhsa_exception_fp_ieee_invalid_op 0
		.amdhsa_exception_fp_denorm_src 0
		.amdhsa_exception_fp_ieee_div_zero 0
		.amdhsa_exception_fp_ieee_overflow 0
		.amdhsa_exception_fp_ieee_underflow 0
		.amdhsa_exception_fp_ieee_inexact 0
		.amdhsa_exception_int_div_zero 0
	.end_amdhsa_kernel
	.section	.text._ZN7rocprim17ROCPRIM_400000_NS6detail17trampoline_kernelINS0_14default_configENS1_35adjacent_difference_config_selectorILb1ExEEZNS1_24adjacent_difference_implIS3_Lb1ELb0EPxS7_N6thrust23THRUST_200600_302600_NS5minusIxEEEE10hipError_tPvRmT2_T3_mT4_P12ihipStream_tbEUlT_E_NS1_11comp_targetILNS1_3genE2ELNS1_11target_archE906ELNS1_3gpuE6ELNS1_3repE0EEENS1_30default_config_static_selectorELNS0_4arch9wavefront6targetE0EEEvT1_,"axG",@progbits,_ZN7rocprim17ROCPRIM_400000_NS6detail17trampoline_kernelINS0_14default_configENS1_35adjacent_difference_config_selectorILb1ExEEZNS1_24adjacent_difference_implIS3_Lb1ELb0EPxS7_N6thrust23THRUST_200600_302600_NS5minusIxEEEE10hipError_tPvRmT2_T3_mT4_P12ihipStream_tbEUlT_E_NS1_11comp_targetILNS1_3genE2ELNS1_11target_archE906ELNS1_3gpuE6ELNS1_3repE0EEENS1_30default_config_static_selectorELNS0_4arch9wavefront6targetE0EEEvT1_,comdat
.Lfunc_end279:
	.size	_ZN7rocprim17ROCPRIM_400000_NS6detail17trampoline_kernelINS0_14default_configENS1_35adjacent_difference_config_selectorILb1ExEEZNS1_24adjacent_difference_implIS3_Lb1ELb0EPxS7_N6thrust23THRUST_200600_302600_NS5minusIxEEEE10hipError_tPvRmT2_T3_mT4_P12ihipStream_tbEUlT_E_NS1_11comp_targetILNS1_3genE2ELNS1_11target_archE906ELNS1_3gpuE6ELNS1_3repE0EEENS1_30default_config_static_selectorELNS0_4arch9wavefront6targetE0EEEvT1_, .Lfunc_end279-_ZN7rocprim17ROCPRIM_400000_NS6detail17trampoline_kernelINS0_14default_configENS1_35adjacent_difference_config_selectorILb1ExEEZNS1_24adjacent_difference_implIS3_Lb1ELb0EPxS7_N6thrust23THRUST_200600_302600_NS5minusIxEEEE10hipError_tPvRmT2_T3_mT4_P12ihipStream_tbEUlT_E_NS1_11comp_targetILNS1_3genE2ELNS1_11target_archE906ELNS1_3gpuE6ELNS1_3repE0EEENS1_30default_config_static_selectorELNS0_4arch9wavefront6targetE0EEEvT1_
                                        ; -- End function
	.section	.AMDGPU.csdata,"",@progbits
; Kernel info:
; codeLenInByte = 0
; NumSgprs: 0
; NumVgprs: 0
; ScratchSize: 0
; MemoryBound: 0
; FloatMode: 240
; IeeeMode: 1
; LDSByteSize: 0 bytes/workgroup (compile time only)
; SGPRBlocks: 0
; VGPRBlocks: 0
; NumSGPRsForWavesPerEU: 1
; NumVGPRsForWavesPerEU: 1
; Occupancy: 16
; WaveLimiterHint : 0
; COMPUTE_PGM_RSRC2:SCRATCH_EN: 0
; COMPUTE_PGM_RSRC2:USER_SGPR: 15
; COMPUTE_PGM_RSRC2:TRAP_HANDLER: 0
; COMPUTE_PGM_RSRC2:TGID_X_EN: 1
; COMPUTE_PGM_RSRC2:TGID_Y_EN: 0
; COMPUTE_PGM_RSRC2:TGID_Z_EN: 0
; COMPUTE_PGM_RSRC2:TIDIG_COMP_CNT: 0
	.section	.text._ZN7rocprim17ROCPRIM_400000_NS6detail17trampoline_kernelINS0_14default_configENS1_35adjacent_difference_config_selectorILb1ExEEZNS1_24adjacent_difference_implIS3_Lb1ELb0EPxS7_N6thrust23THRUST_200600_302600_NS5minusIxEEEE10hipError_tPvRmT2_T3_mT4_P12ihipStream_tbEUlT_E_NS1_11comp_targetILNS1_3genE9ELNS1_11target_archE1100ELNS1_3gpuE3ELNS1_3repE0EEENS1_30default_config_static_selectorELNS0_4arch9wavefront6targetE0EEEvT1_,"axG",@progbits,_ZN7rocprim17ROCPRIM_400000_NS6detail17trampoline_kernelINS0_14default_configENS1_35adjacent_difference_config_selectorILb1ExEEZNS1_24adjacent_difference_implIS3_Lb1ELb0EPxS7_N6thrust23THRUST_200600_302600_NS5minusIxEEEE10hipError_tPvRmT2_T3_mT4_P12ihipStream_tbEUlT_E_NS1_11comp_targetILNS1_3genE9ELNS1_11target_archE1100ELNS1_3gpuE3ELNS1_3repE0EEENS1_30default_config_static_selectorELNS0_4arch9wavefront6targetE0EEEvT1_,comdat
	.protected	_ZN7rocprim17ROCPRIM_400000_NS6detail17trampoline_kernelINS0_14default_configENS1_35adjacent_difference_config_selectorILb1ExEEZNS1_24adjacent_difference_implIS3_Lb1ELb0EPxS7_N6thrust23THRUST_200600_302600_NS5minusIxEEEE10hipError_tPvRmT2_T3_mT4_P12ihipStream_tbEUlT_E_NS1_11comp_targetILNS1_3genE9ELNS1_11target_archE1100ELNS1_3gpuE3ELNS1_3repE0EEENS1_30default_config_static_selectorELNS0_4arch9wavefront6targetE0EEEvT1_ ; -- Begin function _ZN7rocprim17ROCPRIM_400000_NS6detail17trampoline_kernelINS0_14default_configENS1_35adjacent_difference_config_selectorILb1ExEEZNS1_24adjacent_difference_implIS3_Lb1ELb0EPxS7_N6thrust23THRUST_200600_302600_NS5minusIxEEEE10hipError_tPvRmT2_T3_mT4_P12ihipStream_tbEUlT_E_NS1_11comp_targetILNS1_3genE9ELNS1_11target_archE1100ELNS1_3gpuE3ELNS1_3repE0EEENS1_30default_config_static_selectorELNS0_4arch9wavefront6targetE0EEEvT1_
	.globl	_ZN7rocprim17ROCPRIM_400000_NS6detail17trampoline_kernelINS0_14default_configENS1_35adjacent_difference_config_selectorILb1ExEEZNS1_24adjacent_difference_implIS3_Lb1ELb0EPxS7_N6thrust23THRUST_200600_302600_NS5minusIxEEEE10hipError_tPvRmT2_T3_mT4_P12ihipStream_tbEUlT_E_NS1_11comp_targetILNS1_3genE9ELNS1_11target_archE1100ELNS1_3gpuE3ELNS1_3repE0EEENS1_30default_config_static_selectorELNS0_4arch9wavefront6targetE0EEEvT1_
	.p2align	8
	.type	_ZN7rocprim17ROCPRIM_400000_NS6detail17trampoline_kernelINS0_14default_configENS1_35adjacent_difference_config_selectorILb1ExEEZNS1_24adjacent_difference_implIS3_Lb1ELb0EPxS7_N6thrust23THRUST_200600_302600_NS5minusIxEEEE10hipError_tPvRmT2_T3_mT4_P12ihipStream_tbEUlT_E_NS1_11comp_targetILNS1_3genE9ELNS1_11target_archE1100ELNS1_3gpuE3ELNS1_3repE0EEENS1_30default_config_static_selectorELNS0_4arch9wavefront6targetE0EEEvT1_,@function
_ZN7rocprim17ROCPRIM_400000_NS6detail17trampoline_kernelINS0_14default_configENS1_35adjacent_difference_config_selectorILb1ExEEZNS1_24adjacent_difference_implIS3_Lb1ELb0EPxS7_N6thrust23THRUST_200600_302600_NS5minusIxEEEE10hipError_tPvRmT2_T3_mT4_P12ihipStream_tbEUlT_E_NS1_11comp_targetILNS1_3genE9ELNS1_11target_archE1100ELNS1_3gpuE3ELNS1_3repE0EEENS1_30default_config_static_selectorELNS0_4arch9wavefront6targetE0EEEvT1_: ; @_ZN7rocprim17ROCPRIM_400000_NS6detail17trampoline_kernelINS0_14default_configENS1_35adjacent_difference_config_selectorILb1ExEEZNS1_24adjacent_difference_implIS3_Lb1ELb0EPxS7_N6thrust23THRUST_200600_302600_NS5minusIxEEEE10hipError_tPvRmT2_T3_mT4_P12ihipStream_tbEUlT_E_NS1_11comp_targetILNS1_3genE9ELNS1_11target_archE1100ELNS1_3gpuE3ELNS1_3repE0EEENS1_30default_config_static_selectorELNS0_4arch9wavefront6targetE0EEEvT1_
; %bb.0:
	s_load_b256 s[4:11], s[0:1], 0x0
	s_mov_b32 s2, 0x411a7a30
	s_mov_b32 s16, s15
	s_waitcnt lgkmcnt(0)
	s_lshl_b64 s[6:7], s[6:7], 3
	s_delay_alu instid0(SALU_CYCLE_1) | instskip(SKIP_4) | instid1(VALU_DEP_1)
	s_add_u32 s23, s4, s6
	s_addc_u32 s24, s5, s7
	s_add_u32 s2, 0x76, s2
	s_addc_u32 s3, 0, 0
	v_add_co_u32 v1, s2, 0x20000000, s2
	s_cmp_lg_u32 s2, 0
	s_addc_u32 s3, s3, 0x11a7b9
	s_delay_alu instid0(VALU_DEP_1) | instskip(SKIP_1) | instid1(VALU_DEP_1)
	v_readfirstlane_b32 s2, v1
	s_mul_i32 s4, s3, 0xfffff180
	s_mul_hi_u32 s5, s2, 0xfffff180
	s_mul_i32 s12, s2, 0xfffff180
	s_sub_i32 s5, s5, s2
	s_mul_hi_u32 s13, s2, s12
	s_add_i32 s5, s5, s4
	s_mul_hi_u32 s14, s3, s12
	s_mul_i32 s4, s3, s12
	s_mul_hi_u32 s12, s2, s5
	s_mul_i32 s2, s2, s5
	s_mul_hi_u32 s15, s3, s5
	s_add_u32 s2, s13, s2
	s_addc_u32 s12, 0, s12
	s_add_u32 s2, s2, s4
	s_mul_i32 s5, s3, s5
	s_addc_u32 s2, s12, s14
	s_addc_u32 s4, s15, 0
	s_add_u32 s2, s2, s5
	s_addc_u32 s4, 0, s4
	v_add_co_u32 v1, s2, v1, s2
	s_delay_alu instid0(VALU_DEP_1) | instskip(SKIP_1) | instid1(VALU_DEP_1)
	s_cmp_lg_u32 s2, 0
	s_addc_u32 s2, s3, s4
	v_readfirstlane_b32 s3, v1
	s_mul_i32 s5, s10, s2
	s_mul_hi_u32 s4, s10, s2
	s_mul_hi_u32 s12, s11, s2
	s_mul_i32 s2, s11, s2
	s_mul_hi_u32 s13, s10, s3
	s_mul_hi_u32 s14, s11, s3
	s_mul_i32 s3, s11, s3
	s_add_u32 s5, s13, s5
	s_addc_u32 s4, 0, s4
	s_add_u32 s3, s5, s3
	s_addc_u32 s3, s4, s14
	s_addc_u32 s4, s12, 0
	s_add_u32 s5, s3, s2
	s_addc_u32 s4, 0, s4
	s_mul_i32 s3, s5, 0xe80
	s_add_u32 s2, s5, 1
	v_sub_co_u32 v1, s3, s10, s3
	s_mul_hi_u32 s12, s5, 0xe80
	s_addc_u32 s13, s4, 0
	s_mul_i32 s14, s4, 0xe80
	s_delay_alu instid0(VALU_DEP_1)
	v_subrev_co_u32 v2, s15, 0xe80, v1
	s_add_u32 s17, s5, 2
	s_addc_u32 s18, s4, 0
	s_add_i32 s12, s12, s14
	s_cmp_lg_u32 s3, 0
	v_readfirstlane_b32 s3, v2
	s_subb_u32 s12, s11, s12
	s_cmp_lg_u32 s15, 0
	s_subb_u32 s14, s12, 0
	s_delay_alu instid0(VALU_DEP_1) | instskip(SKIP_4) | instid1(SALU_CYCLE_1)
	s_cmpk_gt_u32 s3, 0xe7f
	s_cselect_b32 s3, -1, 0
	s_cmp_eq_u32 s14, 0
	v_readfirstlane_b32 s14, v1
	s_cselect_b32 s3, s3, -1
	s_cmp_lg_u32 s3, 0
	s_cselect_b32 s15, s17, s2
	s_cselect_b32 s13, s18, s13
	s_cmpk_gt_u32 s14, 0xe7f
	s_mov_b32 s17, 0
	s_cselect_b32 s2, -1, 0
	s_cmp_eq_u32 s12, 0
	s_cselect_b32 s2, s2, -1
	s_delay_alu instid0(SALU_CYCLE_1)
	s_cmp_lg_u32 s2, 0
	s_load_b128 s[0:3], s[0:1], 0x28
	s_cselect_b32 s13, s13, s4
	s_cselect_b32 s12, s15, s5
	s_mul_i32 s4, s13, 0xe80
	s_mul_hi_u32 s5, s12, 0xe80
	s_mul_i32 s14, s12, 0xe80
	s_add_i32 s5, s5, s4
	s_sub_u32 s4, s10, s14
	s_subb_u32 s5, s11, s5
	s_delay_alu instid0(SALU_CYCLE_1) | instskip(SKIP_2) | instid1(SALU_CYCLE_1)
	s_cmp_lg_u64 s[4:5], 0
	s_mov_b32 s5, -1
	s_cselect_b32 s4, -1, 0
	v_cndmask_b32_e64 v1, 0, 1, s4
	s_delay_alu instid0(VALU_DEP_1) | instskip(NEXT) | instid1(VALU_DEP_1)
	v_readfirstlane_b32 s4, v1
	s_add_u32 s12, s12, s4
	s_addc_u32 s13, s13, 0
	s_waitcnt lgkmcnt(0)
	s_add_u32 s14, s2, s16
	s_addc_u32 s15, s3, 0
	s_add_u32 s18, s12, -1
	s_addc_u32 s19, s13, -1
	s_mul_i32 s4, s16, 0xe80
	v_cmp_ge_u64_e64 s22, s[14:15], s[18:19]
	s_mul_i32 s11, s18, 0xfffff180
	s_delay_alu instid0(VALU_DEP_1)
	s_and_b32 vcc_lo, exec_lo, s22
	s_cbranch_vccz .LBB280_60
; %bb.1:
	s_mov_b32 s5, s17
	s_add_i32 s25, s11, s10
	s_lshl_b64 s[20:21], s[4:5], 3
	s_mov_b32 s5, exec_lo
	s_add_u32 s20, s23, s20
	s_addc_u32 s21, s24, s21
                                        ; implicit-def: $vgpr1_vgpr2
	v_cmpx_gt_u32_e64 s25, v0
	s_cbranch_execz .LBB280_3
; %bb.2:
	v_lshlrev_b32_e32 v1, 3, v0
	global_load_b64 v[1:2], v1, s[20:21]
.LBB280_3:
	s_or_b32 exec_lo, exec_lo, s5
	v_or_b32_e32 v3, 0x80, v0
	s_delay_alu instid0(VALU_DEP_1)
	v_cmp_gt_u32_e32 vcc_lo, s25, v3
                                        ; implicit-def: $vgpr3_vgpr4
	s_and_saveexec_b32 s5, vcc_lo
	s_cbranch_execz .LBB280_5
; %bb.4:
	v_lshlrev_b32_e32 v3, 3, v0
	global_load_b64 v[3:4], v3, s[20:21] offset:1024
.LBB280_5:
	s_or_b32 exec_lo, exec_lo, s5
	v_or_b32_e32 v5, 0x100, v0
	s_delay_alu instid0(VALU_DEP_1)
	v_cmp_gt_u32_e32 vcc_lo, s25, v5
                                        ; implicit-def: $vgpr5_vgpr6
	s_and_saveexec_b32 s5, vcc_lo
	s_cbranch_execz .LBB280_7
; %bb.6:
	v_lshlrev_b32_e32 v5, 3, v0
	global_load_b64 v[5:6], v5, s[20:21] offset:2048
.LBB280_7:
	s_or_b32 exec_lo, exec_lo, s5
	v_or_b32_e32 v7, 0x180, v0
	s_delay_alu instid0(VALU_DEP_1)
	v_cmp_gt_u32_e32 vcc_lo, s25, v7
                                        ; implicit-def: $vgpr7_vgpr8
	s_and_saveexec_b32 s5, vcc_lo
	s_cbranch_execz .LBB280_9
; %bb.8:
	v_lshlrev_b32_e32 v7, 3, v0
	global_load_b64 v[7:8], v7, s[20:21] offset:3072
.LBB280_9:
	s_or_b32 exec_lo, exec_lo, s5
	v_or_b32_e32 v11, 0x200, v0
	s_mov_b32 s5, exec_lo
                                        ; implicit-def: $vgpr9_vgpr10
	s_delay_alu instid0(VALU_DEP_1)
	v_cmpx_gt_u32_e64 s25, v11
	s_cbranch_execz .LBB280_11
; %bb.10:
	v_lshlrev_b32_e32 v9, 3, v11
	global_load_b64 v[9:10], v9, s[20:21]
.LBB280_11:
	s_or_b32 exec_lo, exec_lo, s5
	v_or_b32_e32 v13, 0x280, v0
	s_mov_b32 s5, exec_lo
                                        ; implicit-def: $vgpr11_vgpr12
	s_delay_alu instid0(VALU_DEP_1)
	v_cmpx_gt_u32_e64 s25, v13
	s_cbranch_execz .LBB280_13
; %bb.12:
	v_lshlrev_b32_e32 v11, 3, v13
	global_load_b64 v[11:12], v11, s[20:21]
.LBB280_13:
	s_or_b32 exec_lo, exec_lo, s5
	v_or_b32_e32 v15, 0x300, v0
	s_mov_b32 s5, exec_lo
                                        ; implicit-def: $vgpr13_vgpr14
	s_delay_alu instid0(VALU_DEP_1)
	v_cmpx_gt_u32_e64 s25, v15
	s_cbranch_execz .LBB280_15
; %bb.14:
	v_lshlrev_b32_e32 v13, 3, v15
	global_load_b64 v[13:14], v13, s[20:21]
.LBB280_15:
	s_or_b32 exec_lo, exec_lo, s5
	v_or_b32_e32 v17, 0x380, v0
	s_mov_b32 s5, exec_lo
                                        ; implicit-def: $vgpr15_vgpr16
	s_delay_alu instid0(VALU_DEP_1)
	v_cmpx_gt_u32_e64 s25, v17
	s_cbranch_execz .LBB280_17
; %bb.16:
	v_lshlrev_b32_e32 v15, 3, v17
	global_load_b64 v[15:16], v15, s[20:21]
.LBB280_17:
	s_or_b32 exec_lo, exec_lo, s5
	v_or_b32_e32 v19, 0x400, v0
	s_mov_b32 s5, exec_lo
                                        ; implicit-def: $vgpr17_vgpr18
	s_delay_alu instid0(VALU_DEP_1)
	v_cmpx_gt_u32_e64 s25, v19
	s_cbranch_execz .LBB280_19
; %bb.18:
	v_lshlrev_b32_e32 v17, 3, v19
	global_load_b64 v[17:18], v17, s[20:21]
.LBB280_19:
	s_or_b32 exec_lo, exec_lo, s5
	v_or_b32_e32 v21, 0x480, v0
	s_mov_b32 s5, exec_lo
                                        ; implicit-def: $vgpr19_vgpr20
	s_delay_alu instid0(VALU_DEP_1)
	v_cmpx_gt_u32_e64 s25, v21
	s_cbranch_execz .LBB280_21
; %bb.20:
	v_lshlrev_b32_e32 v19, 3, v21
	global_load_b64 v[19:20], v19, s[20:21]
.LBB280_21:
	s_or_b32 exec_lo, exec_lo, s5
	v_or_b32_e32 v23, 0x500, v0
	s_mov_b32 s5, exec_lo
                                        ; implicit-def: $vgpr21_vgpr22
	s_delay_alu instid0(VALU_DEP_1)
	v_cmpx_gt_u32_e64 s25, v23
	s_cbranch_execz .LBB280_23
; %bb.22:
	v_lshlrev_b32_e32 v21, 3, v23
	global_load_b64 v[21:22], v21, s[20:21]
.LBB280_23:
	s_or_b32 exec_lo, exec_lo, s5
	v_or_b32_e32 v25, 0x580, v0
	s_mov_b32 s5, exec_lo
                                        ; implicit-def: $vgpr23_vgpr24
	s_delay_alu instid0(VALU_DEP_1)
	v_cmpx_gt_u32_e64 s25, v25
	s_cbranch_execz .LBB280_25
; %bb.24:
	v_lshlrev_b32_e32 v23, 3, v25
	global_load_b64 v[23:24], v23, s[20:21]
.LBB280_25:
	s_or_b32 exec_lo, exec_lo, s5
	v_or_b32_e32 v27, 0x600, v0
	s_mov_b32 s5, exec_lo
                                        ; implicit-def: $vgpr25_vgpr26
	s_delay_alu instid0(VALU_DEP_1)
	v_cmpx_gt_u32_e64 s25, v27
	s_cbranch_execz .LBB280_27
; %bb.26:
	v_lshlrev_b32_e32 v25, 3, v27
	global_load_b64 v[25:26], v25, s[20:21]
.LBB280_27:
	s_or_b32 exec_lo, exec_lo, s5
	v_or_b32_e32 v29, 0x680, v0
	s_mov_b32 s5, exec_lo
                                        ; implicit-def: $vgpr27_vgpr28
	s_delay_alu instid0(VALU_DEP_1)
	v_cmpx_gt_u32_e64 s25, v29
	s_cbranch_execz .LBB280_29
; %bb.28:
	v_lshlrev_b32_e32 v27, 3, v29
	global_load_b64 v[27:28], v27, s[20:21]
.LBB280_29:
	s_or_b32 exec_lo, exec_lo, s5
	v_or_b32_e32 v31, 0x700, v0
	s_mov_b32 s5, exec_lo
                                        ; implicit-def: $vgpr29_vgpr30
	s_delay_alu instid0(VALU_DEP_1)
	v_cmpx_gt_u32_e64 s25, v31
	s_cbranch_execz .LBB280_31
; %bb.30:
	v_lshlrev_b32_e32 v29, 3, v31
	global_load_b64 v[29:30], v29, s[20:21]
.LBB280_31:
	s_or_b32 exec_lo, exec_lo, s5
	v_or_b32_e32 v33, 0x780, v0
	s_mov_b32 s5, exec_lo
                                        ; implicit-def: $vgpr31_vgpr32
	s_delay_alu instid0(VALU_DEP_1)
	v_cmpx_gt_u32_e64 s25, v33
	s_cbranch_execz .LBB280_33
; %bb.32:
	v_lshlrev_b32_e32 v31, 3, v33
	global_load_b64 v[31:32], v31, s[20:21]
.LBB280_33:
	s_or_b32 exec_lo, exec_lo, s5
	v_or_b32_e32 v35, 0x800, v0
	s_mov_b32 s5, exec_lo
                                        ; implicit-def: $vgpr33_vgpr34
	s_delay_alu instid0(VALU_DEP_1)
	v_cmpx_gt_u32_e64 s25, v35
	s_cbranch_execz .LBB280_35
; %bb.34:
	v_lshlrev_b32_e32 v33, 3, v35
	global_load_b64 v[33:34], v33, s[20:21]
.LBB280_35:
	s_or_b32 exec_lo, exec_lo, s5
	v_or_b32_e32 v37, 0x880, v0
	s_mov_b32 s5, exec_lo
                                        ; implicit-def: $vgpr35_vgpr36
	s_delay_alu instid0(VALU_DEP_1)
	v_cmpx_gt_u32_e64 s25, v37
	s_cbranch_execz .LBB280_37
; %bb.36:
	v_lshlrev_b32_e32 v35, 3, v37
	global_load_b64 v[35:36], v35, s[20:21]
.LBB280_37:
	s_or_b32 exec_lo, exec_lo, s5
	v_or_b32_e32 v39, 0x900, v0
	s_mov_b32 s5, exec_lo
                                        ; implicit-def: $vgpr37_vgpr38
	s_delay_alu instid0(VALU_DEP_1)
	v_cmpx_gt_u32_e64 s25, v39
	s_cbranch_execz .LBB280_39
; %bb.38:
	v_lshlrev_b32_e32 v37, 3, v39
	global_load_b64 v[37:38], v37, s[20:21]
.LBB280_39:
	s_or_b32 exec_lo, exec_lo, s5
	v_or_b32_e32 v41, 0x980, v0
	s_mov_b32 s5, exec_lo
                                        ; implicit-def: $vgpr39_vgpr40
	s_delay_alu instid0(VALU_DEP_1)
	v_cmpx_gt_u32_e64 s25, v41
	s_cbranch_execz .LBB280_41
; %bb.40:
	v_lshlrev_b32_e32 v39, 3, v41
	global_load_b64 v[39:40], v39, s[20:21]
.LBB280_41:
	s_or_b32 exec_lo, exec_lo, s5
	v_or_b32_e32 v43, 0xa00, v0
	s_mov_b32 s5, exec_lo
                                        ; implicit-def: $vgpr41_vgpr42
	s_delay_alu instid0(VALU_DEP_1)
	v_cmpx_gt_u32_e64 s25, v43
	s_cbranch_execz .LBB280_43
; %bb.42:
	v_lshlrev_b32_e32 v41, 3, v43
	global_load_b64 v[41:42], v41, s[20:21]
.LBB280_43:
	s_or_b32 exec_lo, exec_lo, s5
	v_or_b32_e32 v45, 0xa80, v0
	s_mov_b32 s5, exec_lo
                                        ; implicit-def: $vgpr43_vgpr44
	s_delay_alu instid0(VALU_DEP_1)
	v_cmpx_gt_u32_e64 s25, v45
	s_cbranch_execz .LBB280_45
; %bb.44:
	v_lshlrev_b32_e32 v43, 3, v45
	global_load_b64 v[43:44], v43, s[20:21]
.LBB280_45:
	s_or_b32 exec_lo, exec_lo, s5
	v_or_b32_e32 v47, 0xb00, v0
	s_mov_b32 s5, exec_lo
                                        ; implicit-def: $vgpr45_vgpr46
	s_delay_alu instid0(VALU_DEP_1)
	v_cmpx_gt_u32_e64 s25, v47
	s_cbranch_execz .LBB280_47
; %bb.46:
	v_lshlrev_b32_e32 v45, 3, v47
	global_load_b64 v[45:46], v45, s[20:21]
.LBB280_47:
	s_or_b32 exec_lo, exec_lo, s5
	v_or_b32_e32 v49, 0xb80, v0
	s_mov_b32 s5, exec_lo
                                        ; implicit-def: $vgpr47_vgpr48
	s_delay_alu instid0(VALU_DEP_1)
	v_cmpx_gt_u32_e64 s25, v49
	s_cbranch_execz .LBB280_49
; %bb.48:
	v_lshlrev_b32_e32 v47, 3, v49
	global_load_b64 v[47:48], v47, s[20:21]
.LBB280_49:
	s_or_b32 exec_lo, exec_lo, s5
	v_or_b32_e32 v51, 0xc00, v0
	s_mov_b32 s5, exec_lo
                                        ; implicit-def: $vgpr49_vgpr50
	s_delay_alu instid0(VALU_DEP_1)
	v_cmpx_gt_u32_e64 s25, v51
	s_cbranch_execz .LBB280_51
; %bb.50:
	v_lshlrev_b32_e32 v49, 3, v51
	global_load_b64 v[49:50], v49, s[20:21]
.LBB280_51:
	s_or_b32 exec_lo, exec_lo, s5
	v_or_b32_e32 v53, 0xc80, v0
	s_mov_b32 s5, exec_lo
                                        ; implicit-def: $vgpr51_vgpr52
	s_delay_alu instid0(VALU_DEP_1)
	v_cmpx_gt_u32_e64 s25, v53
	s_cbranch_execz .LBB280_53
; %bb.52:
	v_lshlrev_b32_e32 v51, 3, v53
	global_load_b64 v[51:52], v51, s[20:21]
.LBB280_53:
	s_or_b32 exec_lo, exec_lo, s5
	v_or_b32_e32 v55, 0xd00, v0
	s_mov_b32 s5, exec_lo
                                        ; implicit-def: $vgpr53_vgpr54
	s_delay_alu instid0(VALU_DEP_1)
	v_cmpx_gt_u32_e64 s25, v55
	s_cbranch_execz .LBB280_55
; %bb.54:
	v_lshlrev_b32_e32 v53, 3, v55
	global_load_b64 v[53:54], v53, s[20:21]
.LBB280_55:
	s_or_b32 exec_lo, exec_lo, s5
	v_or_b32_e32 v57, 0xd80, v0
	s_mov_b32 s5, exec_lo
                                        ; implicit-def: $vgpr55_vgpr56
	s_delay_alu instid0(VALU_DEP_1)
	v_cmpx_gt_u32_e64 s25, v57
	s_cbranch_execz .LBB280_57
; %bb.56:
	v_lshlrev_b32_e32 v55, 3, v57
	global_load_b64 v[55:56], v55, s[20:21]
.LBB280_57:
	s_or_b32 exec_lo, exec_lo, s5
	v_or_b32_e32 v59, 0xe00, v0
	s_mov_b32 s5, exec_lo
                                        ; implicit-def: $vgpr57_vgpr58
	s_delay_alu instid0(VALU_DEP_1)
	v_cmpx_gt_u32_e64 s25, v59
	s_cbranch_execz .LBB280_59
; %bb.58:
	v_lshlrev_b32_e32 v57, 3, v59
	global_load_b64 v[57:58], v57, s[20:21]
.LBB280_59:
	s_or_b32 exec_lo, exec_lo, s5
	v_lshlrev_b32_e32 v59, 3, v0
	s_mov_b32 s5, 0
	s_waitcnt vmcnt(0)
	ds_store_2addr_stride64_b64 v59, v[1:2], v[3:4] offset1:2
	ds_store_2addr_stride64_b64 v59, v[5:6], v[7:8] offset0:4 offset1:6
	ds_store_2addr_stride64_b64 v59, v[9:10], v[11:12] offset0:8 offset1:10
	;; [unrolled: 1-line block ×13, first 2 shown]
	ds_store_b64 v59, v[57:58] offset:28672
	s_waitcnt lgkmcnt(0)
	s_barrier
.LBB280_60:
	v_lshlrev_b32_e32 v117, 3, v0
	s_and_b32 vcc_lo, exec_lo, s5
	s_cbranch_vccz .LBB280_62
; %bb.61:
	s_mov_b32 s5, 0
	s_delay_alu instid0(SALU_CYCLE_1) | instskip(NEXT) | instid1(SALU_CYCLE_1)
	s_lshl_b64 s[20:21], s[4:5], 3
	s_add_u32 s20, s23, s20
	s_addc_u32 s21, s24, s21
	v_add_co_u32 v49, s5, s20, v117
	s_delay_alu instid0(VALU_DEP_1)
	v_add_co_ci_u32_e64 v50, null, s21, 0, s5
	s_clause 0x3
	global_load_b64 v[1:2], v117, s[20:21]
	global_load_b64 v[3:4], v117, s[20:21] offset:1024
	global_load_b64 v[5:6], v117, s[20:21] offset:2048
	;; [unrolled: 1-line block ×3, first 2 shown]
	v_add_co_u32 v9, vcc_lo, 0x1000, v49
	v_add_co_ci_u32_e32 v10, vcc_lo, 0, v50, vcc_lo
	v_add_co_u32 v11, vcc_lo, v49, 0x2000
	v_add_co_ci_u32_e32 v12, vcc_lo, 0, v50, vcc_lo
	;; [unrolled: 2-line block ×10, first 2 shown]
	s_clause 0x18
	global_load_b64 v[15:16], v[11:12], off offset:-4096
	global_load_b64 v[17:18], v[9:10], off offset:1024
	global_load_b64 v[19:20], v[9:10], off offset:2048
	;; [unrolled: 1-line block ×12, first 2 shown]
	global_load_b64 v[11:12], v[11:12], off
	global_load_b64 v[43:44], v[25:26], off offset:-4096
	global_load_b64 v[25:26], v[25:26], off
	global_load_b64 v[45:46], v[39:40], off offset:-4096
	global_load_b64 v[39:40], v[39:40], off
	global_load_b64 v[51:52], v[41:42], off offset:1024
	global_load_b64 v[53:54], v[41:42], off offset:2048
	;; [unrolled: 1-line block ×6, first 2 shown]
	global_load_b64 v[49:50], v[49:50], off
	s_waitcnt vmcnt(27)
	ds_store_2addr_stride64_b64 v117, v[1:2], v[3:4] offset1:2
	s_waitcnt vmcnt(25)
	ds_store_2addr_stride64_b64 v117, v[5:6], v[7:8] offset0:4 offset1:6
	s_waitcnt vmcnt(23)
	ds_store_2addr_stride64_b64 v117, v[15:16], v[17:18] offset0:8 offset1:10
	;; [unrolled: 2-line block ×4, first 2 shown]
	ds_store_2addr_stride64_b64 v117, v[29:30], v[13:14] offset0:20 offset1:22
	s_waitcnt vmcnt(10)
	ds_store_2addr_stride64_b64 v117, v[43:44], v[31:32] offset0:24 offset1:26
	ds_store_2addr_stride64_b64 v117, v[33:34], v[23:24] offset0:28 offset1:30
	s_waitcnt vmcnt(9)
	ds_store_2addr_stride64_b64 v117, v[25:26], v[35:36] offset0:32 offset1:34
	;; [unrolled: 3-line block ×3, first 2 shown]
	s_waitcnt vmcnt(4)
	ds_store_2addr_stride64_b64 v117, v[53:54], v[41:42] offset0:44 offset1:46
	s_waitcnt vmcnt(3)
	ds_store_2addr_stride64_b64 v117, v[39:40], v[55:56] offset0:48 offset1:50
	;; [unrolled: 2-line block ×3, first 2 shown]
	s_waitcnt vmcnt(0)
	ds_store_b64 v117, v[49:50] offset:28672
	s_waitcnt lgkmcnt(0)
	s_barrier
.LBB280_62:
	v_mul_u32_u24_e32 v1, 29, v0
	buffer_gl0_inv
	s_cmp_eq_u64 s[14:15], 0
	v_lshlrev_b32_e32 v53, 3, v1
	ds_load_b64 v[57:58], v53 offset:224
	ds_load_2addr_b64 v[1:4], v53 offset0:26 offset1:27
	ds_load_2addr_b64 v[5:8], v53 offset0:24 offset1:25
	ds_load_2addr_b64 v[9:12], v53 offset1:1
	ds_load_2addr_b64 v[13:16], v53 offset0:2 offset1:3
	ds_load_2addr_b64 v[17:20], v53 offset0:4 offset1:5
	;; [unrolled: 1-line block ×11, first 2 shown]
	s_waitcnt lgkmcnt(0)
	s_barrier
	buffer_gl0_inv
	s_cbranch_scc1 .LBB280_67
; %bb.63:
	s_lshl_b64 s[2:3], s[2:3], 3
	s_delay_alu instid0(SALU_CYCLE_1) | instskip(SKIP_2) | instid1(SALU_CYCLE_1)
	s_add_u32 s2, s0, s2
	s_addc_u32 s3, s1, s3
	s_lshl_b64 s[0:1], s[16:17], 3
	s_add_u32 s0, s2, s0
	s_addc_u32 s1, s3, s1
	s_add_u32 s0, s0, -8
	s_addc_u32 s1, s1, -1
	s_cmp_eq_u64 s[14:15], s[18:19]
	s_load_b64 s[0:1], s[0:1], 0x0
	s_cbranch_scc1 .LBB280_68
; %bb.64:
	s_waitcnt lgkmcnt(0)
	v_dual_mov_b32 v60, s1 :: v_dual_mov_b32 v59, s0
	s_mov_b32 s2, 0
	s_mov_b32 s3, exec_lo
	ds_store_b64 v117, v[57:58]
	s_waitcnt lgkmcnt(0)
	s_barrier
	buffer_gl0_inv
	v_cmpx_ne_u32_e32 0, v0
	s_cbranch_execz .LBB280_66
; %bb.65:
	v_add_nc_u32_e32 v59, -8, v117
	ds_load_b64 v[59:60], v59
.LBB280_66:
	s_or_b32 exec_lo, exec_lo, s3
	s_waitcnt lgkmcnt(0)
	v_sub_co_u32 v59, vcc_lo, v9, v59
	v_sub_co_ci_u32_e32 v60, vcc_lo, v10, v60, vcc_lo
	s_branch .LBB280_69
.LBB280_67:
                                        ; implicit-def: $vgpr59_vgpr60
                                        ; implicit-def: $vgpr115_vgpr116
                                        ; implicit-def: $vgpr109_vgpr110
                                        ; implicit-def: $vgpr113_vgpr114
                                        ; implicit-def: $vgpr103_vgpr104
                                        ; implicit-def: $vgpr111_vgpr112
                                        ; implicit-def: $vgpr99_vgpr100
                                        ; implicit-def: $vgpr107_vgpr108
                                        ; implicit-def: $vgpr97_vgpr98
                                        ; implicit-def: $vgpr105_vgpr106
                                        ; implicit-def: $vgpr95_vgpr96
                                        ; implicit-def: $vgpr101_vgpr102
                                        ; implicit-def: $vgpr93_vgpr94
                                        ; implicit-def: $vgpr91_vgpr92
                                        ; implicit-def: $vgpr89_vgpr90
                                        ; implicit-def: $vgpr87_vgpr88
                                        ; implicit-def: $vgpr85_vgpr86
                                        ; implicit-def: $vgpr83_vgpr84
                                        ; implicit-def: $vgpr81_vgpr82
                                        ; implicit-def: $vgpr79_vgpr80
                                        ; implicit-def: $vgpr77_vgpr78
                                        ; implicit-def: $vgpr75_vgpr76
                                        ; implicit-def: $vgpr73_vgpr74
                                        ; implicit-def: $vgpr71_vgpr72
                                        ; implicit-def: $vgpr69_vgpr70
                                        ; implicit-def: $vgpr67_vgpr68
                                        ; implicit-def: $vgpr65_vgpr66
                                        ; implicit-def: $vgpr63_vgpr64
                                        ; implicit-def: $vgpr61_vgpr62
	s_branch .LBB280_74
.LBB280_68:
	s_mov_b32 s2, -1
                                        ; implicit-def: $vgpr59_vgpr60
.LBB280_69:
	v_dual_mov_b32 v116, v10 :: v_dual_mov_b32 v115, v9
	v_dual_mov_b32 v110, v12 :: v_dual_mov_b32 v109, v11
	;; [unrolled: 1-line block ×28, first 2 shown]
	s_and_b32 vcc_lo, exec_lo, s2
	s_cbranch_vccz .LBB280_73
; %bb.70:
	v_mul_u32_u24_e32 v109, 29, v0
	s_waitcnt lgkmcnt(0)
	v_dual_mov_b32 v60, s1 :: v_dual_mov_b32 v59, s0
	s_mov_b32 s0, exec_lo
	ds_store_b64 v117, v[57:58]
	s_waitcnt lgkmcnt(0)
	s_barrier
	buffer_gl0_inv
	v_cmpx_ne_u32_e32 0, v0
	s_cbranch_execz .LBB280_72
; %bb.71:
	v_add_nc_u32_e32 v59, -8, v117
	ds_load_b64 v[59:60], v59
.LBB280_72:
	s_or_b32 exec_lo, exec_lo, s0
	v_add_nc_u32_e32 v61, 28, v109
	s_mul_i32 s1, s14, 0xfffff180
	v_add_nc_u32_e32 v63, 26, v109
	s_add_i32 s1, s1, s10
	v_add_nc_u32_e32 v65, 25, v109
	v_cmp_gt_u32_e32 vcc_lo, s1, v61
	v_add_nc_u32_e32 v62, 27, v109
	v_add_nc_u32_e32 v67, 24, v109
	;; [unrolled: 1-line block ×4, first 2 shown]
	v_cndmask_b32_e32 v61, 0, v3, vcc_lo
	v_cmp_gt_u32_e64 s0, s1, v62
	v_cndmask_b32_e32 v62, 0, v4, vcc_lo
	v_cmp_gt_u32_e32 vcc_lo, s1, v63
	v_add_nc_u32_e32 v73, 21, v109
	v_add_nc_u32_e32 v75, 20, v109
	v_cndmask_b32_e64 v64, 0, v2, s0
	v_cndmask_b32_e64 v63, 0, v1, s0
	v_cndmask_b32_e32 v66, 0, v8, vcc_lo
	v_cmp_gt_u32_e64 s0, s1, v65
	v_cndmask_b32_e32 v65, 0, v7, vcc_lo
	v_cmp_gt_u32_e32 vcc_lo, s1, v67
	v_add_nc_u32_e32 v77, 19, v109
	v_add_nc_u32_e32 v79, 18, v109
	v_cndmask_b32_e64 v68, 0, v6, s0
	v_cndmask_b32_e64 v67, 0, v5, s0
	;; [unrolled: 8-line block ×3, first 2 shown]
	v_cndmask_b32_e32 v74, 0, v52, vcc_lo
	v_cmp_gt_u32_e64 s0, s1, v73
	v_dual_cndmask_b32 v73, 0, v51 :: v_dual_add_nc_u32 v98, 8, v109
	v_cmp_gt_u32_e32 vcc_lo, s1, v75
	v_add_nc_u32_e32 v85, 15, v109
	s_delay_alu instid0(VALU_DEP_4)
	v_cndmask_b32_e64 v76, 0, v50, s0
	v_cndmask_b32_e64 v75, 0, v49, s0
	v_cmp_gt_u32_e64 s0, s1, v77
	v_dual_cndmask_b32 v78, 0, v48 :: v_dual_cndmask_b32 v77, 0, v47
	v_add_nc_u32_e32 v104, 4, v109
	v_cmp_gt_u32_e32 vcc_lo, s1, v79
	s_delay_alu instid0(VALU_DEP_4)
	v_cndmask_b32_e64 v80, 0, v46, s0
	v_cndmask_b32_e64 v79, 0, v45, s0
	v_cmp_gt_u32_e64 s0, s1, v81
	v_dual_cndmask_b32 v82, 0, v44 :: v_dual_add_nc_u32 v87, 14, v109
	v_dual_cndmask_b32 v81, 0, v43 :: v_dual_add_nc_u32 v110, 2, v109
	v_cmp_gt_u32_e32 vcc_lo, s1, v83
	s_delay_alu instid0(VALU_DEP_4)
	v_cndmask_b32_e64 v84, 0, v42, s0
	v_cndmask_b32_e64 v83, 0, v41, s0
	v_cmp_gt_u32_e64 s0, s1, v85
	v_dual_cndmask_b32 v86, 0, v40 :: v_dual_add_nc_u32 v89, 13, v109
	v_cndmask_b32_e32 v85, 0, v39, vcc_lo
	v_cmp_gt_u32_e32 vcc_lo, s1, v87
	v_add_nc_u32_e32 v91, 12, v109
	v_cndmask_b32_e64 v88, 0, v38, s0
	v_cndmask_b32_e64 v87, 0, v37, s0
	v_cmp_gt_u32_e64 s0, s1, v89
	v_dual_cndmask_b32 v90, 0, v36 :: v_dual_cndmask_b32 v89, 0, v35
	v_add_nc_u32_e32 v93, 11, v109
	v_cmp_gt_u32_e32 vcc_lo, s1, v91
	v_add_nc_u32_e32 v95, 10, v109
	v_cndmask_b32_e64 v92, 0, v34, s0
	v_cndmask_b32_e64 v91, 0, v33, s0
	v_cmp_gt_u32_e64 s0, s1, v93
	v_dual_cndmask_b32 v94, 0, v32 :: v_dual_cndmask_b32 v93, 0, v31
	v_add_nc_u32_e32 v97, 9, v109
	v_cmp_gt_u32_e32 vcc_lo, s1, v95
	s_delay_alu instid0(VALU_DEP_4)
	v_cndmask_b32_e64 v102, 0, v30, s0
	v_cndmask_b32_e64 v101, 0, v29, s0
	v_add_nc_u32_e32 v99, 6, v109
	v_cmp_gt_u32_e64 s0, s1, v97
	v_dual_cndmask_b32 v96, 0, v28 :: v_dual_cndmask_b32 v95, 0, v27
	v_add_nc_u32_e32 v97, 7, v109
	v_cmp_gt_u32_e32 vcc_lo, s1, v98
	s_delay_alu instid0(VALU_DEP_4)
	v_cndmask_b32_e64 v106, 0, v26, s0
	v_cndmask_b32_e64 v105, 0, v25, s0
	v_add_nc_u32_e32 v103, 5, v109
	v_cmp_gt_u32_e64 s0, s1, v97
	v_dual_cndmask_b32 v98, 0, v24 :: v_dual_cndmask_b32 v97, 0, v23
	v_cmp_gt_u32_e32 vcc_lo, s1, v99
	v_add_nc_u32_e32 v115, 1, v109
	s_delay_alu instid0(VALU_DEP_4)
	v_cndmask_b32_e64 v108, 0, v22, s0
	v_cndmask_b32_e64 v107, 0, v21, s0
	v_cmp_gt_u32_e64 s0, s1, v103
	v_dual_cndmask_b32 v100, 0, v20 :: v_dual_cndmask_b32 v99, 0, v19
	v_add_nc_u32_e32 v103, 3, v109
	v_cmp_gt_u32_e32 vcc_lo, s1, v104
	s_delay_alu instid0(VALU_DEP_4) | instskip(SKIP_1) | instid1(VALU_DEP_4)
	v_cndmask_b32_e64 v112, 0, v18, s0
	v_cndmask_b32_e64 v111, 0, v17, s0
	v_cmp_gt_u32_e64 s0, s1, v103
	v_dual_cndmask_b32 v104, 0, v16 :: v_dual_cndmask_b32 v103, 0, v15
	v_cmp_gt_u32_e32 vcc_lo, s1, v109
	s_delay_alu instid0(VALU_DEP_3)
	v_cndmask_b32_e64 v114, 0, v14, s0
	v_cndmask_b32_e64 v113, 0, v13, s0
	v_cmp_gt_u32_e64 s0, s1, v110
	s_waitcnt lgkmcnt(0)
	v_cndmask_b32_e32 v59, 0, v59, vcc_lo
	v_cmp_gt_u32_e64 s1, s1, v115
	v_cndmask_b32_e32 v60, 0, v60, vcc_lo
	v_cndmask_b32_e64 v110, 0, v12, s0
	s_delay_alu instid0(VALU_DEP_4)
	v_sub_co_u32 v59, vcc_lo, v9, v59
	v_cndmask_b32_e64 v109, 0, v11, s0
	v_cndmask_b32_e64 v116, 0, v10, s1
	;; [unrolled: 1-line block ×3, first 2 shown]
	v_sub_co_ci_u32_e32 v60, vcc_lo, v10, v60, vcc_lo
.LBB280_73:
	s_waitcnt lgkmcnt(0)
	s_cbranch_execnz .LBB280_84
.LBB280_74:
	v_cmp_ne_u32_e32 vcc_lo, 0, v0
	s_cmp_eq_u64 s[12:13], 1
	s_cbranch_scc1 .LBB280_78
; %bb.75:
	v_dual_mov_b32 v60, v10 :: v_dual_mov_b32 v59, v9
	s_mov_b32 s0, 0
	ds_store_b64 v117, v[57:58]
	s_waitcnt lgkmcnt(0)
	s_barrier
	buffer_gl0_inv
	s_and_saveexec_b32 s1, vcc_lo
	s_cbranch_execz .LBB280_77
; %bb.76:
	v_add_nc_u32_e32 v59, -8, v117
	ds_load_b64 v[59:60], v59
	s_waitcnt lgkmcnt(0)
	v_sub_co_u32 v59, vcc_lo, v9, v59
	v_sub_co_ci_u32_e32 v60, vcc_lo, v10, v60, vcc_lo
.LBB280_77:
	s_or_b32 exec_lo, exec_lo, s1
	s_branch .LBB280_79
.LBB280_78:
	s_mov_b32 s0, -1
                                        ; implicit-def: $vgpr59_vgpr60
.LBB280_79:
	v_dual_mov_b32 v110, v12 :: v_dual_mov_b32 v109, v11
	v_dual_mov_b32 v114, v14 :: v_dual_mov_b32 v113, v13
	;; [unrolled: 1-line block ×27, first 2 shown]
	s_and_not1_b32 vcc_lo, exec_lo, s0
	s_cbranch_vccnz .LBB280_83
; %bb.80:
	v_mad_u32_u24 v59, v0, 29, 28
	v_mad_u32_u24 v60, v0, 29, 27
	;; [unrolled: 1-line block ×3, first 2 shown]
	v_mul_u32_u24_e32 v115, 29, v0
	ds_store_b64 v117, v[57:58]
	v_cmp_gt_u32_e32 vcc_lo, s10, v59
	v_mad_u32_u24 v59, v0, 29, 25
	v_cmp_gt_u32_e64 s0, s10, v60
	v_mad_u32_u24 v60, v0, 29, 24
	v_cmp_gt_u32_e64 s1, s10, v115
	v_dual_cndmask_b32 v62, 0, v4 :: v_dual_cndmask_b32 v61, 0, v3
	v_cmp_gt_u32_e32 vcc_lo, s10, v63
	v_cndmask_b32_e64 v64, 0, v2, s0
	v_cndmask_b32_e64 v63, 0, v1, s0
	v_cmp_gt_u32_e64 s0, s10, v59
	v_mad_u32_u24 v59, v0, 29, 23
	v_dual_cndmask_b32 v66, 0, v8 :: v_dual_cndmask_b32 v65, 0, v7
	v_cmp_gt_u32_e32 vcc_lo, s10, v60
	v_mad_u32_u24 v60, v0, 29, 22
	v_cndmask_b32_e64 v68, 0, v6, s0
	v_cndmask_b32_e64 v67, 0, v5, s0
	v_cmp_gt_u32_e64 s0, s10, v59
	v_mad_u32_u24 v59, v0, 29, 21
	v_dual_cndmask_b32 v70, 0, v56 :: v_dual_cndmask_b32 v69, 0, v55
	v_cmp_gt_u32_e32 vcc_lo, s10, v60
	v_mad_u32_u24 v60, v0, 29, 20
	v_cndmask_b32_e64 v72, 0, v54, s0
	v_cndmask_b32_e64 v71, 0, v53, s0
	v_cmp_gt_u32_e64 s0, s10, v59
	v_mad_u32_u24 v59, v0, 29, 19
	v_dual_cndmask_b32 v74, 0, v52 :: v_dual_cndmask_b32 v73, 0, v51
	v_cmp_gt_u32_e32 vcc_lo, s10, v60
	v_mad_u32_u24 v60, v0, 29, 18
	v_cndmask_b32_e64 v76, 0, v50, s0
	v_cndmask_b32_e64 v75, 0, v49, s0
	v_cmp_gt_u32_e64 s0, s10, v59
	v_mad_u32_u24 v59, v0, 29, 17
	v_dual_cndmask_b32 v78, 0, v48 :: v_dual_cndmask_b32 v77, 0, v47
	v_cmp_gt_u32_e32 vcc_lo, s10, v60
	v_mad_u32_u24 v60, v0, 29, 16
	v_cndmask_b32_e64 v80, 0, v46, s0
	v_cndmask_b32_e64 v79, 0, v45, s0
	v_cmp_gt_u32_e64 s0, s10, v59
	v_mad_u32_u24 v59, v0, 29, 15
	v_dual_cndmask_b32 v82, 0, v44 :: v_dual_cndmask_b32 v81, 0, v43
	v_cmp_gt_u32_e32 vcc_lo, s10, v60
	v_mad_u32_u24 v60, v0, 29, 14
	v_cndmask_b32_e64 v84, 0, v42, s0
	v_cndmask_b32_e64 v83, 0, v41, s0
	v_cmp_gt_u32_e64 s0, s10, v59
	v_mad_u32_u24 v59, v0, 29, 13
	v_dual_cndmask_b32 v86, 0, v40 :: v_dual_cndmask_b32 v85, 0, v39
	v_cmp_gt_u32_e32 vcc_lo, s10, v60
	v_mad_u32_u24 v60, v0, 29, 12
	v_cndmask_b32_e64 v88, 0, v38, s0
	v_cndmask_b32_e64 v87, 0, v37, s0
	v_cmp_gt_u32_e64 s0, s10, v59
	v_mad_u32_u24 v59, v0, 29, 11
	v_dual_cndmask_b32 v90, 0, v36 :: v_dual_cndmask_b32 v89, 0, v35
	v_cmp_gt_u32_e32 vcc_lo, s10, v60
	v_mad_u32_u24 v60, v0, 29, 10
	v_cndmask_b32_e64 v92, 0, v34, s0
	v_cndmask_b32_e64 v91, 0, v33, s0
	v_cmp_gt_u32_e64 s0, s10, v59
	v_mad_u32_u24 v59, v0, 29, 9
	v_dual_cndmask_b32 v94, 0, v32 :: v_dual_cndmask_b32 v93, 0, v31
	v_cmp_gt_u32_e32 vcc_lo, s10, v60
	v_mad_u32_u24 v60, v0, 29, 8
	v_cndmask_b32_e64 v102, 0, v30, s0
	v_cndmask_b32_e64 v101, 0, v29, s0
	v_cmp_gt_u32_e64 s0, s10, v59
	v_mad_u32_u24 v59, v0, 29, 7
	v_dual_cndmask_b32 v96, 0, v28 :: v_dual_cndmask_b32 v95, 0, v27
	v_cmp_gt_u32_e32 vcc_lo, s10, v60
	v_mad_u32_u24 v60, v0, 29, 6
	v_cndmask_b32_e64 v106, 0, v26, s0
	v_cndmask_b32_e64 v105, 0, v25, s0
	v_cmp_gt_u32_e64 s0, s10, v59
	v_mad_u32_u24 v59, v0, 29, 5
	v_dual_cndmask_b32 v98, 0, v24 :: v_dual_cndmask_b32 v97, 0, v23
	v_cmp_gt_u32_e32 vcc_lo, s10, v60
	v_mad_u32_u24 v60, v0, 29, 4
	v_cndmask_b32_e64 v108, 0, v22, s0
	v_cndmask_b32_e64 v107, 0, v21, s0
	v_cmp_gt_u32_e64 s0, s10, v59
	v_mad_u32_u24 v59, v0, 29, 3
	v_dual_cndmask_b32 v100, 0, v20 :: v_dual_cndmask_b32 v99, 0, v19
	v_cmp_gt_u32_e32 vcc_lo, s10, v60
	v_mad_u32_u24 v60, v0, 29, 2
	v_cndmask_b32_e64 v112, 0, v18, s0
	v_cndmask_b32_e64 v111, 0, v17, s0
	v_cmp_gt_u32_e64 s0, s10, v59
	v_mad_u32_u24 v59, v0, 29, 1
	v_dual_cndmask_b32 v104, 0, v16 :: v_dual_cndmask_b32 v103, 0, v15
	v_cmp_gt_u32_e32 vcc_lo, s10, v60
	s_delay_alu instid0(VALU_DEP_4)
	v_cndmask_b32_e64 v114, 0, v14, s0
	v_cndmask_b32_e64 v113, 0, v13, s0
	v_cmp_gt_u32_e64 s0, s10, v59
	s_waitcnt lgkmcnt(0)
	v_dual_cndmask_b32 v110, 0, v12 :: v_dual_cndmask_b32 v109, 0, v11
	v_cmp_ne_u32_e32 vcc_lo, 0, v0
	s_delay_alu instid0(VALU_DEP_3) | instskip(SKIP_4) | instid1(SALU_CYCLE_1)
	v_cndmask_b32_e64 v116, 0, v10, s0
	v_cndmask_b32_e64 v115, 0, v9, s0
	s_barrier
	buffer_gl0_inv
	s_and_b32 s1, vcc_lo, s1
	s_and_saveexec_b32 s0, s1
	s_cbranch_execz .LBB280_82
; %bb.81:
	v_add_nc_u32_e32 v59, -8, v117
	ds_load_b64 v[59:60], v59
	s_waitcnt lgkmcnt(0)
	v_sub_co_u32 v9, vcc_lo, v9, v59
	v_sub_co_ci_u32_e32 v10, vcc_lo, v10, v60, vcc_lo
.LBB280_82:
	s_or_b32 exec_lo, exec_lo, s0
	s_delay_alu instid0(VALU_DEP_1)
	v_dual_mov_b32 v60, v10 :: v_dual_mov_b32 v59, v9
	v_dual_mov_b32 v9, v115 :: v_dual_mov_b32 v10, v116
.LBB280_83:
	s_delay_alu instid0(VALU_DEP_1)
	v_dual_mov_b32 v116, v10 :: v_dual_mov_b32 v115, v9
.LBB280_84:
	s_delay_alu instid0(VALU_DEP_1) | instskip(NEXT) | instid1(VALU_DEP_2)
	v_sub_co_u32 v115, vcc_lo, v11, v115
	v_sub_co_ci_u32_e32 v116, vcc_lo, v12, v116, vcc_lo
	v_sub_co_u32 v109, vcc_lo, v13, v109
	v_sub_co_ci_u32_e32 v110, vcc_lo, v14, v110, vcc_lo
	;; [unrolled: 2-line block ×28, first 2 shown]
	v_mul_u32_u24_e32 v118, 0xe8, v0
	v_mul_i32_i24_e32 v119, 0xffffff20, v0
	s_add_u32 s1, s8, s6
	s_addc_u32 s0, s9, s7
	s_and_b32 vcc_lo, exec_lo, s22
	s_barrier
	buffer_gl0_inv
	s_cbranch_vccz .LBB280_142
; %bb.85:
	v_mad_u32_u24 v1, 0xe8, v0, v119
	ds_store_2addr_b64 v118, v[59:60], v[115:116] offset1:1
	ds_store_2addr_b64 v118, v[109:110], v[113:114] offset0:2 offset1:3
	ds_store_2addr_b64 v118, v[103:104], v[111:112] offset0:4 offset1:5
	;; [unrolled: 1-line block ×13, first 2 shown]
	ds_store_b64 v118, v[57:58] offset:224
	s_waitcnt lgkmcnt(0)
	s_barrier
	buffer_gl0_inv
	ds_load_2addr_stride64_b64 v[53:56], v1 offset0:2 offset1:4
	ds_load_2addr_stride64_b64 v[49:52], v1 offset0:6 offset1:8
	;; [unrolled: 1-line block ×14, first 2 shown]
	s_mov_b32 s5, 0
	s_add_i32 s11, s11, s10
	s_lshl_b64 s[2:3], s[4:5], 3
	s_delay_alu instid0(SALU_CYCLE_1) | instskip(SKIP_2) | instid1(VALU_DEP_1)
	s_add_u32 s2, s1, s2
	s_addc_u32 s3, s0, s3
	v_add_co_u32 v61, s2, s2, v117
	v_add_co_ci_u32_e64 v62, null, s3, 0, s2
	s_mov_b32 s2, exec_lo
	v_cmpx_gt_u32_e64 s11, v0
	s_cbranch_execz .LBB280_87
; %bb.86:
	v_add_nc_u32_e32 v120, v118, v119
	ds_load_b64 v[120:121], v120
	s_waitcnt lgkmcnt(0)
	global_store_b64 v[61:62], v[120:121], off
.LBB280_87:
	s_or_b32 exec_lo, exec_lo, s2
	v_or_b32_e32 v120, 0x80, v0
	s_mov_b32 s2, exec_lo
	s_delay_alu instid0(VALU_DEP_1)
	v_cmpx_gt_u32_e64 s11, v120
	s_cbranch_execz .LBB280_89
; %bb.88:
	s_waitcnt lgkmcnt(13)
	global_store_b64 v[61:62], v[53:54], off offset:1024
.LBB280_89:
	s_or_b32 exec_lo, exec_lo, s2
	s_waitcnt lgkmcnt(13)
	v_or_b32_e32 v53, 0x100, v0
	s_mov_b32 s2, exec_lo
	s_delay_alu instid0(VALU_DEP_1)
	v_cmpx_gt_u32_e64 s11, v53
	s_cbranch_execz .LBB280_91
; %bb.90:
	global_store_b64 v[61:62], v[55:56], off offset:2048
.LBB280_91:
	s_or_b32 exec_lo, exec_lo, s2
	v_or_b32_e32 v53, 0x180, v0
	s_mov_b32 s2, exec_lo
	s_delay_alu instid0(VALU_DEP_1)
	v_cmpx_gt_u32_e64 s11, v53
	s_cbranch_execz .LBB280_93
; %bb.92:
	s_waitcnt lgkmcnt(12)
	global_store_b64 v[61:62], v[49:50], off offset:3072
.LBB280_93:
	s_or_b32 exec_lo, exec_lo, s2
	s_waitcnt lgkmcnt(12)
	v_or_b32_e32 v49, 0x200, v0
	s_mov_b32 s2, exec_lo
	s_delay_alu instid0(VALU_DEP_1)
	v_cmpx_gt_u32_e64 s11, v49
	s_cbranch_execz .LBB280_95
; %bb.94:
	v_add_co_u32 v49, vcc_lo, 0x1000, v61
	v_add_co_ci_u32_e32 v50, vcc_lo, 0, v62, vcc_lo
	global_store_b64 v[49:50], v[51:52], off
.LBB280_95:
	s_or_b32 exec_lo, exec_lo, s2
	v_or_b32_e32 v49, 0x280, v0
	s_mov_b32 s2, exec_lo
	s_delay_alu instid0(VALU_DEP_1)
	v_cmpx_gt_u32_e64 s11, v49
	s_cbranch_execz .LBB280_97
; %bb.96:
	v_add_co_u32 v49, vcc_lo, 0x1000, v61
	v_add_co_ci_u32_e32 v50, vcc_lo, 0, v62, vcc_lo
	s_waitcnt lgkmcnt(11)
	global_store_b64 v[49:50], v[45:46], off offset:1024
.LBB280_97:
	s_or_b32 exec_lo, exec_lo, s2
	s_waitcnt lgkmcnt(11)
	v_or_b32_e32 v45, 0x300, v0
	s_mov_b32 s2, exec_lo
	s_delay_alu instid0(VALU_DEP_1)
	v_cmpx_gt_u32_e64 s11, v45
	s_cbranch_execz .LBB280_99
; %bb.98:
	v_add_co_u32 v45, vcc_lo, 0x1000, v61
	v_add_co_ci_u32_e32 v46, vcc_lo, 0, v62, vcc_lo
	global_store_b64 v[45:46], v[47:48], off offset:2048
.LBB280_99:
	s_or_b32 exec_lo, exec_lo, s2
	v_or_b32_e32 v45, 0x380, v0
	s_mov_b32 s2, exec_lo
	s_delay_alu instid0(VALU_DEP_1)
	v_cmpx_gt_u32_e64 s11, v45
	s_cbranch_execz .LBB280_101
; %bb.100:
	v_add_co_u32 v45, vcc_lo, 0x1000, v61
	v_add_co_ci_u32_e32 v46, vcc_lo, 0, v62, vcc_lo
	s_waitcnt lgkmcnt(10)
	global_store_b64 v[45:46], v[41:42], off offset:3072
.LBB280_101:
	s_or_b32 exec_lo, exec_lo, s2
	s_waitcnt lgkmcnt(10)
	v_or_b32_e32 v41, 0x400, v0
	s_mov_b32 s2, exec_lo
	s_delay_alu instid0(VALU_DEP_1)
	v_cmpx_gt_u32_e64 s11, v41
	s_cbranch_execz .LBB280_103
; %bb.102:
	v_add_co_u32 v41, vcc_lo, 0x2000, v61
	v_add_co_ci_u32_e32 v42, vcc_lo, 0, v62, vcc_lo
	global_store_b64 v[41:42], v[43:44], off
.LBB280_103:
	s_or_b32 exec_lo, exec_lo, s2
	v_or_b32_e32 v41, 0x480, v0
	s_mov_b32 s2, exec_lo
	s_delay_alu instid0(VALU_DEP_1)
	v_cmpx_gt_u32_e64 s11, v41
	s_cbranch_execz .LBB280_105
; %bb.104:
	v_add_co_u32 v41, vcc_lo, 0x2000, v61
	v_add_co_ci_u32_e32 v42, vcc_lo, 0, v62, vcc_lo
	s_waitcnt lgkmcnt(9)
	global_store_b64 v[41:42], v[37:38], off offset:1024
.LBB280_105:
	s_or_b32 exec_lo, exec_lo, s2
	s_waitcnt lgkmcnt(9)
	v_or_b32_e32 v37, 0x500, v0
	s_mov_b32 s2, exec_lo
	s_delay_alu instid0(VALU_DEP_1)
	v_cmpx_gt_u32_e64 s11, v37
	s_cbranch_execz .LBB280_107
; %bb.106:
	v_add_co_u32 v37, vcc_lo, 0x2000, v61
	v_add_co_ci_u32_e32 v38, vcc_lo, 0, v62, vcc_lo
	global_store_b64 v[37:38], v[39:40], off offset:2048
.LBB280_107:
	s_or_b32 exec_lo, exec_lo, s2
	v_or_b32_e32 v37, 0x580, v0
	s_mov_b32 s2, exec_lo
	s_delay_alu instid0(VALU_DEP_1)
	v_cmpx_gt_u32_e64 s11, v37
	s_cbranch_execz .LBB280_109
; %bb.108:
	v_add_co_u32 v37, vcc_lo, 0x2000, v61
	v_add_co_ci_u32_e32 v38, vcc_lo, 0, v62, vcc_lo
	s_waitcnt lgkmcnt(8)
	global_store_b64 v[37:38], v[33:34], off offset:3072
.LBB280_109:
	;; [unrolled: 48-line block ×6, first 2 shown]
	s_or_b32 exec_lo, exec_lo, s2
	s_waitcnt lgkmcnt(0)
	v_or_b32_e32 v1, 0xe00, v0
	s_delay_alu instid0(VALU_DEP_1)
	v_cmp_gt_u32_e64 s2, s11, v1
	s_branch .LBB280_144
.LBB280_142:
	s_mov_b32 s2, 0
                                        ; implicit-def: $vgpr3_vgpr4
                                        ; implicit-def: $vgpr61_vgpr62
	s_cbranch_execz .LBB280_144
; %bb.143:
	v_mad_u32_u24 v0, 0xe8, v0, v119
	ds_store_2addr_b64 v118, v[59:60], v[115:116] offset1:1
	ds_store_2addr_b64 v118, v[109:110], v[113:114] offset0:2 offset1:3
	ds_store_2addr_b64 v118, v[103:104], v[111:112] offset0:4 offset1:5
	;; [unrolled: 1-line block ×13, first 2 shown]
	ds_store_b64 v118, v[57:58] offset:224
	s_waitcnt lgkmcnt(0)
	s_waitcnt_vscnt null, 0x0
	s_barrier
	buffer_gl0_inv
	ds_load_2addr_stride64_b64 v[5:8], v0 offset1:2
	s_mov_b32 s5, 0
	ds_load_2addr_stride64_b64 v[9:12], v0 offset0:4 offset1:6
	ds_load_2addr_stride64_b64 v[13:16], v0 offset0:8 offset1:10
	;; [unrolled: 1-line block ×13, first 2 shown]
	ds_load_b64 v[3:4], v0 offset:28672
	s_lshl_b64 s[4:5], s[4:5], 3
	s_delay_alu instid0(SALU_CYCLE_1) | instskip(SKIP_2) | instid1(VALU_DEP_1)
	s_add_u32 s4, s1, s4
	s_addc_u32 s5, s0, s5
	v_add_co_u32 v61, s0, s4, v117
	v_add_co_ci_u32_e64 v62, null, s5, 0, s0
	s_or_b32 s2, s2, exec_lo
	s_delay_alu instid0(VALU_DEP_2) | instskip(NEXT) | instid1(VALU_DEP_2)
	v_add_co_u32 v0, vcc_lo, 0x1000, v61
	v_add_co_ci_u32_e32 v1, vcc_lo, 0, v62, vcc_lo
	s_waitcnt lgkmcnt(14)
	s_clause 0x1
	global_store_b64 v117, v[5:6], s[4:5]
	global_store_b64 v117, v[7:8], s[4:5] offset:1024
	s_waitcnt lgkmcnt(13)
	s_clause 0x1
	global_store_b64 v117, v[9:10], s[4:5] offset:2048
	global_store_b64 v117, v[11:12], s[4:5] offset:3072
	v_add_co_u32 v5, vcc_lo, v61, 0x2000
	v_add_co_ci_u32_e32 v6, vcc_lo, 0, v62, vcc_lo
	v_add_co_u32 v7, vcc_lo, 0x2000, v61
	v_add_co_ci_u32_e32 v8, vcc_lo, 0, v62, vcc_lo
	s_waitcnt lgkmcnt(10)
	s_clause 0x4
	global_store_b64 v[5:6], v[21:22], off
	global_store_b64 v[0:1], v[15:16], off offset:1024
	global_store_b64 v[0:1], v[17:18], off offset:2048
	;; [unrolled: 1-line block ×4, first 2 shown]
	v_add_co_u32 v0, vcc_lo, 0x3000, v61
	v_add_co_ci_u32_e32 v1, vcc_lo, 0, v62, vcc_lo
	v_add_co_u32 v9, vcc_lo, v61, 0x4000
	v_add_co_ci_u32_e32 v10, vcc_lo, 0, v62, vcc_lo
	;; [unrolled: 2-line block ×3, first 2 shown]
	s_waitcnt lgkmcnt(9)
	s_clause 0x1
	global_store_b64 v[7:8], v[25:26], off offset:2048
	global_store_b64 v[7:8], v[27:28], off offset:3072
	s_waitcnt lgkmcnt(8)
	global_store_b64 v[0:1], v[31:32], off offset:1024
	s_waitcnt lgkmcnt(7)
	s_clause 0x1
	global_store_b64 v[0:1], v[33:34], off offset:2048
	global_store_b64 v[0:1], v[35:36], off offset:3072
	s_waitcnt lgkmcnt(6)
	global_store_b64 v[11:12], v[39:40], off offset:1024
	s_waitcnt lgkmcnt(5)
	s_clause 0x1
	global_store_b64 v[11:12], v[41:42], off offset:2048
	global_store_b64 v[11:12], v[43:44], off offset:3072
	v_add_co_u32 v0, vcc_lo, 0x5000, v61
	v_add_co_ci_u32_e32 v1, vcc_lo, 0, v62, vcc_lo
	v_add_co_u32 v7, vcc_lo, v61, 0x6000
	v_add_co_ci_u32_e32 v8, vcc_lo, 0, v62, vcc_lo
	v_add_co_u32 v11, vcc_lo, 0x6000, v61
	v_add_co_ci_u32_e32 v12, vcc_lo, 0, v62, vcc_lo
	s_clause 0x1
	global_store_b64 v[9:10], v[29:30], off offset:-4096
	global_store_b64 v[9:10], v[37:38], off
	s_waitcnt lgkmcnt(4)
	global_store_b64 v[7:8], v[45:46], off offset:-4096
	s_waitcnt lgkmcnt(2)
	s_clause 0x4
	global_store_b64 v[7:8], v[53:54], off
	global_store_b64 v[0:1], v[47:48], off offset:1024
	global_store_b64 v[0:1], v[49:50], off offset:2048
	;; [unrolled: 1-line block ×4, first 2 shown]
	s_waitcnt lgkmcnt(1)
	s_clause 0x2
	global_store_b64 v[11:12], v[57:58], off offset:2048
	global_store_b64 v[5:6], v[13:14], off offset:-4096
	global_store_b64 v[11:12], v[59:60], off offset:3072
.LBB280_144:
	s_delay_alu instid0(VALU_DEP_1)
	s_and_saveexec_b32 s0, s2
	s_cbranch_execnz .LBB280_146
; %bb.145:
	s_nop 0
	s_sendmsg sendmsg(MSG_DEALLOC_VGPRS)
	s_endpgm
.LBB280_146:
	v_add_co_u32 v0, vcc_lo, 0x7000, v61
	v_add_co_ci_u32_e32 v1, vcc_lo, 0, v62, vcc_lo
	s_waitcnt lgkmcnt(0)
	global_store_b64 v[0:1], v[3:4], off
	s_nop 0
	s_sendmsg sendmsg(MSG_DEALLOC_VGPRS)
	s_endpgm
	.section	.rodata,"a",@progbits
	.p2align	6, 0x0
	.amdhsa_kernel _ZN7rocprim17ROCPRIM_400000_NS6detail17trampoline_kernelINS0_14default_configENS1_35adjacent_difference_config_selectorILb1ExEEZNS1_24adjacent_difference_implIS3_Lb1ELb0EPxS7_N6thrust23THRUST_200600_302600_NS5minusIxEEEE10hipError_tPvRmT2_T3_mT4_P12ihipStream_tbEUlT_E_NS1_11comp_targetILNS1_3genE9ELNS1_11target_archE1100ELNS1_3gpuE3ELNS1_3repE0EEENS1_30default_config_static_selectorELNS0_4arch9wavefront6targetE0EEEvT1_
		.amdhsa_group_segment_fixed_size 29696
		.amdhsa_private_segment_fixed_size 0
		.amdhsa_kernarg_size 56
		.amdhsa_user_sgpr_count 15
		.amdhsa_user_sgpr_dispatch_ptr 0
		.amdhsa_user_sgpr_queue_ptr 0
		.amdhsa_user_sgpr_kernarg_segment_ptr 1
		.amdhsa_user_sgpr_dispatch_id 0
		.amdhsa_user_sgpr_private_segment_size 0
		.amdhsa_wavefront_size32 1
		.amdhsa_uses_dynamic_stack 0
		.amdhsa_enable_private_segment 0
		.amdhsa_system_sgpr_workgroup_id_x 1
		.amdhsa_system_sgpr_workgroup_id_y 0
		.amdhsa_system_sgpr_workgroup_id_z 0
		.amdhsa_system_sgpr_workgroup_info 0
		.amdhsa_system_vgpr_workitem_id 0
		.amdhsa_next_free_vgpr 122
		.amdhsa_next_free_sgpr 26
		.amdhsa_reserve_vcc 1
		.amdhsa_float_round_mode_32 0
		.amdhsa_float_round_mode_16_64 0
		.amdhsa_float_denorm_mode_32 3
		.amdhsa_float_denorm_mode_16_64 3
		.amdhsa_dx10_clamp 1
		.amdhsa_ieee_mode 1
		.amdhsa_fp16_overflow 0
		.amdhsa_workgroup_processor_mode 1
		.amdhsa_memory_ordered 1
		.amdhsa_forward_progress 0
		.amdhsa_shared_vgpr_count 0
		.amdhsa_exception_fp_ieee_invalid_op 0
		.amdhsa_exception_fp_denorm_src 0
		.amdhsa_exception_fp_ieee_div_zero 0
		.amdhsa_exception_fp_ieee_overflow 0
		.amdhsa_exception_fp_ieee_underflow 0
		.amdhsa_exception_fp_ieee_inexact 0
		.amdhsa_exception_int_div_zero 0
	.end_amdhsa_kernel
	.section	.text._ZN7rocprim17ROCPRIM_400000_NS6detail17trampoline_kernelINS0_14default_configENS1_35adjacent_difference_config_selectorILb1ExEEZNS1_24adjacent_difference_implIS3_Lb1ELb0EPxS7_N6thrust23THRUST_200600_302600_NS5minusIxEEEE10hipError_tPvRmT2_T3_mT4_P12ihipStream_tbEUlT_E_NS1_11comp_targetILNS1_3genE9ELNS1_11target_archE1100ELNS1_3gpuE3ELNS1_3repE0EEENS1_30default_config_static_selectorELNS0_4arch9wavefront6targetE0EEEvT1_,"axG",@progbits,_ZN7rocprim17ROCPRIM_400000_NS6detail17trampoline_kernelINS0_14default_configENS1_35adjacent_difference_config_selectorILb1ExEEZNS1_24adjacent_difference_implIS3_Lb1ELb0EPxS7_N6thrust23THRUST_200600_302600_NS5minusIxEEEE10hipError_tPvRmT2_T3_mT4_P12ihipStream_tbEUlT_E_NS1_11comp_targetILNS1_3genE9ELNS1_11target_archE1100ELNS1_3gpuE3ELNS1_3repE0EEENS1_30default_config_static_selectorELNS0_4arch9wavefront6targetE0EEEvT1_,comdat
.Lfunc_end280:
	.size	_ZN7rocprim17ROCPRIM_400000_NS6detail17trampoline_kernelINS0_14default_configENS1_35adjacent_difference_config_selectorILb1ExEEZNS1_24adjacent_difference_implIS3_Lb1ELb0EPxS7_N6thrust23THRUST_200600_302600_NS5minusIxEEEE10hipError_tPvRmT2_T3_mT4_P12ihipStream_tbEUlT_E_NS1_11comp_targetILNS1_3genE9ELNS1_11target_archE1100ELNS1_3gpuE3ELNS1_3repE0EEENS1_30default_config_static_selectorELNS0_4arch9wavefront6targetE0EEEvT1_, .Lfunc_end280-_ZN7rocprim17ROCPRIM_400000_NS6detail17trampoline_kernelINS0_14default_configENS1_35adjacent_difference_config_selectorILb1ExEEZNS1_24adjacent_difference_implIS3_Lb1ELb0EPxS7_N6thrust23THRUST_200600_302600_NS5minusIxEEEE10hipError_tPvRmT2_T3_mT4_P12ihipStream_tbEUlT_E_NS1_11comp_targetILNS1_3genE9ELNS1_11target_archE1100ELNS1_3gpuE3ELNS1_3repE0EEENS1_30default_config_static_selectorELNS0_4arch9wavefront6targetE0EEEvT1_
                                        ; -- End function
	.section	.AMDGPU.csdata,"",@progbits
; Kernel info:
; codeLenInByte = 8248
; NumSgprs: 28
; NumVgprs: 122
; ScratchSize: 0
; MemoryBound: 0
; FloatMode: 240
; IeeeMode: 1
; LDSByteSize: 29696 bytes/workgroup (compile time only)
; SGPRBlocks: 3
; VGPRBlocks: 15
; NumSGPRsForWavesPerEU: 28
; NumVGPRsForWavesPerEU: 122
; Occupancy: 4
; WaveLimiterHint : 1
; COMPUTE_PGM_RSRC2:SCRATCH_EN: 0
; COMPUTE_PGM_RSRC2:USER_SGPR: 15
; COMPUTE_PGM_RSRC2:TRAP_HANDLER: 0
; COMPUTE_PGM_RSRC2:TGID_X_EN: 1
; COMPUTE_PGM_RSRC2:TGID_Y_EN: 0
; COMPUTE_PGM_RSRC2:TGID_Z_EN: 0
; COMPUTE_PGM_RSRC2:TIDIG_COMP_CNT: 0
	.section	.text._ZN7rocprim17ROCPRIM_400000_NS6detail17trampoline_kernelINS0_14default_configENS1_35adjacent_difference_config_selectorILb1ExEEZNS1_24adjacent_difference_implIS3_Lb1ELb0EPxS7_N6thrust23THRUST_200600_302600_NS5minusIxEEEE10hipError_tPvRmT2_T3_mT4_P12ihipStream_tbEUlT_E_NS1_11comp_targetILNS1_3genE8ELNS1_11target_archE1030ELNS1_3gpuE2ELNS1_3repE0EEENS1_30default_config_static_selectorELNS0_4arch9wavefront6targetE0EEEvT1_,"axG",@progbits,_ZN7rocprim17ROCPRIM_400000_NS6detail17trampoline_kernelINS0_14default_configENS1_35adjacent_difference_config_selectorILb1ExEEZNS1_24adjacent_difference_implIS3_Lb1ELb0EPxS7_N6thrust23THRUST_200600_302600_NS5minusIxEEEE10hipError_tPvRmT2_T3_mT4_P12ihipStream_tbEUlT_E_NS1_11comp_targetILNS1_3genE8ELNS1_11target_archE1030ELNS1_3gpuE2ELNS1_3repE0EEENS1_30default_config_static_selectorELNS0_4arch9wavefront6targetE0EEEvT1_,comdat
	.protected	_ZN7rocprim17ROCPRIM_400000_NS6detail17trampoline_kernelINS0_14default_configENS1_35adjacent_difference_config_selectorILb1ExEEZNS1_24adjacent_difference_implIS3_Lb1ELb0EPxS7_N6thrust23THRUST_200600_302600_NS5minusIxEEEE10hipError_tPvRmT2_T3_mT4_P12ihipStream_tbEUlT_E_NS1_11comp_targetILNS1_3genE8ELNS1_11target_archE1030ELNS1_3gpuE2ELNS1_3repE0EEENS1_30default_config_static_selectorELNS0_4arch9wavefront6targetE0EEEvT1_ ; -- Begin function _ZN7rocprim17ROCPRIM_400000_NS6detail17trampoline_kernelINS0_14default_configENS1_35adjacent_difference_config_selectorILb1ExEEZNS1_24adjacent_difference_implIS3_Lb1ELb0EPxS7_N6thrust23THRUST_200600_302600_NS5minusIxEEEE10hipError_tPvRmT2_T3_mT4_P12ihipStream_tbEUlT_E_NS1_11comp_targetILNS1_3genE8ELNS1_11target_archE1030ELNS1_3gpuE2ELNS1_3repE0EEENS1_30default_config_static_selectorELNS0_4arch9wavefront6targetE0EEEvT1_
	.globl	_ZN7rocprim17ROCPRIM_400000_NS6detail17trampoline_kernelINS0_14default_configENS1_35adjacent_difference_config_selectorILb1ExEEZNS1_24adjacent_difference_implIS3_Lb1ELb0EPxS7_N6thrust23THRUST_200600_302600_NS5minusIxEEEE10hipError_tPvRmT2_T3_mT4_P12ihipStream_tbEUlT_E_NS1_11comp_targetILNS1_3genE8ELNS1_11target_archE1030ELNS1_3gpuE2ELNS1_3repE0EEENS1_30default_config_static_selectorELNS0_4arch9wavefront6targetE0EEEvT1_
	.p2align	8
	.type	_ZN7rocprim17ROCPRIM_400000_NS6detail17trampoline_kernelINS0_14default_configENS1_35adjacent_difference_config_selectorILb1ExEEZNS1_24adjacent_difference_implIS3_Lb1ELb0EPxS7_N6thrust23THRUST_200600_302600_NS5minusIxEEEE10hipError_tPvRmT2_T3_mT4_P12ihipStream_tbEUlT_E_NS1_11comp_targetILNS1_3genE8ELNS1_11target_archE1030ELNS1_3gpuE2ELNS1_3repE0EEENS1_30default_config_static_selectorELNS0_4arch9wavefront6targetE0EEEvT1_,@function
_ZN7rocprim17ROCPRIM_400000_NS6detail17trampoline_kernelINS0_14default_configENS1_35adjacent_difference_config_selectorILb1ExEEZNS1_24adjacent_difference_implIS3_Lb1ELb0EPxS7_N6thrust23THRUST_200600_302600_NS5minusIxEEEE10hipError_tPvRmT2_T3_mT4_P12ihipStream_tbEUlT_E_NS1_11comp_targetILNS1_3genE8ELNS1_11target_archE1030ELNS1_3gpuE2ELNS1_3repE0EEENS1_30default_config_static_selectorELNS0_4arch9wavefront6targetE0EEEvT1_: ; @_ZN7rocprim17ROCPRIM_400000_NS6detail17trampoline_kernelINS0_14default_configENS1_35adjacent_difference_config_selectorILb1ExEEZNS1_24adjacent_difference_implIS3_Lb1ELb0EPxS7_N6thrust23THRUST_200600_302600_NS5minusIxEEEE10hipError_tPvRmT2_T3_mT4_P12ihipStream_tbEUlT_E_NS1_11comp_targetILNS1_3genE8ELNS1_11target_archE1030ELNS1_3gpuE2ELNS1_3repE0EEENS1_30default_config_static_selectorELNS0_4arch9wavefront6targetE0EEEvT1_
; %bb.0:
	.section	.rodata,"a",@progbits
	.p2align	6, 0x0
	.amdhsa_kernel _ZN7rocprim17ROCPRIM_400000_NS6detail17trampoline_kernelINS0_14default_configENS1_35adjacent_difference_config_selectorILb1ExEEZNS1_24adjacent_difference_implIS3_Lb1ELb0EPxS7_N6thrust23THRUST_200600_302600_NS5minusIxEEEE10hipError_tPvRmT2_T3_mT4_P12ihipStream_tbEUlT_E_NS1_11comp_targetILNS1_3genE8ELNS1_11target_archE1030ELNS1_3gpuE2ELNS1_3repE0EEENS1_30default_config_static_selectorELNS0_4arch9wavefront6targetE0EEEvT1_
		.amdhsa_group_segment_fixed_size 0
		.amdhsa_private_segment_fixed_size 0
		.amdhsa_kernarg_size 56
		.amdhsa_user_sgpr_count 15
		.amdhsa_user_sgpr_dispatch_ptr 0
		.amdhsa_user_sgpr_queue_ptr 0
		.amdhsa_user_sgpr_kernarg_segment_ptr 1
		.amdhsa_user_sgpr_dispatch_id 0
		.amdhsa_user_sgpr_private_segment_size 0
		.amdhsa_wavefront_size32 1
		.amdhsa_uses_dynamic_stack 0
		.amdhsa_enable_private_segment 0
		.amdhsa_system_sgpr_workgroup_id_x 1
		.amdhsa_system_sgpr_workgroup_id_y 0
		.amdhsa_system_sgpr_workgroup_id_z 0
		.amdhsa_system_sgpr_workgroup_info 0
		.amdhsa_system_vgpr_workitem_id 0
		.amdhsa_next_free_vgpr 1
		.amdhsa_next_free_sgpr 1
		.amdhsa_reserve_vcc 0
		.amdhsa_float_round_mode_32 0
		.amdhsa_float_round_mode_16_64 0
		.amdhsa_float_denorm_mode_32 3
		.amdhsa_float_denorm_mode_16_64 3
		.amdhsa_dx10_clamp 1
		.amdhsa_ieee_mode 1
		.amdhsa_fp16_overflow 0
		.amdhsa_workgroup_processor_mode 1
		.amdhsa_memory_ordered 1
		.amdhsa_forward_progress 0
		.amdhsa_shared_vgpr_count 0
		.amdhsa_exception_fp_ieee_invalid_op 0
		.amdhsa_exception_fp_denorm_src 0
		.amdhsa_exception_fp_ieee_div_zero 0
		.amdhsa_exception_fp_ieee_overflow 0
		.amdhsa_exception_fp_ieee_underflow 0
		.amdhsa_exception_fp_ieee_inexact 0
		.amdhsa_exception_int_div_zero 0
	.end_amdhsa_kernel
	.section	.text._ZN7rocprim17ROCPRIM_400000_NS6detail17trampoline_kernelINS0_14default_configENS1_35adjacent_difference_config_selectorILb1ExEEZNS1_24adjacent_difference_implIS3_Lb1ELb0EPxS7_N6thrust23THRUST_200600_302600_NS5minusIxEEEE10hipError_tPvRmT2_T3_mT4_P12ihipStream_tbEUlT_E_NS1_11comp_targetILNS1_3genE8ELNS1_11target_archE1030ELNS1_3gpuE2ELNS1_3repE0EEENS1_30default_config_static_selectorELNS0_4arch9wavefront6targetE0EEEvT1_,"axG",@progbits,_ZN7rocprim17ROCPRIM_400000_NS6detail17trampoline_kernelINS0_14default_configENS1_35adjacent_difference_config_selectorILb1ExEEZNS1_24adjacent_difference_implIS3_Lb1ELb0EPxS7_N6thrust23THRUST_200600_302600_NS5minusIxEEEE10hipError_tPvRmT2_T3_mT4_P12ihipStream_tbEUlT_E_NS1_11comp_targetILNS1_3genE8ELNS1_11target_archE1030ELNS1_3gpuE2ELNS1_3repE0EEENS1_30default_config_static_selectorELNS0_4arch9wavefront6targetE0EEEvT1_,comdat
.Lfunc_end281:
	.size	_ZN7rocprim17ROCPRIM_400000_NS6detail17trampoline_kernelINS0_14default_configENS1_35adjacent_difference_config_selectorILb1ExEEZNS1_24adjacent_difference_implIS3_Lb1ELb0EPxS7_N6thrust23THRUST_200600_302600_NS5minusIxEEEE10hipError_tPvRmT2_T3_mT4_P12ihipStream_tbEUlT_E_NS1_11comp_targetILNS1_3genE8ELNS1_11target_archE1030ELNS1_3gpuE2ELNS1_3repE0EEENS1_30default_config_static_selectorELNS0_4arch9wavefront6targetE0EEEvT1_, .Lfunc_end281-_ZN7rocprim17ROCPRIM_400000_NS6detail17trampoline_kernelINS0_14default_configENS1_35adjacent_difference_config_selectorILb1ExEEZNS1_24adjacent_difference_implIS3_Lb1ELb0EPxS7_N6thrust23THRUST_200600_302600_NS5minusIxEEEE10hipError_tPvRmT2_T3_mT4_P12ihipStream_tbEUlT_E_NS1_11comp_targetILNS1_3genE8ELNS1_11target_archE1030ELNS1_3gpuE2ELNS1_3repE0EEENS1_30default_config_static_selectorELNS0_4arch9wavefront6targetE0EEEvT1_
                                        ; -- End function
	.section	.AMDGPU.csdata,"",@progbits
; Kernel info:
; codeLenInByte = 0
; NumSgprs: 0
; NumVgprs: 0
; ScratchSize: 0
; MemoryBound: 0
; FloatMode: 240
; IeeeMode: 1
; LDSByteSize: 0 bytes/workgroup (compile time only)
; SGPRBlocks: 0
; VGPRBlocks: 0
; NumSGPRsForWavesPerEU: 1
; NumVGPRsForWavesPerEU: 1
; Occupancy: 16
; WaveLimiterHint : 0
; COMPUTE_PGM_RSRC2:SCRATCH_EN: 0
; COMPUTE_PGM_RSRC2:USER_SGPR: 15
; COMPUTE_PGM_RSRC2:TRAP_HANDLER: 0
; COMPUTE_PGM_RSRC2:TGID_X_EN: 1
; COMPUTE_PGM_RSRC2:TGID_Y_EN: 0
; COMPUTE_PGM_RSRC2:TGID_Z_EN: 0
; COMPUTE_PGM_RSRC2:TIDIG_COMP_CNT: 0
	.section	.text._ZN7rocprim17ROCPRIM_400000_NS6detail17trampoline_kernelINS0_14default_configENS1_35adjacent_difference_config_selectorILb0ExEEZNS1_24adjacent_difference_implIS3_Lb0ELb0EPxS7_N6thrust23THRUST_200600_302600_NS4plusIxEEEE10hipError_tPvRmT2_T3_mT4_P12ihipStream_tbEUlT_E_NS1_11comp_targetILNS1_3genE0ELNS1_11target_archE4294967295ELNS1_3gpuE0ELNS1_3repE0EEENS1_30default_config_static_selectorELNS0_4arch9wavefront6targetE0EEEvT1_,"axG",@progbits,_ZN7rocprim17ROCPRIM_400000_NS6detail17trampoline_kernelINS0_14default_configENS1_35adjacent_difference_config_selectorILb0ExEEZNS1_24adjacent_difference_implIS3_Lb0ELb0EPxS7_N6thrust23THRUST_200600_302600_NS4plusIxEEEE10hipError_tPvRmT2_T3_mT4_P12ihipStream_tbEUlT_E_NS1_11comp_targetILNS1_3genE0ELNS1_11target_archE4294967295ELNS1_3gpuE0ELNS1_3repE0EEENS1_30default_config_static_selectorELNS0_4arch9wavefront6targetE0EEEvT1_,comdat
	.protected	_ZN7rocprim17ROCPRIM_400000_NS6detail17trampoline_kernelINS0_14default_configENS1_35adjacent_difference_config_selectorILb0ExEEZNS1_24adjacent_difference_implIS3_Lb0ELb0EPxS7_N6thrust23THRUST_200600_302600_NS4plusIxEEEE10hipError_tPvRmT2_T3_mT4_P12ihipStream_tbEUlT_E_NS1_11comp_targetILNS1_3genE0ELNS1_11target_archE4294967295ELNS1_3gpuE0ELNS1_3repE0EEENS1_30default_config_static_selectorELNS0_4arch9wavefront6targetE0EEEvT1_ ; -- Begin function _ZN7rocprim17ROCPRIM_400000_NS6detail17trampoline_kernelINS0_14default_configENS1_35adjacent_difference_config_selectorILb0ExEEZNS1_24adjacent_difference_implIS3_Lb0ELb0EPxS7_N6thrust23THRUST_200600_302600_NS4plusIxEEEE10hipError_tPvRmT2_T3_mT4_P12ihipStream_tbEUlT_E_NS1_11comp_targetILNS1_3genE0ELNS1_11target_archE4294967295ELNS1_3gpuE0ELNS1_3repE0EEENS1_30default_config_static_selectorELNS0_4arch9wavefront6targetE0EEEvT1_
	.globl	_ZN7rocprim17ROCPRIM_400000_NS6detail17trampoline_kernelINS0_14default_configENS1_35adjacent_difference_config_selectorILb0ExEEZNS1_24adjacent_difference_implIS3_Lb0ELb0EPxS7_N6thrust23THRUST_200600_302600_NS4plusIxEEEE10hipError_tPvRmT2_T3_mT4_P12ihipStream_tbEUlT_E_NS1_11comp_targetILNS1_3genE0ELNS1_11target_archE4294967295ELNS1_3gpuE0ELNS1_3repE0EEENS1_30default_config_static_selectorELNS0_4arch9wavefront6targetE0EEEvT1_
	.p2align	8
	.type	_ZN7rocprim17ROCPRIM_400000_NS6detail17trampoline_kernelINS0_14default_configENS1_35adjacent_difference_config_selectorILb0ExEEZNS1_24adjacent_difference_implIS3_Lb0ELb0EPxS7_N6thrust23THRUST_200600_302600_NS4plusIxEEEE10hipError_tPvRmT2_T3_mT4_P12ihipStream_tbEUlT_E_NS1_11comp_targetILNS1_3genE0ELNS1_11target_archE4294967295ELNS1_3gpuE0ELNS1_3repE0EEENS1_30default_config_static_selectorELNS0_4arch9wavefront6targetE0EEEvT1_,@function
_ZN7rocprim17ROCPRIM_400000_NS6detail17trampoline_kernelINS0_14default_configENS1_35adjacent_difference_config_selectorILb0ExEEZNS1_24adjacent_difference_implIS3_Lb0ELb0EPxS7_N6thrust23THRUST_200600_302600_NS4plusIxEEEE10hipError_tPvRmT2_T3_mT4_P12ihipStream_tbEUlT_E_NS1_11comp_targetILNS1_3genE0ELNS1_11target_archE4294967295ELNS1_3gpuE0ELNS1_3repE0EEENS1_30default_config_static_selectorELNS0_4arch9wavefront6targetE0EEEvT1_: ; @_ZN7rocprim17ROCPRIM_400000_NS6detail17trampoline_kernelINS0_14default_configENS1_35adjacent_difference_config_selectorILb0ExEEZNS1_24adjacent_difference_implIS3_Lb0ELb0EPxS7_N6thrust23THRUST_200600_302600_NS4plusIxEEEE10hipError_tPvRmT2_T3_mT4_P12ihipStream_tbEUlT_E_NS1_11comp_targetILNS1_3genE0ELNS1_11target_archE4294967295ELNS1_3gpuE0ELNS1_3repE0EEENS1_30default_config_static_selectorELNS0_4arch9wavefront6targetE0EEEvT1_
; %bb.0:
	.section	.rodata,"a",@progbits
	.p2align	6, 0x0
	.amdhsa_kernel _ZN7rocprim17ROCPRIM_400000_NS6detail17trampoline_kernelINS0_14default_configENS1_35adjacent_difference_config_selectorILb0ExEEZNS1_24adjacent_difference_implIS3_Lb0ELb0EPxS7_N6thrust23THRUST_200600_302600_NS4plusIxEEEE10hipError_tPvRmT2_T3_mT4_P12ihipStream_tbEUlT_E_NS1_11comp_targetILNS1_3genE0ELNS1_11target_archE4294967295ELNS1_3gpuE0ELNS1_3repE0EEENS1_30default_config_static_selectorELNS0_4arch9wavefront6targetE0EEEvT1_
		.amdhsa_group_segment_fixed_size 0
		.amdhsa_private_segment_fixed_size 0
		.amdhsa_kernarg_size 56
		.amdhsa_user_sgpr_count 15
		.amdhsa_user_sgpr_dispatch_ptr 0
		.amdhsa_user_sgpr_queue_ptr 0
		.amdhsa_user_sgpr_kernarg_segment_ptr 1
		.amdhsa_user_sgpr_dispatch_id 0
		.amdhsa_user_sgpr_private_segment_size 0
		.amdhsa_wavefront_size32 1
		.amdhsa_uses_dynamic_stack 0
		.amdhsa_enable_private_segment 0
		.amdhsa_system_sgpr_workgroup_id_x 1
		.amdhsa_system_sgpr_workgroup_id_y 0
		.amdhsa_system_sgpr_workgroup_id_z 0
		.amdhsa_system_sgpr_workgroup_info 0
		.amdhsa_system_vgpr_workitem_id 0
		.amdhsa_next_free_vgpr 1
		.amdhsa_next_free_sgpr 1
		.amdhsa_reserve_vcc 0
		.amdhsa_float_round_mode_32 0
		.amdhsa_float_round_mode_16_64 0
		.amdhsa_float_denorm_mode_32 3
		.amdhsa_float_denorm_mode_16_64 3
		.amdhsa_dx10_clamp 1
		.amdhsa_ieee_mode 1
		.amdhsa_fp16_overflow 0
		.amdhsa_workgroup_processor_mode 1
		.amdhsa_memory_ordered 1
		.amdhsa_forward_progress 0
		.amdhsa_shared_vgpr_count 0
		.amdhsa_exception_fp_ieee_invalid_op 0
		.amdhsa_exception_fp_denorm_src 0
		.amdhsa_exception_fp_ieee_div_zero 0
		.amdhsa_exception_fp_ieee_overflow 0
		.amdhsa_exception_fp_ieee_underflow 0
		.amdhsa_exception_fp_ieee_inexact 0
		.amdhsa_exception_int_div_zero 0
	.end_amdhsa_kernel
	.section	.text._ZN7rocprim17ROCPRIM_400000_NS6detail17trampoline_kernelINS0_14default_configENS1_35adjacent_difference_config_selectorILb0ExEEZNS1_24adjacent_difference_implIS3_Lb0ELb0EPxS7_N6thrust23THRUST_200600_302600_NS4plusIxEEEE10hipError_tPvRmT2_T3_mT4_P12ihipStream_tbEUlT_E_NS1_11comp_targetILNS1_3genE0ELNS1_11target_archE4294967295ELNS1_3gpuE0ELNS1_3repE0EEENS1_30default_config_static_selectorELNS0_4arch9wavefront6targetE0EEEvT1_,"axG",@progbits,_ZN7rocprim17ROCPRIM_400000_NS6detail17trampoline_kernelINS0_14default_configENS1_35adjacent_difference_config_selectorILb0ExEEZNS1_24adjacent_difference_implIS3_Lb0ELb0EPxS7_N6thrust23THRUST_200600_302600_NS4plusIxEEEE10hipError_tPvRmT2_T3_mT4_P12ihipStream_tbEUlT_E_NS1_11comp_targetILNS1_3genE0ELNS1_11target_archE4294967295ELNS1_3gpuE0ELNS1_3repE0EEENS1_30default_config_static_selectorELNS0_4arch9wavefront6targetE0EEEvT1_,comdat
.Lfunc_end282:
	.size	_ZN7rocprim17ROCPRIM_400000_NS6detail17trampoline_kernelINS0_14default_configENS1_35adjacent_difference_config_selectorILb0ExEEZNS1_24adjacent_difference_implIS3_Lb0ELb0EPxS7_N6thrust23THRUST_200600_302600_NS4plusIxEEEE10hipError_tPvRmT2_T3_mT4_P12ihipStream_tbEUlT_E_NS1_11comp_targetILNS1_3genE0ELNS1_11target_archE4294967295ELNS1_3gpuE0ELNS1_3repE0EEENS1_30default_config_static_selectorELNS0_4arch9wavefront6targetE0EEEvT1_, .Lfunc_end282-_ZN7rocprim17ROCPRIM_400000_NS6detail17trampoline_kernelINS0_14default_configENS1_35adjacent_difference_config_selectorILb0ExEEZNS1_24adjacent_difference_implIS3_Lb0ELb0EPxS7_N6thrust23THRUST_200600_302600_NS4plusIxEEEE10hipError_tPvRmT2_T3_mT4_P12ihipStream_tbEUlT_E_NS1_11comp_targetILNS1_3genE0ELNS1_11target_archE4294967295ELNS1_3gpuE0ELNS1_3repE0EEENS1_30default_config_static_selectorELNS0_4arch9wavefront6targetE0EEEvT1_
                                        ; -- End function
	.section	.AMDGPU.csdata,"",@progbits
; Kernel info:
; codeLenInByte = 0
; NumSgprs: 0
; NumVgprs: 0
; ScratchSize: 0
; MemoryBound: 0
; FloatMode: 240
; IeeeMode: 1
; LDSByteSize: 0 bytes/workgroup (compile time only)
; SGPRBlocks: 0
; VGPRBlocks: 0
; NumSGPRsForWavesPerEU: 1
; NumVGPRsForWavesPerEU: 1
; Occupancy: 16
; WaveLimiterHint : 0
; COMPUTE_PGM_RSRC2:SCRATCH_EN: 0
; COMPUTE_PGM_RSRC2:USER_SGPR: 15
; COMPUTE_PGM_RSRC2:TRAP_HANDLER: 0
; COMPUTE_PGM_RSRC2:TGID_X_EN: 1
; COMPUTE_PGM_RSRC2:TGID_Y_EN: 0
; COMPUTE_PGM_RSRC2:TGID_Z_EN: 0
; COMPUTE_PGM_RSRC2:TIDIG_COMP_CNT: 0
	.section	.text._ZN7rocprim17ROCPRIM_400000_NS6detail17trampoline_kernelINS0_14default_configENS1_35adjacent_difference_config_selectorILb0ExEEZNS1_24adjacent_difference_implIS3_Lb0ELb0EPxS7_N6thrust23THRUST_200600_302600_NS4plusIxEEEE10hipError_tPvRmT2_T3_mT4_P12ihipStream_tbEUlT_E_NS1_11comp_targetILNS1_3genE10ELNS1_11target_archE1201ELNS1_3gpuE5ELNS1_3repE0EEENS1_30default_config_static_selectorELNS0_4arch9wavefront6targetE0EEEvT1_,"axG",@progbits,_ZN7rocprim17ROCPRIM_400000_NS6detail17trampoline_kernelINS0_14default_configENS1_35adjacent_difference_config_selectorILb0ExEEZNS1_24adjacent_difference_implIS3_Lb0ELb0EPxS7_N6thrust23THRUST_200600_302600_NS4plusIxEEEE10hipError_tPvRmT2_T3_mT4_P12ihipStream_tbEUlT_E_NS1_11comp_targetILNS1_3genE10ELNS1_11target_archE1201ELNS1_3gpuE5ELNS1_3repE0EEENS1_30default_config_static_selectorELNS0_4arch9wavefront6targetE0EEEvT1_,comdat
	.protected	_ZN7rocprim17ROCPRIM_400000_NS6detail17trampoline_kernelINS0_14default_configENS1_35adjacent_difference_config_selectorILb0ExEEZNS1_24adjacent_difference_implIS3_Lb0ELb0EPxS7_N6thrust23THRUST_200600_302600_NS4plusIxEEEE10hipError_tPvRmT2_T3_mT4_P12ihipStream_tbEUlT_E_NS1_11comp_targetILNS1_3genE10ELNS1_11target_archE1201ELNS1_3gpuE5ELNS1_3repE0EEENS1_30default_config_static_selectorELNS0_4arch9wavefront6targetE0EEEvT1_ ; -- Begin function _ZN7rocprim17ROCPRIM_400000_NS6detail17trampoline_kernelINS0_14default_configENS1_35adjacent_difference_config_selectorILb0ExEEZNS1_24adjacent_difference_implIS3_Lb0ELb0EPxS7_N6thrust23THRUST_200600_302600_NS4plusIxEEEE10hipError_tPvRmT2_T3_mT4_P12ihipStream_tbEUlT_E_NS1_11comp_targetILNS1_3genE10ELNS1_11target_archE1201ELNS1_3gpuE5ELNS1_3repE0EEENS1_30default_config_static_selectorELNS0_4arch9wavefront6targetE0EEEvT1_
	.globl	_ZN7rocprim17ROCPRIM_400000_NS6detail17trampoline_kernelINS0_14default_configENS1_35adjacent_difference_config_selectorILb0ExEEZNS1_24adjacent_difference_implIS3_Lb0ELb0EPxS7_N6thrust23THRUST_200600_302600_NS4plusIxEEEE10hipError_tPvRmT2_T3_mT4_P12ihipStream_tbEUlT_E_NS1_11comp_targetILNS1_3genE10ELNS1_11target_archE1201ELNS1_3gpuE5ELNS1_3repE0EEENS1_30default_config_static_selectorELNS0_4arch9wavefront6targetE0EEEvT1_
	.p2align	8
	.type	_ZN7rocprim17ROCPRIM_400000_NS6detail17trampoline_kernelINS0_14default_configENS1_35adjacent_difference_config_selectorILb0ExEEZNS1_24adjacent_difference_implIS3_Lb0ELb0EPxS7_N6thrust23THRUST_200600_302600_NS4plusIxEEEE10hipError_tPvRmT2_T3_mT4_P12ihipStream_tbEUlT_E_NS1_11comp_targetILNS1_3genE10ELNS1_11target_archE1201ELNS1_3gpuE5ELNS1_3repE0EEENS1_30default_config_static_selectorELNS0_4arch9wavefront6targetE0EEEvT1_,@function
_ZN7rocprim17ROCPRIM_400000_NS6detail17trampoline_kernelINS0_14default_configENS1_35adjacent_difference_config_selectorILb0ExEEZNS1_24adjacent_difference_implIS3_Lb0ELb0EPxS7_N6thrust23THRUST_200600_302600_NS4plusIxEEEE10hipError_tPvRmT2_T3_mT4_P12ihipStream_tbEUlT_E_NS1_11comp_targetILNS1_3genE10ELNS1_11target_archE1201ELNS1_3gpuE5ELNS1_3repE0EEENS1_30default_config_static_selectorELNS0_4arch9wavefront6targetE0EEEvT1_: ; @_ZN7rocprim17ROCPRIM_400000_NS6detail17trampoline_kernelINS0_14default_configENS1_35adjacent_difference_config_selectorILb0ExEEZNS1_24adjacent_difference_implIS3_Lb0ELb0EPxS7_N6thrust23THRUST_200600_302600_NS4plusIxEEEE10hipError_tPvRmT2_T3_mT4_P12ihipStream_tbEUlT_E_NS1_11comp_targetILNS1_3genE10ELNS1_11target_archE1201ELNS1_3gpuE5ELNS1_3repE0EEENS1_30default_config_static_selectorELNS0_4arch9wavefront6targetE0EEEvT1_
; %bb.0:
	.section	.rodata,"a",@progbits
	.p2align	6, 0x0
	.amdhsa_kernel _ZN7rocprim17ROCPRIM_400000_NS6detail17trampoline_kernelINS0_14default_configENS1_35adjacent_difference_config_selectorILb0ExEEZNS1_24adjacent_difference_implIS3_Lb0ELb0EPxS7_N6thrust23THRUST_200600_302600_NS4plusIxEEEE10hipError_tPvRmT2_T3_mT4_P12ihipStream_tbEUlT_E_NS1_11comp_targetILNS1_3genE10ELNS1_11target_archE1201ELNS1_3gpuE5ELNS1_3repE0EEENS1_30default_config_static_selectorELNS0_4arch9wavefront6targetE0EEEvT1_
		.amdhsa_group_segment_fixed_size 0
		.amdhsa_private_segment_fixed_size 0
		.amdhsa_kernarg_size 56
		.amdhsa_user_sgpr_count 15
		.amdhsa_user_sgpr_dispatch_ptr 0
		.amdhsa_user_sgpr_queue_ptr 0
		.amdhsa_user_sgpr_kernarg_segment_ptr 1
		.amdhsa_user_sgpr_dispatch_id 0
		.amdhsa_user_sgpr_private_segment_size 0
		.amdhsa_wavefront_size32 1
		.amdhsa_uses_dynamic_stack 0
		.amdhsa_enable_private_segment 0
		.amdhsa_system_sgpr_workgroup_id_x 1
		.amdhsa_system_sgpr_workgroup_id_y 0
		.amdhsa_system_sgpr_workgroup_id_z 0
		.amdhsa_system_sgpr_workgroup_info 0
		.amdhsa_system_vgpr_workitem_id 0
		.amdhsa_next_free_vgpr 1
		.amdhsa_next_free_sgpr 1
		.amdhsa_reserve_vcc 0
		.amdhsa_float_round_mode_32 0
		.amdhsa_float_round_mode_16_64 0
		.amdhsa_float_denorm_mode_32 3
		.amdhsa_float_denorm_mode_16_64 3
		.amdhsa_dx10_clamp 1
		.amdhsa_ieee_mode 1
		.amdhsa_fp16_overflow 0
		.amdhsa_workgroup_processor_mode 1
		.amdhsa_memory_ordered 1
		.amdhsa_forward_progress 0
		.amdhsa_shared_vgpr_count 0
		.amdhsa_exception_fp_ieee_invalid_op 0
		.amdhsa_exception_fp_denorm_src 0
		.amdhsa_exception_fp_ieee_div_zero 0
		.amdhsa_exception_fp_ieee_overflow 0
		.amdhsa_exception_fp_ieee_underflow 0
		.amdhsa_exception_fp_ieee_inexact 0
		.amdhsa_exception_int_div_zero 0
	.end_amdhsa_kernel
	.section	.text._ZN7rocprim17ROCPRIM_400000_NS6detail17trampoline_kernelINS0_14default_configENS1_35adjacent_difference_config_selectorILb0ExEEZNS1_24adjacent_difference_implIS3_Lb0ELb0EPxS7_N6thrust23THRUST_200600_302600_NS4plusIxEEEE10hipError_tPvRmT2_T3_mT4_P12ihipStream_tbEUlT_E_NS1_11comp_targetILNS1_3genE10ELNS1_11target_archE1201ELNS1_3gpuE5ELNS1_3repE0EEENS1_30default_config_static_selectorELNS0_4arch9wavefront6targetE0EEEvT1_,"axG",@progbits,_ZN7rocprim17ROCPRIM_400000_NS6detail17trampoline_kernelINS0_14default_configENS1_35adjacent_difference_config_selectorILb0ExEEZNS1_24adjacent_difference_implIS3_Lb0ELb0EPxS7_N6thrust23THRUST_200600_302600_NS4plusIxEEEE10hipError_tPvRmT2_T3_mT4_P12ihipStream_tbEUlT_E_NS1_11comp_targetILNS1_3genE10ELNS1_11target_archE1201ELNS1_3gpuE5ELNS1_3repE0EEENS1_30default_config_static_selectorELNS0_4arch9wavefront6targetE0EEEvT1_,comdat
.Lfunc_end283:
	.size	_ZN7rocprim17ROCPRIM_400000_NS6detail17trampoline_kernelINS0_14default_configENS1_35adjacent_difference_config_selectorILb0ExEEZNS1_24adjacent_difference_implIS3_Lb0ELb0EPxS7_N6thrust23THRUST_200600_302600_NS4plusIxEEEE10hipError_tPvRmT2_T3_mT4_P12ihipStream_tbEUlT_E_NS1_11comp_targetILNS1_3genE10ELNS1_11target_archE1201ELNS1_3gpuE5ELNS1_3repE0EEENS1_30default_config_static_selectorELNS0_4arch9wavefront6targetE0EEEvT1_, .Lfunc_end283-_ZN7rocprim17ROCPRIM_400000_NS6detail17trampoline_kernelINS0_14default_configENS1_35adjacent_difference_config_selectorILb0ExEEZNS1_24adjacent_difference_implIS3_Lb0ELb0EPxS7_N6thrust23THRUST_200600_302600_NS4plusIxEEEE10hipError_tPvRmT2_T3_mT4_P12ihipStream_tbEUlT_E_NS1_11comp_targetILNS1_3genE10ELNS1_11target_archE1201ELNS1_3gpuE5ELNS1_3repE0EEENS1_30default_config_static_selectorELNS0_4arch9wavefront6targetE0EEEvT1_
                                        ; -- End function
	.section	.AMDGPU.csdata,"",@progbits
; Kernel info:
; codeLenInByte = 0
; NumSgprs: 0
; NumVgprs: 0
; ScratchSize: 0
; MemoryBound: 0
; FloatMode: 240
; IeeeMode: 1
; LDSByteSize: 0 bytes/workgroup (compile time only)
; SGPRBlocks: 0
; VGPRBlocks: 0
; NumSGPRsForWavesPerEU: 1
; NumVGPRsForWavesPerEU: 1
; Occupancy: 16
; WaveLimiterHint : 0
; COMPUTE_PGM_RSRC2:SCRATCH_EN: 0
; COMPUTE_PGM_RSRC2:USER_SGPR: 15
; COMPUTE_PGM_RSRC2:TRAP_HANDLER: 0
; COMPUTE_PGM_RSRC2:TGID_X_EN: 1
; COMPUTE_PGM_RSRC2:TGID_Y_EN: 0
; COMPUTE_PGM_RSRC2:TGID_Z_EN: 0
; COMPUTE_PGM_RSRC2:TIDIG_COMP_CNT: 0
	.section	.text._ZN7rocprim17ROCPRIM_400000_NS6detail17trampoline_kernelINS0_14default_configENS1_35adjacent_difference_config_selectorILb0ExEEZNS1_24adjacent_difference_implIS3_Lb0ELb0EPxS7_N6thrust23THRUST_200600_302600_NS4plusIxEEEE10hipError_tPvRmT2_T3_mT4_P12ihipStream_tbEUlT_E_NS1_11comp_targetILNS1_3genE5ELNS1_11target_archE942ELNS1_3gpuE9ELNS1_3repE0EEENS1_30default_config_static_selectorELNS0_4arch9wavefront6targetE0EEEvT1_,"axG",@progbits,_ZN7rocprim17ROCPRIM_400000_NS6detail17trampoline_kernelINS0_14default_configENS1_35adjacent_difference_config_selectorILb0ExEEZNS1_24adjacent_difference_implIS3_Lb0ELb0EPxS7_N6thrust23THRUST_200600_302600_NS4plusIxEEEE10hipError_tPvRmT2_T3_mT4_P12ihipStream_tbEUlT_E_NS1_11comp_targetILNS1_3genE5ELNS1_11target_archE942ELNS1_3gpuE9ELNS1_3repE0EEENS1_30default_config_static_selectorELNS0_4arch9wavefront6targetE0EEEvT1_,comdat
	.protected	_ZN7rocprim17ROCPRIM_400000_NS6detail17trampoline_kernelINS0_14default_configENS1_35adjacent_difference_config_selectorILb0ExEEZNS1_24adjacent_difference_implIS3_Lb0ELb0EPxS7_N6thrust23THRUST_200600_302600_NS4plusIxEEEE10hipError_tPvRmT2_T3_mT4_P12ihipStream_tbEUlT_E_NS1_11comp_targetILNS1_3genE5ELNS1_11target_archE942ELNS1_3gpuE9ELNS1_3repE0EEENS1_30default_config_static_selectorELNS0_4arch9wavefront6targetE0EEEvT1_ ; -- Begin function _ZN7rocprim17ROCPRIM_400000_NS6detail17trampoline_kernelINS0_14default_configENS1_35adjacent_difference_config_selectorILb0ExEEZNS1_24adjacent_difference_implIS3_Lb0ELb0EPxS7_N6thrust23THRUST_200600_302600_NS4plusIxEEEE10hipError_tPvRmT2_T3_mT4_P12ihipStream_tbEUlT_E_NS1_11comp_targetILNS1_3genE5ELNS1_11target_archE942ELNS1_3gpuE9ELNS1_3repE0EEENS1_30default_config_static_selectorELNS0_4arch9wavefront6targetE0EEEvT1_
	.globl	_ZN7rocprim17ROCPRIM_400000_NS6detail17trampoline_kernelINS0_14default_configENS1_35adjacent_difference_config_selectorILb0ExEEZNS1_24adjacent_difference_implIS3_Lb0ELb0EPxS7_N6thrust23THRUST_200600_302600_NS4plusIxEEEE10hipError_tPvRmT2_T3_mT4_P12ihipStream_tbEUlT_E_NS1_11comp_targetILNS1_3genE5ELNS1_11target_archE942ELNS1_3gpuE9ELNS1_3repE0EEENS1_30default_config_static_selectorELNS0_4arch9wavefront6targetE0EEEvT1_
	.p2align	8
	.type	_ZN7rocprim17ROCPRIM_400000_NS6detail17trampoline_kernelINS0_14default_configENS1_35adjacent_difference_config_selectorILb0ExEEZNS1_24adjacent_difference_implIS3_Lb0ELb0EPxS7_N6thrust23THRUST_200600_302600_NS4plusIxEEEE10hipError_tPvRmT2_T3_mT4_P12ihipStream_tbEUlT_E_NS1_11comp_targetILNS1_3genE5ELNS1_11target_archE942ELNS1_3gpuE9ELNS1_3repE0EEENS1_30default_config_static_selectorELNS0_4arch9wavefront6targetE0EEEvT1_,@function
_ZN7rocprim17ROCPRIM_400000_NS6detail17trampoline_kernelINS0_14default_configENS1_35adjacent_difference_config_selectorILb0ExEEZNS1_24adjacent_difference_implIS3_Lb0ELb0EPxS7_N6thrust23THRUST_200600_302600_NS4plusIxEEEE10hipError_tPvRmT2_T3_mT4_P12ihipStream_tbEUlT_E_NS1_11comp_targetILNS1_3genE5ELNS1_11target_archE942ELNS1_3gpuE9ELNS1_3repE0EEENS1_30default_config_static_selectorELNS0_4arch9wavefront6targetE0EEEvT1_: ; @_ZN7rocprim17ROCPRIM_400000_NS6detail17trampoline_kernelINS0_14default_configENS1_35adjacent_difference_config_selectorILb0ExEEZNS1_24adjacent_difference_implIS3_Lb0ELb0EPxS7_N6thrust23THRUST_200600_302600_NS4plusIxEEEE10hipError_tPvRmT2_T3_mT4_P12ihipStream_tbEUlT_E_NS1_11comp_targetILNS1_3genE5ELNS1_11target_archE942ELNS1_3gpuE9ELNS1_3repE0EEENS1_30default_config_static_selectorELNS0_4arch9wavefront6targetE0EEEvT1_
; %bb.0:
	.section	.rodata,"a",@progbits
	.p2align	6, 0x0
	.amdhsa_kernel _ZN7rocprim17ROCPRIM_400000_NS6detail17trampoline_kernelINS0_14default_configENS1_35adjacent_difference_config_selectorILb0ExEEZNS1_24adjacent_difference_implIS3_Lb0ELb0EPxS7_N6thrust23THRUST_200600_302600_NS4plusIxEEEE10hipError_tPvRmT2_T3_mT4_P12ihipStream_tbEUlT_E_NS1_11comp_targetILNS1_3genE5ELNS1_11target_archE942ELNS1_3gpuE9ELNS1_3repE0EEENS1_30default_config_static_selectorELNS0_4arch9wavefront6targetE0EEEvT1_
		.amdhsa_group_segment_fixed_size 0
		.amdhsa_private_segment_fixed_size 0
		.amdhsa_kernarg_size 56
		.amdhsa_user_sgpr_count 15
		.amdhsa_user_sgpr_dispatch_ptr 0
		.amdhsa_user_sgpr_queue_ptr 0
		.amdhsa_user_sgpr_kernarg_segment_ptr 1
		.amdhsa_user_sgpr_dispatch_id 0
		.amdhsa_user_sgpr_private_segment_size 0
		.amdhsa_wavefront_size32 1
		.amdhsa_uses_dynamic_stack 0
		.amdhsa_enable_private_segment 0
		.amdhsa_system_sgpr_workgroup_id_x 1
		.amdhsa_system_sgpr_workgroup_id_y 0
		.amdhsa_system_sgpr_workgroup_id_z 0
		.amdhsa_system_sgpr_workgroup_info 0
		.amdhsa_system_vgpr_workitem_id 0
		.amdhsa_next_free_vgpr 1
		.amdhsa_next_free_sgpr 1
		.amdhsa_reserve_vcc 0
		.amdhsa_float_round_mode_32 0
		.amdhsa_float_round_mode_16_64 0
		.amdhsa_float_denorm_mode_32 3
		.amdhsa_float_denorm_mode_16_64 3
		.amdhsa_dx10_clamp 1
		.amdhsa_ieee_mode 1
		.amdhsa_fp16_overflow 0
		.amdhsa_workgroup_processor_mode 1
		.amdhsa_memory_ordered 1
		.amdhsa_forward_progress 0
		.amdhsa_shared_vgpr_count 0
		.amdhsa_exception_fp_ieee_invalid_op 0
		.amdhsa_exception_fp_denorm_src 0
		.amdhsa_exception_fp_ieee_div_zero 0
		.amdhsa_exception_fp_ieee_overflow 0
		.amdhsa_exception_fp_ieee_underflow 0
		.amdhsa_exception_fp_ieee_inexact 0
		.amdhsa_exception_int_div_zero 0
	.end_amdhsa_kernel
	.section	.text._ZN7rocprim17ROCPRIM_400000_NS6detail17trampoline_kernelINS0_14default_configENS1_35adjacent_difference_config_selectorILb0ExEEZNS1_24adjacent_difference_implIS3_Lb0ELb0EPxS7_N6thrust23THRUST_200600_302600_NS4plusIxEEEE10hipError_tPvRmT2_T3_mT4_P12ihipStream_tbEUlT_E_NS1_11comp_targetILNS1_3genE5ELNS1_11target_archE942ELNS1_3gpuE9ELNS1_3repE0EEENS1_30default_config_static_selectorELNS0_4arch9wavefront6targetE0EEEvT1_,"axG",@progbits,_ZN7rocprim17ROCPRIM_400000_NS6detail17trampoline_kernelINS0_14default_configENS1_35adjacent_difference_config_selectorILb0ExEEZNS1_24adjacent_difference_implIS3_Lb0ELb0EPxS7_N6thrust23THRUST_200600_302600_NS4plusIxEEEE10hipError_tPvRmT2_T3_mT4_P12ihipStream_tbEUlT_E_NS1_11comp_targetILNS1_3genE5ELNS1_11target_archE942ELNS1_3gpuE9ELNS1_3repE0EEENS1_30default_config_static_selectorELNS0_4arch9wavefront6targetE0EEEvT1_,comdat
.Lfunc_end284:
	.size	_ZN7rocprim17ROCPRIM_400000_NS6detail17trampoline_kernelINS0_14default_configENS1_35adjacent_difference_config_selectorILb0ExEEZNS1_24adjacent_difference_implIS3_Lb0ELb0EPxS7_N6thrust23THRUST_200600_302600_NS4plusIxEEEE10hipError_tPvRmT2_T3_mT4_P12ihipStream_tbEUlT_E_NS1_11comp_targetILNS1_3genE5ELNS1_11target_archE942ELNS1_3gpuE9ELNS1_3repE0EEENS1_30default_config_static_selectorELNS0_4arch9wavefront6targetE0EEEvT1_, .Lfunc_end284-_ZN7rocprim17ROCPRIM_400000_NS6detail17trampoline_kernelINS0_14default_configENS1_35adjacent_difference_config_selectorILb0ExEEZNS1_24adjacent_difference_implIS3_Lb0ELb0EPxS7_N6thrust23THRUST_200600_302600_NS4plusIxEEEE10hipError_tPvRmT2_T3_mT4_P12ihipStream_tbEUlT_E_NS1_11comp_targetILNS1_3genE5ELNS1_11target_archE942ELNS1_3gpuE9ELNS1_3repE0EEENS1_30default_config_static_selectorELNS0_4arch9wavefront6targetE0EEEvT1_
                                        ; -- End function
	.section	.AMDGPU.csdata,"",@progbits
; Kernel info:
; codeLenInByte = 0
; NumSgprs: 0
; NumVgprs: 0
; ScratchSize: 0
; MemoryBound: 0
; FloatMode: 240
; IeeeMode: 1
; LDSByteSize: 0 bytes/workgroup (compile time only)
; SGPRBlocks: 0
; VGPRBlocks: 0
; NumSGPRsForWavesPerEU: 1
; NumVGPRsForWavesPerEU: 1
; Occupancy: 16
; WaveLimiterHint : 0
; COMPUTE_PGM_RSRC2:SCRATCH_EN: 0
; COMPUTE_PGM_RSRC2:USER_SGPR: 15
; COMPUTE_PGM_RSRC2:TRAP_HANDLER: 0
; COMPUTE_PGM_RSRC2:TGID_X_EN: 1
; COMPUTE_PGM_RSRC2:TGID_Y_EN: 0
; COMPUTE_PGM_RSRC2:TGID_Z_EN: 0
; COMPUTE_PGM_RSRC2:TIDIG_COMP_CNT: 0
	.section	.text._ZN7rocprim17ROCPRIM_400000_NS6detail17trampoline_kernelINS0_14default_configENS1_35adjacent_difference_config_selectorILb0ExEEZNS1_24adjacent_difference_implIS3_Lb0ELb0EPxS7_N6thrust23THRUST_200600_302600_NS4plusIxEEEE10hipError_tPvRmT2_T3_mT4_P12ihipStream_tbEUlT_E_NS1_11comp_targetILNS1_3genE4ELNS1_11target_archE910ELNS1_3gpuE8ELNS1_3repE0EEENS1_30default_config_static_selectorELNS0_4arch9wavefront6targetE0EEEvT1_,"axG",@progbits,_ZN7rocprim17ROCPRIM_400000_NS6detail17trampoline_kernelINS0_14default_configENS1_35adjacent_difference_config_selectorILb0ExEEZNS1_24adjacent_difference_implIS3_Lb0ELb0EPxS7_N6thrust23THRUST_200600_302600_NS4plusIxEEEE10hipError_tPvRmT2_T3_mT4_P12ihipStream_tbEUlT_E_NS1_11comp_targetILNS1_3genE4ELNS1_11target_archE910ELNS1_3gpuE8ELNS1_3repE0EEENS1_30default_config_static_selectorELNS0_4arch9wavefront6targetE0EEEvT1_,comdat
	.protected	_ZN7rocprim17ROCPRIM_400000_NS6detail17trampoline_kernelINS0_14default_configENS1_35adjacent_difference_config_selectorILb0ExEEZNS1_24adjacent_difference_implIS3_Lb0ELb0EPxS7_N6thrust23THRUST_200600_302600_NS4plusIxEEEE10hipError_tPvRmT2_T3_mT4_P12ihipStream_tbEUlT_E_NS1_11comp_targetILNS1_3genE4ELNS1_11target_archE910ELNS1_3gpuE8ELNS1_3repE0EEENS1_30default_config_static_selectorELNS0_4arch9wavefront6targetE0EEEvT1_ ; -- Begin function _ZN7rocprim17ROCPRIM_400000_NS6detail17trampoline_kernelINS0_14default_configENS1_35adjacent_difference_config_selectorILb0ExEEZNS1_24adjacent_difference_implIS3_Lb0ELb0EPxS7_N6thrust23THRUST_200600_302600_NS4plusIxEEEE10hipError_tPvRmT2_T3_mT4_P12ihipStream_tbEUlT_E_NS1_11comp_targetILNS1_3genE4ELNS1_11target_archE910ELNS1_3gpuE8ELNS1_3repE0EEENS1_30default_config_static_selectorELNS0_4arch9wavefront6targetE0EEEvT1_
	.globl	_ZN7rocprim17ROCPRIM_400000_NS6detail17trampoline_kernelINS0_14default_configENS1_35adjacent_difference_config_selectorILb0ExEEZNS1_24adjacent_difference_implIS3_Lb0ELb0EPxS7_N6thrust23THRUST_200600_302600_NS4plusIxEEEE10hipError_tPvRmT2_T3_mT4_P12ihipStream_tbEUlT_E_NS1_11comp_targetILNS1_3genE4ELNS1_11target_archE910ELNS1_3gpuE8ELNS1_3repE0EEENS1_30default_config_static_selectorELNS0_4arch9wavefront6targetE0EEEvT1_
	.p2align	8
	.type	_ZN7rocprim17ROCPRIM_400000_NS6detail17trampoline_kernelINS0_14default_configENS1_35adjacent_difference_config_selectorILb0ExEEZNS1_24adjacent_difference_implIS3_Lb0ELb0EPxS7_N6thrust23THRUST_200600_302600_NS4plusIxEEEE10hipError_tPvRmT2_T3_mT4_P12ihipStream_tbEUlT_E_NS1_11comp_targetILNS1_3genE4ELNS1_11target_archE910ELNS1_3gpuE8ELNS1_3repE0EEENS1_30default_config_static_selectorELNS0_4arch9wavefront6targetE0EEEvT1_,@function
_ZN7rocprim17ROCPRIM_400000_NS6detail17trampoline_kernelINS0_14default_configENS1_35adjacent_difference_config_selectorILb0ExEEZNS1_24adjacent_difference_implIS3_Lb0ELb0EPxS7_N6thrust23THRUST_200600_302600_NS4plusIxEEEE10hipError_tPvRmT2_T3_mT4_P12ihipStream_tbEUlT_E_NS1_11comp_targetILNS1_3genE4ELNS1_11target_archE910ELNS1_3gpuE8ELNS1_3repE0EEENS1_30default_config_static_selectorELNS0_4arch9wavefront6targetE0EEEvT1_: ; @_ZN7rocprim17ROCPRIM_400000_NS6detail17trampoline_kernelINS0_14default_configENS1_35adjacent_difference_config_selectorILb0ExEEZNS1_24adjacent_difference_implIS3_Lb0ELb0EPxS7_N6thrust23THRUST_200600_302600_NS4plusIxEEEE10hipError_tPvRmT2_T3_mT4_P12ihipStream_tbEUlT_E_NS1_11comp_targetILNS1_3genE4ELNS1_11target_archE910ELNS1_3gpuE8ELNS1_3repE0EEENS1_30default_config_static_selectorELNS0_4arch9wavefront6targetE0EEEvT1_
; %bb.0:
	.section	.rodata,"a",@progbits
	.p2align	6, 0x0
	.amdhsa_kernel _ZN7rocprim17ROCPRIM_400000_NS6detail17trampoline_kernelINS0_14default_configENS1_35adjacent_difference_config_selectorILb0ExEEZNS1_24adjacent_difference_implIS3_Lb0ELb0EPxS7_N6thrust23THRUST_200600_302600_NS4plusIxEEEE10hipError_tPvRmT2_T3_mT4_P12ihipStream_tbEUlT_E_NS1_11comp_targetILNS1_3genE4ELNS1_11target_archE910ELNS1_3gpuE8ELNS1_3repE0EEENS1_30default_config_static_selectorELNS0_4arch9wavefront6targetE0EEEvT1_
		.amdhsa_group_segment_fixed_size 0
		.amdhsa_private_segment_fixed_size 0
		.amdhsa_kernarg_size 56
		.amdhsa_user_sgpr_count 15
		.amdhsa_user_sgpr_dispatch_ptr 0
		.amdhsa_user_sgpr_queue_ptr 0
		.amdhsa_user_sgpr_kernarg_segment_ptr 1
		.amdhsa_user_sgpr_dispatch_id 0
		.amdhsa_user_sgpr_private_segment_size 0
		.amdhsa_wavefront_size32 1
		.amdhsa_uses_dynamic_stack 0
		.amdhsa_enable_private_segment 0
		.amdhsa_system_sgpr_workgroup_id_x 1
		.amdhsa_system_sgpr_workgroup_id_y 0
		.amdhsa_system_sgpr_workgroup_id_z 0
		.amdhsa_system_sgpr_workgroup_info 0
		.amdhsa_system_vgpr_workitem_id 0
		.amdhsa_next_free_vgpr 1
		.amdhsa_next_free_sgpr 1
		.amdhsa_reserve_vcc 0
		.amdhsa_float_round_mode_32 0
		.amdhsa_float_round_mode_16_64 0
		.amdhsa_float_denorm_mode_32 3
		.amdhsa_float_denorm_mode_16_64 3
		.amdhsa_dx10_clamp 1
		.amdhsa_ieee_mode 1
		.amdhsa_fp16_overflow 0
		.amdhsa_workgroup_processor_mode 1
		.amdhsa_memory_ordered 1
		.amdhsa_forward_progress 0
		.amdhsa_shared_vgpr_count 0
		.amdhsa_exception_fp_ieee_invalid_op 0
		.amdhsa_exception_fp_denorm_src 0
		.amdhsa_exception_fp_ieee_div_zero 0
		.amdhsa_exception_fp_ieee_overflow 0
		.amdhsa_exception_fp_ieee_underflow 0
		.amdhsa_exception_fp_ieee_inexact 0
		.amdhsa_exception_int_div_zero 0
	.end_amdhsa_kernel
	.section	.text._ZN7rocprim17ROCPRIM_400000_NS6detail17trampoline_kernelINS0_14default_configENS1_35adjacent_difference_config_selectorILb0ExEEZNS1_24adjacent_difference_implIS3_Lb0ELb0EPxS7_N6thrust23THRUST_200600_302600_NS4plusIxEEEE10hipError_tPvRmT2_T3_mT4_P12ihipStream_tbEUlT_E_NS1_11comp_targetILNS1_3genE4ELNS1_11target_archE910ELNS1_3gpuE8ELNS1_3repE0EEENS1_30default_config_static_selectorELNS0_4arch9wavefront6targetE0EEEvT1_,"axG",@progbits,_ZN7rocprim17ROCPRIM_400000_NS6detail17trampoline_kernelINS0_14default_configENS1_35adjacent_difference_config_selectorILb0ExEEZNS1_24adjacent_difference_implIS3_Lb0ELb0EPxS7_N6thrust23THRUST_200600_302600_NS4plusIxEEEE10hipError_tPvRmT2_T3_mT4_P12ihipStream_tbEUlT_E_NS1_11comp_targetILNS1_3genE4ELNS1_11target_archE910ELNS1_3gpuE8ELNS1_3repE0EEENS1_30default_config_static_selectorELNS0_4arch9wavefront6targetE0EEEvT1_,comdat
.Lfunc_end285:
	.size	_ZN7rocprim17ROCPRIM_400000_NS6detail17trampoline_kernelINS0_14default_configENS1_35adjacent_difference_config_selectorILb0ExEEZNS1_24adjacent_difference_implIS3_Lb0ELb0EPxS7_N6thrust23THRUST_200600_302600_NS4plusIxEEEE10hipError_tPvRmT2_T3_mT4_P12ihipStream_tbEUlT_E_NS1_11comp_targetILNS1_3genE4ELNS1_11target_archE910ELNS1_3gpuE8ELNS1_3repE0EEENS1_30default_config_static_selectorELNS0_4arch9wavefront6targetE0EEEvT1_, .Lfunc_end285-_ZN7rocprim17ROCPRIM_400000_NS6detail17trampoline_kernelINS0_14default_configENS1_35adjacent_difference_config_selectorILb0ExEEZNS1_24adjacent_difference_implIS3_Lb0ELb0EPxS7_N6thrust23THRUST_200600_302600_NS4plusIxEEEE10hipError_tPvRmT2_T3_mT4_P12ihipStream_tbEUlT_E_NS1_11comp_targetILNS1_3genE4ELNS1_11target_archE910ELNS1_3gpuE8ELNS1_3repE0EEENS1_30default_config_static_selectorELNS0_4arch9wavefront6targetE0EEEvT1_
                                        ; -- End function
	.section	.AMDGPU.csdata,"",@progbits
; Kernel info:
; codeLenInByte = 0
; NumSgprs: 0
; NumVgprs: 0
; ScratchSize: 0
; MemoryBound: 0
; FloatMode: 240
; IeeeMode: 1
; LDSByteSize: 0 bytes/workgroup (compile time only)
; SGPRBlocks: 0
; VGPRBlocks: 0
; NumSGPRsForWavesPerEU: 1
; NumVGPRsForWavesPerEU: 1
; Occupancy: 16
; WaveLimiterHint : 0
; COMPUTE_PGM_RSRC2:SCRATCH_EN: 0
; COMPUTE_PGM_RSRC2:USER_SGPR: 15
; COMPUTE_PGM_RSRC2:TRAP_HANDLER: 0
; COMPUTE_PGM_RSRC2:TGID_X_EN: 1
; COMPUTE_PGM_RSRC2:TGID_Y_EN: 0
; COMPUTE_PGM_RSRC2:TGID_Z_EN: 0
; COMPUTE_PGM_RSRC2:TIDIG_COMP_CNT: 0
	.section	.text._ZN7rocprim17ROCPRIM_400000_NS6detail17trampoline_kernelINS0_14default_configENS1_35adjacent_difference_config_selectorILb0ExEEZNS1_24adjacent_difference_implIS3_Lb0ELb0EPxS7_N6thrust23THRUST_200600_302600_NS4plusIxEEEE10hipError_tPvRmT2_T3_mT4_P12ihipStream_tbEUlT_E_NS1_11comp_targetILNS1_3genE3ELNS1_11target_archE908ELNS1_3gpuE7ELNS1_3repE0EEENS1_30default_config_static_selectorELNS0_4arch9wavefront6targetE0EEEvT1_,"axG",@progbits,_ZN7rocprim17ROCPRIM_400000_NS6detail17trampoline_kernelINS0_14default_configENS1_35adjacent_difference_config_selectorILb0ExEEZNS1_24adjacent_difference_implIS3_Lb0ELb0EPxS7_N6thrust23THRUST_200600_302600_NS4plusIxEEEE10hipError_tPvRmT2_T3_mT4_P12ihipStream_tbEUlT_E_NS1_11comp_targetILNS1_3genE3ELNS1_11target_archE908ELNS1_3gpuE7ELNS1_3repE0EEENS1_30default_config_static_selectorELNS0_4arch9wavefront6targetE0EEEvT1_,comdat
	.protected	_ZN7rocprim17ROCPRIM_400000_NS6detail17trampoline_kernelINS0_14default_configENS1_35adjacent_difference_config_selectorILb0ExEEZNS1_24adjacent_difference_implIS3_Lb0ELb0EPxS7_N6thrust23THRUST_200600_302600_NS4plusIxEEEE10hipError_tPvRmT2_T3_mT4_P12ihipStream_tbEUlT_E_NS1_11comp_targetILNS1_3genE3ELNS1_11target_archE908ELNS1_3gpuE7ELNS1_3repE0EEENS1_30default_config_static_selectorELNS0_4arch9wavefront6targetE0EEEvT1_ ; -- Begin function _ZN7rocprim17ROCPRIM_400000_NS6detail17trampoline_kernelINS0_14default_configENS1_35adjacent_difference_config_selectorILb0ExEEZNS1_24adjacent_difference_implIS3_Lb0ELb0EPxS7_N6thrust23THRUST_200600_302600_NS4plusIxEEEE10hipError_tPvRmT2_T3_mT4_P12ihipStream_tbEUlT_E_NS1_11comp_targetILNS1_3genE3ELNS1_11target_archE908ELNS1_3gpuE7ELNS1_3repE0EEENS1_30default_config_static_selectorELNS0_4arch9wavefront6targetE0EEEvT1_
	.globl	_ZN7rocprim17ROCPRIM_400000_NS6detail17trampoline_kernelINS0_14default_configENS1_35adjacent_difference_config_selectorILb0ExEEZNS1_24adjacent_difference_implIS3_Lb0ELb0EPxS7_N6thrust23THRUST_200600_302600_NS4plusIxEEEE10hipError_tPvRmT2_T3_mT4_P12ihipStream_tbEUlT_E_NS1_11comp_targetILNS1_3genE3ELNS1_11target_archE908ELNS1_3gpuE7ELNS1_3repE0EEENS1_30default_config_static_selectorELNS0_4arch9wavefront6targetE0EEEvT1_
	.p2align	8
	.type	_ZN7rocprim17ROCPRIM_400000_NS6detail17trampoline_kernelINS0_14default_configENS1_35adjacent_difference_config_selectorILb0ExEEZNS1_24adjacent_difference_implIS3_Lb0ELb0EPxS7_N6thrust23THRUST_200600_302600_NS4plusIxEEEE10hipError_tPvRmT2_T3_mT4_P12ihipStream_tbEUlT_E_NS1_11comp_targetILNS1_3genE3ELNS1_11target_archE908ELNS1_3gpuE7ELNS1_3repE0EEENS1_30default_config_static_selectorELNS0_4arch9wavefront6targetE0EEEvT1_,@function
_ZN7rocprim17ROCPRIM_400000_NS6detail17trampoline_kernelINS0_14default_configENS1_35adjacent_difference_config_selectorILb0ExEEZNS1_24adjacent_difference_implIS3_Lb0ELb0EPxS7_N6thrust23THRUST_200600_302600_NS4plusIxEEEE10hipError_tPvRmT2_T3_mT4_P12ihipStream_tbEUlT_E_NS1_11comp_targetILNS1_3genE3ELNS1_11target_archE908ELNS1_3gpuE7ELNS1_3repE0EEENS1_30default_config_static_selectorELNS0_4arch9wavefront6targetE0EEEvT1_: ; @_ZN7rocprim17ROCPRIM_400000_NS6detail17trampoline_kernelINS0_14default_configENS1_35adjacent_difference_config_selectorILb0ExEEZNS1_24adjacent_difference_implIS3_Lb0ELb0EPxS7_N6thrust23THRUST_200600_302600_NS4plusIxEEEE10hipError_tPvRmT2_T3_mT4_P12ihipStream_tbEUlT_E_NS1_11comp_targetILNS1_3genE3ELNS1_11target_archE908ELNS1_3gpuE7ELNS1_3repE0EEENS1_30default_config_static_selectorELNS0_4arch9wavefront6targetE0EEEvT1_
; %bb.0:
	.section	.rodata,"a",@progbits
	.p2align	6, 0x0
	.amdhsa_kernel _ZN7rocprim17ROCPRIM_400000_NS6detail17trampoline_kernelINS0_14default_configENS1_35adjacent_difference_config_selectorILb0ExEEZNS1_24adjacent_difference_implIS3_Lb0ELb0EPxS7_N6thrust23THRUST_200600_302600_NS4plusIxEEEE10hipError_tPvRmT2_T3_mT4_P12ihipStream_tbEUlT_E_NS1_11comp_targetILNS1_3genE3ELNS1_11target_archE908ELNS1_3gpuE7ELNS1_3repE0EEENS1_30default_config_static_selectorELNS0_4arch9wavefront6targetE0EEEvT1_
		.amdhsa_group_segment_fixed_size 0
		.amdhsa_private_segment_fixed_size 0
		.amdhsa_kernarg_size 56
		.amdhsa_user_sgpr_count 15
		.amdhsa_user_sgpr_dispatch_ptr 0
		.amdhsa_user_sgpr_queue_ptr 0
		.amdhsa_user_sgpr_kernarg_segment_ptr 1
		.amdhsa_user_sgpr_dispatch_id 0
		.amdhsa_user_sgpr_private_segment_size 0
		.amdhsa_wavefront_size32 1
		.amdhsa_uses_dynamic_stack 0
		.amdhsa_enable_private_segment 0
		.amdhsa_system_sgpr_workgroup_id_x 1
		.amdhsa_system_sgpr_workgroup_id_y 0
		.amdhsa_system_sgpr_workgroup_id_z 0
		.amdhsa_system_sgpr_workgroup_info 0
		.amdhsa_system_vgpr_workitem_id 0
		.amdhsa_next_free_vgpr 1
		.amdhsa_next_free_sgpr 1
		.amdhsa_reserve_vcc 0
		.amdhsa_float_round_mode_32 0
		.amdhsa_float_round_mode_16_64 0
		.amdhsa_float_denorm_mode_32 3
		.amdhsa_float_denorm_mode_16_64 3
		.amdhsa_dx10_clamp 1
		.amdhsa_ieee_mode 1
		.amdhsa_fp16_overflow 0
		.amdhsa_workgroup_processor_mode 1
		.amdhsa_memory_ordered 1
		.amdhsa_forward_progress 0
		.amdhsa_shared_vgpr_count 0
		.amdhsa_exception_fp_ieee_invalid_op 0
		.amdhsa_exception_fp_denorm_src 0
		.amdhsa_exception_fp_ieee_div_zero 0
		.amdhsa_exception_fp_ieee_overflow 0
		.amdhsa_exception_fp_ieee_underflow 0
		.amdhsa_exception_fp_ieee_inexact 0
		.amdhsa_exception_int_div_zero 0
	.end_amdhsa_kernel
	.section	.text._ZN7rocprim17ROCPRIM_400000_NS6detail17trampoline_kernelINS0_14default_configENS1_35adjacent_difference_config_selectorILb0ExEEZNS1_24adjacent_difference_implIS3_Lb0ELb0EPxS7_N6thrust23THRUST_200600_302600_NS4plusIxEEEE10hipError_tPvRmT2_T3_mT4_P12ihipStream_tbEUlT_E_NS1_11comp_targetILNS1_3genE3ELNS1_11target_archE908ELNS1_3gpuE7ELNS1_3repE0EEENS1_30default_config_static_selectorELNS0_4arch9wavefront6targetE0EEEvT1_,"axG",@progbits,_ZN7rocprim17ROCPRIM_400000_NS6detail17trampoline_kernelINS0_14default_configENS1_35adjacent_difference_config_selectorILb0ExEEZNS1_24adjacent_difference_implIS3_Lb0ELb0EPxS7_N6thrust23THRUST_200600_302600_NS4plusIxEEEE10hipError_tPvRmT2_T3_mT4_P12ihipStream_tbEUlT_E_NS1_11comp_targetILNS1_3genE3ELNS1_11target_archE908ELNS1_3gpuE7ELNS1_3repE0EEENS1_30default_config_static_selectorELNS0_4arch9wavefront6targetE0EEEvT1_,comdat
.Lfunc_end286:
	.size	_ZN7rocprim17ROCPRIM_400000_NS6detail17trampoline_kernelINS0_14default_configENS1_35adjacent_difference_config_selectorILb0ExEEZNS1_24adjacent_difference_implIS3_Lb0ELb0EPxS7_N6thrust23THRUST_200600_302600_NS4plusIxEEEE10hipError_tPvRmT2_T3_mT4_P12ihipStream_tbEUlT_E_NS1_11comp_targetILNS1_3genE3ELNS1_11target_archE908ELNS1_3gpuE7ELNS1_3repE0EEENS1_30default_config_static_selectorELNS0_4arch9wavefront6targetE0EEEvT1_, .Lfunc_end286-_ZN7rocprim17ROCPRIM_400000_NS6detail17trampoline_kernelINS0_14default_configENS1_35adjacent_difference_config_selectorILb0ExEEZNS1_24adjacent_difference_implIS3_Lb0ELb0EPxS7_N6thrust23THRUST_200600_302600_NS4plusIxEEEE10hipError_tPvRmT2_T3_mT4_P12ihipStream_tbEUlT_E_NS1_11comp_targetILNS1_3genE3ELNS1_11target_archE908ELNS1_3gpuE7ELNS1_3repE0EEENS1_30default_config_static_selectorELNS0_4arch9wavefront6targetE0EEEvT1_
                                        ; -- End function
	.section	.AMDGPU.csdata,"",@progbits
; Kernel info:
; codeLenInByte = 0
; NumSgprs: 0
; NumVgprs: 0
; ScratchSize: 0
; MemoryBound: 0
; FloatMode: 240
; IeeeMode: 1
; LDSByteSize: 0 bytes/workgroup (compile time only)
; SGPRBlocks: 0
; VGPRBlocks: 0
; NumSGPRsForWavesPerEU: 1
; NumVGPRsForWavesPerEU: 1
; Occupancy: 16
; WaveLimiterHint : 0
; COMPUTE_PGM_RSRC2:SCRATCH_EN: 0
; COMPUTE_PGM_RSRC2:USER_SGPR: 15
; COMPUTE_PGM_RSRC2:TRAP_HANDLER: 0
; COMPUTE_PGM_RSRC2:TGID_X_EN: 1
; COMPUTE_PGM_RSRC2:TGID_Y_EN: 0
; COMPUTE_PGM_RSRC2:TGID_Z_EN: 0
; COMPUTE_PGM_RSRC2:TIDIG_COMP_CNT: 0
	.section	.text._ZN7rocprim17ROCPRIM_400000_NS6detail17trampoline_kernelINS0_14default_configENS1_35adjacent_difference_config_selectorILb0ExEEZNS1_24adjacent_difference_implIS3_Lb0ELb0EPxS7_N6thrust23THRUST_200600_302600_NS4plusIxEEEE10hipError_tPvRmT2_T3_mT4_P12ihipStream_tbEUlT_E_NS1_11comp_targetILNS1_3genE2ELNS1_11target_archE906ELNS1_3gpuE6ELNS1_3repE0EEENS1_30default_config_static_selectorELNS0_4arch9wavefront6targetE0EEEvT1_,"axG",@progbits,_ZN7rocprim17ROCPRIM_400000_NS6detail17trampoline_kernelINS0_14default_configENS1_35adjacent_difference_config_selectorILb0ExEEZNS1_24adjacent_difference_implIS3_Lb0ELb0EPxS7_N6thrust23THRUST_200600_302600_NS4plusIxEEEE10hipError_tPvRmT2_T3_mT4_P12ihipStream_tbEUlT_E_NS1_11comp_targetILNS1_3genE2ELNS1_11target_archE906ELNS1_3gpuE6ELNS1_3repE0EEENS1_30default_config_static_selectorELNS0_4arch9wavefront6targetE0EEEvT1_,comdat
	.protected	_ZN7rocprim17ROCPRIM_400000_NS6detail17trampoline_kernelINS0_14default_configENS1_35adjacent_difference_config_selectorILb0ExEEZNS1_24adjacent_difference_implIS3_Lb0ELb0EPxS7_N6thrust23THRUST_200600_302600_NS4plusIxEEEE10hipError_tPvRmT2_T3_mT4_P12ihipStream_tbEUlT_E_NS1_11comp_targetILNS1_3genE2ELNS1_11target_archE906ELNS1_3gpuE6ELNS1_3repE0EEENS1_30default_config_static_selectorELNS0_4arch9wavefront6targetE0EEEvT1_ ; -- Begin function _ZN7rocprim17ROCPRIM_400000_NS6detail17trampoline_kernelINS0_14default_configENS1_35adjacent_difference_config_selectorILb0ExEEZNS1_24adjacent_difference_implIS3_Lb0ELb0EPxS7_N6thrust23THRUST_200600_302600_NS4plusIxEEEE10hipError_tPvRmT2_T3_mT4_P12ihipStream_tbEUlT_E_NS1_11comp_targetILNS1_3genE2ELNS1_11target_archE906ELNS1_3gpuE6ELNS1_3repE0EEENS1_30default_config_static_selectorELNS0_4arch9wavefront6targetE0EEEvT1_
	.globl	_ZN7rocprim17ROCPRIM_400000_NS6detail17trampoline_kernelINS0_14default_configENS1_35adjacent_difference_config_selectorILb0ExEEZNS1_24adjacent_difference_implIS3_Lb0ELb0EPxS7_N6thrust23THRUST_200600_302600_NS4plusIxEEEE10hipError_tPvRmT2_T3_mT4_P12ihipStream_tbEUlT_E_NS1_11comp_targetILNS1_3genE2ELNS1_11target_archE906ELNS1_3gpuE6ELNS1_3repE0EEENS1_30default_config_static_selectorELNS0_4arch9wavefront6targetE0EEEvT1_
	.p2align	8
	.type	_ZN7rocprim17ROCPRIM_400000_NS6detail17trampoline_kernelINS0_14default_configENS1_35adjacent_difference_config_selectorILb0ExEEZNS1_24adjacent_difference_implIS3_Lb0ELb0EPxS7_N6thrust23THRUST_200600_302600_NS4plusIxEEEE10hipError_tPvRmT2_T3_mT4_P12ihipStream_tbEUlT_E_NS1_11comp_targetILNS1_3genE2ELNS1_11target_archE906ELNS1_3gpuE6ELNS1_3repE0EEENS1_30default_config_static_selectorELNS0_4arch9wavefront6targetE0EEEvT1_,@function
_ZN7rocprim17ROCPRIM_400000_NS6detail17trampoline_kernelINS0_14default_configENS1_35adjacent_difference_config_selectorILb0ExEEZNS1_24adjacent_difference_implIS3_Lb0ELb0EPxS7_N6thrust23THRUST_200600_302600_NS4plusIxEEEE10hipError_tPvRmT2_T3_mT4_P12ihipStream_tbEUlT_E_NS1_11comp_targetILNS1_3genE2ELNS1_11target_archE906ELNS1_3gpuE6ELNS1_3repE0EEENS1_30default_config_static_selectorELNS0_4arch9wavefront6targetE0EEEvT1_: ; @_ZN7rocprim17ROCPRIM_400000_NS6detail17trampoline_kernelINS0_14default_configENS1_35adjacent_difference_config_selectorILb0ExEEZNS1_24adjacent_difference_implIS3_Lb0ELb0EPxS7_N6thrust23THRUST_200600_302600_NS4plusIxEEEE10hipError_tPvRmT2_T3_mT4_P12ihipStream_tbEUlT_E_NS1_11comp_targetILNS1_3genE2ELNS1_11target_archE906ELNS1_3gpuE6ELNS1_3repE0EEENS1_30default_config_static_selectorELNS0_4arch9wavefront6targetE0EEEvT1_
; %bb.0:
	.section	.rodata,"a",@progbits
	.p2align	6, 0x0
	.amdhsa_kernel _ZN7rocprim17ROCPRIM_400000_NS6detail17trampoline_kernelINS0_14default_configENS1_35adjacent_difference_config_selectorILb0ExEEZNS1_24adjacent_difference_implIS3_Lb0ELb0EPxS7_N6thrust23THRUST_200600_302600_NS4plusIxEEEE10hipError_tPvRmT2_T3_mT4_P12ihipStream_tbEUlT_E_NS1_11comp_targetILNS1_3genE2ELNS1_11target_archE906ELNS1_3gpuE6ELNS1_3repE0EEENS1_30default_config_static_selectorELNS0_4arch9wavefront6targetE0EEEvT1_
		.amdhsa_group_segment_fixed_size 0
		.amdhsa_private_segment_fixed_size 0
		.amdhsa_kernarg_size 56
		.amdhsa_user_sgpr_count 15
		.amdhsa_user_sgpr_dispatch_ptr 0
		.amdhsa_user_sgpr_queue_ptr 0
		.amdhsa_user_sgpr_kernarg_segment_ptr 1
		.amdhsa_user_sgpr_dispatch_id 0
		.amdhsa_user_sgpr_private_segment_size 0
		.amdhsa_wavefront_size32 1
		.amdhsa_uses_dynamic_stack 0
		.amdhsa_enable_private_segment 0
		.amdhsa_system_sgpr_workgroup_id_x 1
		.amdhsa_system_sgpr_workgroup_id_y 0
		.amdhsa_system_sgpr_workgroup_id_z 0
		.amdhsa_system_sgpr_workgroup_info 0
		.amdhsa_system_vgpr_workitem_id 0
		.amdhsa_next_free_vgpr 1
		.amdhsa_next_free_sgpr 1
		.amdhsa_reserve_vcc 0
		.amdhsa_float_round_mode_32 0
		.amdhsa_float_round_mode_16_64 0
		.amdhsa_float_denorm_mode_32 3
		.amdhsa_float_denorm_mode_16_64 3
		.amdhsa_dx10_clamp 1
		.amdhsa_ieee_mode 1
		.amdhsa_fp16_overflow 0
		.amdhsa_workgroup_processor_mode 1
		.amdhsa_memory_ordered 1
		.amdhsa_forward_progress 0
		.amdhsa_shared_vgpr_count 0
		.amdhsa_exception_fp_ieee_invalid_op 0
		.amdhsa_exception_fp_denorm_src 0
		.amdhsa_exception_fp_ieee_div_zero 0
		.amdhsa_exception_fp_ieee_overflow 0
		.amdhsa_exception_fp_ieee_underflow 0
		.amdhsa_exception_fp_ieee_inexact 0
		.amdhsa_exception_int_div_zero 0
	.end_amdhsa_kernel
	.section	.text._ZN7rocprim17ROCPRIM_400000_NS6detail17trampoline_kernelINS0_14default_configENS1_35adjacent_difference_config_selectorILb0ExEEZNS1_24adjacent_difference_implIS3_Lb0ELb0EPxS7_N6thrust23THRUST_200600_302600_NS4plusIxEEEE10hipError_tPvRmT2_T3_mT4_P12ihipStream_tbEUlT_E_NS1_11comp_targetILNS1_3genE2ELNS1_11target_archE906ELNS1_3gpuE6ELNS1_3repE0EEENS1_30default_config_static_selectorELNS0_4arch9wavefront6targetE0EEEvT1_,"axG",@progbits,_ZN7rocprim17ROCPRIM_400000_NS6detail17trampoline_kernelINS0_14default_configENS1_35adjacent_difference_config_selectorILb0ExEEZNS1_24adjacent_difference_implIS3_Lb0ELb0EPxS7_N6thrust23THRUST_200600_302600_NS4plusIxEEEE10hipError_tPvRmT2_T3_mT4_P12ihipStream_tbEUlT_E_NS1_11comp_targetILNS1_3genE2ELNS1_11target_archE906ELNS1_3gpuE6ELNS1_3repE0EEENS1_30default_config_static_selectorELNS0_4arch9wavefront6targetE0EEEvT1_,comdat
.Lfunc_end287:
	.size	_ZN7rocprim17ROCPRIM_400000_NS6detail17trampoline_kernelINS0_14default_configENS1_35adjacent_difference_config_selectorILb0ExEEZNS1_24adjacent_difference_implIS3_Lb0ELb0EPxS7_N6thrust23THRUST_200600_302600_NS4plusIxEEEE10hipError_tPvRmT2_T3_mT4_P12ihipStream_tbEUlT_E_NS1_11comp_targetILNS1_3genE2ELNS1_11target_archE906ELNS1_3gpuE6ELNS1_3repE0EEENS1_30default_config_static_selectorELNS0_4arch9wavefront6targetE0EEEvT1_, .Lfunc_end287-_ZN7rocprim17ROCPRIM_400000_NS6detail17trampoline_kernelINS0_14default_configENS1_35adjacent_difference_config_selectorILb0ExEEZNS1_24adjacent_difference_implIS3_Lb0ELb0EPxS7_N6thrust23THRUST_200600_302600_NS4plusIxEEEE10hipError_tPvRmT2_T3_mT4_P12ihipStream_tbEUlT_E_NS1_11comp_targetILNS1_3genE2ELNS1_11target_archE906ELNS1_3gpuE6ELNS1_3repE0EEENS1_30default_config_static_selectorELNS0_4arch9wavefront6targetE0EEEvT1_
                                        ; -- End function
	.section	.AMDGPU.csdata,"",@progbits
; Kernel info:
; codeLenInByte = 0
; NumSgprs: 0
; NumVgprs: 0
; ScratchSize: 0
; MemoryBound: 0
; FloatMode: 240
; IeeeMode: 1
; LDSByteSize: 0 bytes/workgroup (compile time only)
; SGPRBlocks: 0
; VGPRBlocks: 0
; NumSGPRsForWavesPerEU: 1
; NumVGPRsForWavesPerEU: 1
; Occupancy: 16
; WaveLimiterHint : 0
; COMPUTE_PGM_RSRC2:SCRATCH_EN: 0
; COMPUTE_PGM_RSRC2:USER_SGPR: 15
; COMPUTE_PGM_RSRC2:TRAP_HANDLER: 0
; COMPUTE_PGM_RSRC2:TGID_X_EN: 1
; COMPUTE_PGM_RSRC2:TGID_Y_EN: 0
; COMPUTE_PGM_RSRC2:TGID_Z_EN: 0
; COMPUTE_PGM_RSRC2:TIDIG_COMP_CNT: 0
	.section	.text._ZN7rocprim17ROCPRIM_400000_NS6detail17trampoline_kernelINS0_14default_configENS1_35adjacent_difference_config_selectorILb0ExEEZNS1_24adjacent_difference_implIS3_Lb0ELb0EPxS7_N6thrust23THRUST_200600_302600_NS4plusIxEEEE10hipError_tPvRmT2_T3_mT4_P12ihipStream_tbEUlT_E_NS1_11comp_targetILNS1_3genE9ELNS1_11target_archE1100ELNS1_3gpuE3ELNS1_3repE0EEENS1_30default_config_static_selectorELNS0_4arch9wavefront6targetE0EEEvT1_,"axG",@progbits,_ZN7rocprim17ROCPRIM_400000_NS6detail17trampoline_kernelINS0_14default_configENS1_35adjacent_difference_config_selectorILb0ExEEZNS1_24adjacent_difference_implIS3_Lb0ELb0EPxS7_N6thrust23THRUST_200600_302600_NS4plusIxEEEE10hipError_tPvRmT2_T3_mT4_P12ihipStream_tbEUlT_E_NS1_11comp_targetILNS1_3genE9ELNS1_11target_archE1100ELNS1_3gpuE3ELNS1_3repE0EEENS1_30default_config_static_selectorELNS0_4arch9wavefront6targetE0EEEvT1_,comdat
	.protected	_ZN7rocprim17ROCPRIM_400000_NS6detail17trampoline_kernelINS0_14default_configENS1_35adjacent_difference_config_selectorILb0ExEEZNS1_24adjacent_difference_implIS3_Lb0ELb0EPxS7_N6thrust23THRUST_200600_302600_NS4plusIxEEEE10hipError_tPvRmT2_T3_mT4_P12ihipStream_tbEUlT_E_NS1_11comp_targetILNS1_3genE9ELNS1_11target_archE1100ELNS1_3gpuE3ELNS1_3repE0EEENS1_30default_config_static_selectorELNS0_4arch9wavefront6targetE0EEEvT1_ ; -- Begin function _ZN7rocprim17ROCPRIM_400000_NS6detail17trampoline_kernelINS0_14default_configENS1_35adjacent_difference_config_selectorILb0ExEEZNS1_24adjacent_difference_implIS3_Lb0ELb0EPxS7_N6thrust23THRUST_200600_302600_NS4plusIxEEEE10hipError_tPvRmT2_T3_mT4_P12ihipStream_tbEUlT_E_NS1_11comp_targetILNS1_3genE9ELNS1_11target_archE1100ELNS1_3gpuE3ELNS1_3repE0EEENS1_30default_config_static_selectorELNS0_4arch9wavefront6targetE0EEEvT1_
	.globl	_ZN7rocprim17ROCPRIM_400000_NS6detail17trampoline_kernelINS0_14default_configENS1_35adjacent_difference_config_selectorILb0ExEEZNS1_24adjacent_difference_implIS3_Lb0ELb0EPxS7_N6thrust23THRUST_200600_302600_NS4plusIxEEEE10hipError_tPvRmT2_T3_mT4_P12ihipStream_tbEUlT_E_NS1_11comp_targetILNS1_3genE9ELNS1_11target_archE1100ELNS1_3gpuE3ELNS1_3repE0EEENS1_30default_config_static_selectorELNS0_4arch9wavefront6targetE0EEEvT1_
	.p2align	8
	.type	_ZN7rocprim17ROCPRIM_400000_NS6detail17trampoline_kernelINS0_14default_configENS1_35adjacent_difference_config_selectorILb0ExEEZNS1_24adjacent_difference_implIS3_Lb0ELb0EPxS7_N6thrust23THRUST_200600_302600_NS4plusIxEEEE10hipError_tPvRmT2_T3_mT4_P12ihipStream_tbEUlT_E_NS1_11comp_targetILNS1_3genE9ELNS1_11target_archE1100ELNS1_3gpuE3ELNS1_3repE0EEENS1_30default_config_static_selectorELNS0_4arch9wavefront6targetE0EEEvT1_,@function
_ZN7rocprim17ROCPRIM_400000_NS6detail17trampoline_kernelINS0_14default_configENS1_35adjacent_difference_config_selectorILb0ExEEZNS1_24adjacent_difference_implIS3_Lb0ELb0EPxS7_N6thrust23THRUST_200600_302600_NS4plusIxEEEE10hipError_tPvRmT2_T3_mT4_P12ihipStream_tbEUlT_E_NS1_11comp_targetILNS1_3genE9ELNS1_11target_archE1100ELNS1_3gpuE3ELNS1_3repE0EEENS1_30default_config_static_selectorELNS0_4arch9wavefront6targetE0EEEvT1_: ; @_ZN7rocprim17ROCPRIM_400000_NS6detail17trampoline_kernelINS0_14default_configENS1_35adjacent_difference_config_selectorILb0ExEEZNS1_24adjacent_difference_implIS3_Lb0ELb0EPxS7_N6thrust23THRUST_200600_302600_NS4plusIxEEEE10hipError_tPvRmT2_T3_mT4_P12ihipStream_tbEUlT_E_NS1_11comp_targetILNS1_3genE9ELNS1_11target_archE1100ELNS1_3gpuE3ELNS1_3repE0EEENS1_30default_config_static_selectorELNS0_4arch9wavefront6targetE0EEEvT1_
; %bb.0:
	s_clause 0x1
	s_load_b256 s[4:11], s[0:1], 0x0
	s_load_b64 s[18:19], s[0:1], 0x30
	s_mov_b32 s13, 0
	s_waitcnt lgkmcnt(0)
	s_lshl_b64 s[6:7], s[6:7], 3
	s_delay_alu instid0(SALU_CYCLE_1)
	s_add_u32 s14, s4, s6
	s_addc_u32 s16, s5, s7
	s_and_b32 s12, s10, 0x1ff
	s_lshl_b32 s2, s15, 9
	s_lshr_b64 s[0:1], s[10:11], 9
	s_cmp_lg_u64 s[12:13], 0
	s_cselect_b32 s3, -1, 0
	s_delay_alu instid0(SALU_CYCLE_1) | instskip(NEXT) | instid1(VALU_DEP_1)
	v_cndmask_b32_e64 v1, 0, 1, s3
	v_readfirstlane_b32 s3, v1
	s_delay_alu instid0(VALU_DEP_1)
	s_add_u32 s0, s0, s3
	s_addc_u32 s1, s1, 0
	s_add_u32 s12, s18, s15
	s_addc_u32 s13, s19, 0
	s_add_u32 s4, s0, -1
	s_addc_u32 s5, s1, -1
	s_delay_alu instid0(SALU_CYCLE_1) | instskip(NEXT) | instid1(VALU_DEP_1)
	v_cmp_ge_u64_e64 s11, s[12:13], s[4:5]
	s_and_b32 vcc_lo, exec_lo, s11
	s_cbranch_vccz .LBB288_4
; %bb.1:
	s_lshl_b32 s3, s4, 9
	s_mov_b32 s15, exec_lo
	s_sub_i32 s3, s10, s3
                                        ; implicit-def: $vgpr1_vgpr2
	s_delay_alu instid0(SALU_CYCLE_1)
	v_cmpx_gt_u32_e64 s3, v0
	s_cbranch_execz .LBB288_3
; %bb.2:
	s_mov_b32 s3, 0
	v_lshlrev_b32_e32 v1, 3, v0
	s_lshl_b64 s[18:19], s[2:3], 3
	s_delay_alu instid0(SALU_CYCLE_1)
	s_add_u32 s18, s14, s18
	s_addc_u32 s19, s16, s19
	global_load_b64 v[1:2], v1, s[18:19]
.LBB288_3:
	s_or_b32 exec_lo, exec_lo, s15
	v_lshlrev_b32_e32 v3, 3, v0
	s_waitcnt vmcnt(0)
	ds_store_b64 v3, v[1:2]
	s_waitcnt lgkmcnt(0)
	s_barrier
	v_lshlrev_b32_e32 v5, 3, v0
	s_branch .LBB288_6
.LBB288_4:
                                        ; implicit-def: $vgpr3
	v_lshlrev_b32_e32 v5, 3, v0
	s_cbranch_execz .LBB288_6
; %bb.5:
	s_mov_b32 s3, 0
	s_delay_alu instid0(VALU_DEP_1) | instskip(SKIP_1) | instid1(SALU_CYCLE_1)
	v_mov_b32_e32 v3, v5
	s_lshl_b64 s[18:19], s[2:3], 3
	s_add_u32 s18, s14, s18
	s_addc_u32 s19, s16, s19
	global_load_b64 v[1:2], v5, s[18:19]
	s_waitcnt vmcnt(0)
	ds_store_b64 v5, v[1:2]
	s_waitcnt lgkmcnt(0)
	s_barrier
.LBB288_6:
	buffer_gl0_inv
	ds_load_b64 v[1:2], v3
	s_cmp_eq_u64 s[12:13], 0
	s_waitcnt lgkmcnt(0)
	s_barrier
	buffer_gl0_inv
	s_cbranch_scc1 .LBB288_11
; %bb.7:
	s_mov_b32 s3, 0
	s_delay_alu instid0(SALU_CYCLE_1) | instskip(NEXT) | instid1(SALU_CYCLE_1)
	s_lshl_b64 s[18:19], s[2:3], 3
	s_add_u32 s3, s14, s18
	s_addc_u32 s15, s16, s19
	s_add_u32 s14, s3, -8
	s_addc_u32 s15, s15, -1
	s_cmp_eq_u64 s[12:13], s[4:5]
	s_load_b64 s[14:15], s[14:15], 0x0
	s_cbranch_scc1 .LBB288_12
; %bb.8:
	s_waitcnt lgkmcnt(0)
	v_dual_mov_b32 v3, s14 :: v_dual_mov_b32 v4, s15
	s_mov_b32 s3, exec_lo
	ds_store_b64 v5, v[1:2]
	s_waitcnt lgkmcnt(0)
	s_barrier
	buffer_gl0_inv
	v_cmpx_ne_u32_e32 0, v0
	s_cbranch_execz .LBB288_10
; %bb.9:
	v_add_nc_u32_e32 v3, -8, v5
	ds_load_b64 v[3:4], v3
.LBB288_10:
	s_or_b32 exec_lo, exec_lo, s3
	s_waitcnt lgkmcnt(0)
	v_add_co_u32 v3, vcc_lo, v3, v1
	v_add_co_ci_u32_e32 v4, vcc_lo, v4, v2, vcc_lo
	s_branch .LBB288_16
.LBB288_11:
                                        ; implicit-def: $vgpr3_vgpr4
	s_branch .LBB288_17
.LBB288_12:
                                        ; implicit-def: $vgpr3_vgpr4
	s_cbranch_execz .LBB288_16
; %bb.13:
	s_waitcnt lgkmcnt(0)
	v_dual_mov_b32 v3, s14 :: v_dual_mov_b32 v4, s15
	s_mov_b32 s3, exec_lo
	ds_store_b64 v5, v[1:2]
	s_waitcnt lgkmcnt(0)
	s_barrier
	buffer_gl0_inv
	v_cmpx_ne_u32_e32 0, v0
	s_cbranch_execz .LBB288_15
; %bb.14:
	v_add_nc_u32_e32 v3, -8, v5
	ds_load_b64 v[3:4], v3
.LBB288_15:
	s_or_b32 exec_lo, exec_lo, s3
	s_lshl_b32 s3, s12, 9
	s_delay_alu instid0(SALU_CYCLE_1) | instskip(NEXT) | instid1(SALU_CYCLE_1)
	s_sub_i32 s3, s10, s3
	v_cmp_gt_u32_e32 vcc_lo, s3, v0
	s_waitcnt lgkmcnt(0)
	v_dual_cndmask_b32 v4, 0, v4 :: v_dual_cndmask_b32 v3, 0, v3
	s_delay_alu instid0(VALU_DEP_1) | instskip(NEXT) | instid1(VALU_DEP_2)
	v_add_co_u32 v3, vcc_lo, v3, v1
	v_add_co_ci_u32_e32 v4, vcc_lo, v4, v2, vcc_lo
.LBB288_16:
	s_cbranch_execnz .LBB288_25
.LBB288_17:
	v_cmp_ne_u32_e32 vcc_lo, 0, v0
	s_cmp_eq_u64 s[0:1], 1
	s_cbranch_scc1 .LBB288_21
; %bb.18:
	v_dual_mov_b32 v4, v2 :: v_dual_mov_b32 v3, v1
	s_mov_b32 s0, 0
	ds_store_b64 v5, v[1:2]
	s_waitcnt lgkmcnt(0)
	s_barrier
	buffer_gl0_inv
	s_and_saveexec_b32 s1, vcc_lo
	s_cbranch_execz .LBB288_20
; %bb.19:
	v_add_nc_u32_e32 v3, -8, v5
	ds_load_b64 v[3:4], v3
	s_waitcnt lgkmcnt(0)
	v_add_co_u32 v3, vcc_lo, v3, v1
	v_add_co_ci_u32_e32 v4, vcc_lo, v4, v2, vcc_lo
.LBB288_20:
	s_or_b32 exec_lo, exec_lo, s1
	s_delay_alu instid0(SALU_CYCLE_1)
	s_and_not1_b32 vcc_lo, exec_lo, s0
	s_cbranch_vccz .LBB288_22
	s_branch .LBB288_25
.LBB288_21:
                                        ; implicit-def: $vgpr3_vgpr4
.LBB288_22:
	v_cmp_ne_u32_e32 vcc_lo, 0, v0
	v_cmp_gt_u32_e64 s0, s10, v0
	ds_store_b64 v5, v[1:2]
	s_waitcnt lgkmcnt(0)
	s_barrier
	buffer_gl0_inv
	s_and_b32 s1, vcc_lo, s0
	s_delay_alu instid0(SALU_CYCLE_1)
	s_and_saveexec_b32 s0, s1
	s_cbranch_execz .LBB288_24
; %bb.23:
	v_add_nc_u32_e32 v3, -8, v5
	ds_load_b64 v[3:4], v3
	s_waitcnt lgkmcnt(0)
	v_add_co_u32 v1, vcc_lo, v3, v1
	v_add_co_ci_u32_e32 v2, vcc_lo, v4, v2, vcc_lo
.LBB288_24:
	s_or_b32 exec_lo, exec_lo, s0
	s_delay_alu instid0(VALU_DEP_1)
	v_dual_mov_b32 v4, v2 :: v_dual_mov_b32 v3, v1
.LBB288_25:
	s_add_u32 s0, s8, s6
	s_addc_u32 s1, s9, s7
	s_and_b32 vcc_lo, exec_lo, s11
	s_mov_b32 s3, -1
	s_waitcnt lgkmcnt(0)
	s_barrier
	buffer_gl0_inv
	s_cbranch_vccnz .LBB288_28
; %bb.26:
	s_and_not1_b32 vcc_lo, exec_lo, s3
	s_cbranch_vccz .LBB288_31
.LBB288_27:
	s_nop 0
	s_sendmsg sendmsg(MSG_DEALLOC_VGPRS)
	s_endpgm
.LBB288_28:
	s_lshl_b32 s3, s4, 9
	s_mov_b32 s4, exec_lo
	s_sub_i32 s3, s10, s3
	ds_store_b64 v5, v[3:4]
	s_waitcnt lgkmcnt(0)
	s_barrier
	buffer_gl0_inv
	v_cmpx_gt_u32_e64 s3, v0
	s_cbranch_execz .LBB288_30
; %bb.29:
	ds_load_b64 v[0:1], v5
	s_mov_b32 s3, 0
	s_delay_alu instid0(SALU_CYCLE_1) | instskip(NEXT) | instid1(SALU_CYCLE_1)
	s_lshl_b64 s[6:7], s[2:3], 3
	s_add_u32 s6, s0, s6
	s_addc_u32 s7, s1, s7
	s_waitcnt lgkmcnt(0)
	global_store_b64 v5, v[0:1], s[6:7]
.LBB288_30:
	s_or_b32 exec_lo, exec_lo, s4
	s_cbranch_execnz .LBB288_27
.LBB288_31:
	ds_store_b64 v5, v[3:4]
	s_waitcnt lgkmcnt(0)
	s_waitcnt_vscnt null, 0x0
	s_barrier
	buffer_gl0_inv
	ds_load_b64 v[0:1], v5
	s_mov_b32 s3, 0
	s_delay_alu instid0(SALU_CYCLE_1) | instskip(NEXT) | instid1(SALU_CYCLE_1)
	s_lshl_b64 s[2:3], s[2:3], 3
	s_add_u32 s0, s0, s2
	s_addc_u32 s1, s1, s3
	s_waitcnt lgkmcnt(0)
	global_store_b64 v5, v[0:1], s[0:1]
	s_nop 0
	s_sendmsg sendmsg(MSG_DEALLOC_VGPRS)
	s_endpgm
	.section	.rodata,"a",@progbits
	.p2align	6, 0x0
	.amdhsa_kernel _ZN7rocprim17ROCPRIM_400000_NS6detail17trampoline_kernelINS0_14default_configENS1_35adjacent_difference_config_selectorILb0ExEEZNS1_24adjacent_difference_implIS3_Lb0ELb0EPxS7_N6thrust23THRUST_200600_302600_NS4plusIxEEEE10hipError_tPvRmT2_T3_mT4_P12ihipStream_tbEUlT_E_NS1_11comp_targetILNS1_3genE9ELNS1_11target_archE1100ELNS1_3gpuE3ELNS1_3repE0EEENS1_30default_config_static_selectorELNS0_4arch9wavefront6targetE0EEEvT1_
		.amdhsa_group_segment_fixed_size 8192
		.amdhsa_private_segment_fixed_size 0
		.amdhsa_kernarg_size 56
		.amdhsa_user_sgpr_count 15
		.amdhsa_user_sgpr_dispatch_ptr 0
		.amdhsa_user_sgpr_queue_ptr 0
		.amdhsa_user_sgpr_kernarg_segment_ptr 1
		.amdhsa_user_sgpr_dispatch_id 0
		.amdhsa_user_sgpr_private_segment_size 0
		.amdhsa_wavefront_size32 1
		.amdhsa_uses_dynamic_stack 0
		.amdhsa_enable_private_segment 0
		.amdhsa_system_sgpr_workgroup_id_x 1
		.amdhsa_system_sgpr_workgroup_id_y 0
		.amdhsa_system_sgpr_workgroup_id_z 0
		.amdhsa_system_sgpr_workgroup_info 0
		.amdhsa_system_vgpr_workitem_id 0
		.amdhsa_next_free_vgpr 6
		.amdhsa_next_free_sgpr 20
		.amdhsa_reserve_vcc 1
		.amdhsa_float_round_mode_32 0
		.amdhsa_float_round_mode_16_64 0
		.amdhsa_float_denorm_mode_32 3
		.amdhsa_float_denorm_mode_16_64 3
		.amdhsa_dx10_clamp 1
		.amdhsa_ieee_mode 1
		.amdhsa_fp16_overflow 0
		.amdhsa_workgroup_processor_mode 1
		.amdhsa_memory_ordered 1
		.amdhsa_forward_progress 0
		.amdhsa_shared_vgpr_count 0
		.amdhsa_exception_fp_ieee_invalid_op 0
		.amdhsa_exception_fp_denorm_src 0
		.amdhsa_exception_fp_ieee_div_zero 0
		.amdhsa_exception_fp_ieee_overflow 0
		.amdhsa_exception_fp_ieee_underflow 0
		.amdhsa_exception_fp_ieee_inexact 0
		.amdhsa_exception_int_div_zero 0
	.end_amdhsa_kernel
	.section	.text._ZN7rocprim17ROCPRIM_400000_NS6detail17trampoline_kernelINS0_14default_configENS1_35adjacent_difference_config_selectorILb0ExEEZNS1_24adjacent_difference_implIS3_Lb0ELb0EPxS7_N6thrust23THRUST_200600_302600_NS4plusIxEEEE10hipError_tPvRmT2_T3_mT4_P12ihipStream_tbEUlT_E_NS1_11comp_targetILNS1_3genE9ELNS1_11target_archE1100ELNS1_3gpuE3ELNS1_3repE0EEENS1_30default_config_static_selectorELNS0_4arch9wavefront6targetE0EEEvT1_,"axG",@progbits,_ZN7rocprim17ROCPRIM_400000_NS6detail17trampoline_kernelINS0_14default_configENS1_35adjacent_difference_config_selectorILb0ExEEZNS1_24adjacent_difference_implIS3_Lb0ELb0EPxS7_N6thrust23THRUST_200600_302600_NS4plusIxEEEE10hipError_tPvRmT2_T3_mT4_P12ihipStream_tbEUlT_E_NS1_11comp_targetILNS1_3genE9ELNS1_11target_archE1100ELNS1_3gpuE3ELNS1_3repE0EEENS1_30default_config_static_selectorELNS0_4arch9wavefront6targetE0EEEvT1_,comdat
.Lfunc_end288:
	.size	_ZN7rocprim17ROCPRIM_400000_NS6detail17trampoline_kernelINS0_14default_configENS1_35adjacent_difference_config_selectorILb0ExEEZNS1_24adjacent_difference_implIS3_Lb0ELb0EPxS7_N6thrust23THRUST_200600_302600_NS4plusIxEEEE10hipError_tPvRmT2_T3_mT4_P12ihipStream_tbEUlT_E_NS1_11comp_targetILNS1_3genE9ELNS1_11target_archE1100ELNS1_3gpuE3ELNS1_3repE0EEENS1_30default_config_static_selectorELNS0_4arch9wavefront6targetE0EEEvT1_, .Lfunc_end288-_ZN7rocprim17ROCPRIM_400000_NS6detail17trampoline_kernelINS0_14default_configENS1_35adjacent_difference_config_selectorILb0ExEEZNS1_24adjacent_difference_implIS3_Lb0ELb0EPxS7_N6thrust23THRUST_200600_302600_NS4plusIxEEEE10hipError_tPvRmT2_T3_mT4_P12ihipStream_tbEUlT_E_NS1_11comp_targetILNS1_3genE9ELNS1_11target_archE1100ELNS1_3gpuE3ELNS1_3repE0EEENS1_30default_config_static_selectorELNS0_4arch9wavefront6targetE0EEEvT1_
                                        ; -- End function
	.section	.AMDGPU.csdata,"",@progbits
; Kernel info:
; codeLenInByte = 1008
; NumSgprs: 22
; NumVgprs: 6
; ScratchSize: 0
; MemoryBound: 0
; FloatMode: 240
; IeeeMode: 1
; LDSByteSize: 8192 bytes/workgroup (compile time only)
; SGPRBlocks: 2
; VGPRBlocks: 0
; NumSGPRsForWavesPerEU: 22
; NumVGPRsForWavesPerEU: 6
; Occupancy: 16
; WaveLimiterHint : 0
; COMPUTE_PGM_RSRC2:SCRATCH_EN: 0
; COMPUTE_PGM_RSRC2:USER_SGPR: 15
; COMPUTE_PGM_RSRC2:TRAP_HANDLER: 0
; COMPUTE_PGM_RSRC2:TGID_X_EN: 1
; COMPUTE_PGM_RSRC2:TGID_Y_EN: 0
; COMPUTE_PGM_RSRC2:TGID_Z_EN: 0
; COMPUTE_PGM_RSRC2:TIDIG_COMP_CNT: 0
	.section	.text._ZN7rocprim17ROCPRIM_400000_NS6detail17trampoline_kernelINS0_14default_configENS1_35adjacent_difference_config_selectorILb0ExEEZNS1_24adjacent_difference_implIS3_Lb0ELb0EPxS7_N6thrust23THRUST_200600_302600_NS4plusIxEEEE10hipError_tPvRmT2_T3_mT4_P12ihipStream_tbEUlT_E_NS1_11comp_targetILNS1_3genE8ELNS1_11target_archE1030ELNS1_3gpuE2ELNS1_3repE0EEENS1_30default_config_static_selectorELNS0_4arch9wavefront6targetE0EEEvT1_,"axG",@progbits,_ZN7rocprim17ROCPRIM_400000_NS6detail17trampoline_kernelINS0_14default_configENS1_35adjacent_difference_config_selectorILb0ExEEZNS1_24adjacent_difference_implIS3_Lb0ELb0EPxS7_N6thrust23THRUST_200600_302600_NS4plusIxEEEE10hipError_tPvRmT2_T3_mT4_P12ihipStream_tbEUlT_E_NS1_11comp_targetILNS1_3genE8ELNS1_11target_archE1030ELNS1_3gpuE2ELNS1_3repE0EEENS1_30default_config_static_selectorELNS0_4arch9wavefront6targetE0EEEvT1_,comdat
	.protected	_ZN7rocprim17ROCPRIM_400000_NS6detail17trampoline_kernelINS0_14default_configENS1_35adjacent_difference_config_selectorILb0ExEEZNS1_24adjacent_difference_implIS3_Lb0ELb0EPxS7_N6thrust23THRUST_200600_302600_NS4plusIxEEEE10hipError_tPvRmT2_T3_mT4_P12ihipStream_tbEUlT_E_NS1_11comp_targetILNS1_3genE8ELNS1_11target_archE1030ELNS1_3gpuE2ELNS1_3repE0EEENS1_30default_config_static_selectorELNS0_4arch9wavefront6targetE0EEEvT1_ ; -- Begin function _ZN7rocprim17ROCPRIM_400000_NS6detail17trampoline_kernelINS0_14default_configENS1_35adjacent_difference_config_selectorILb0ExEEZNS1_24adjacent_difference_implIS3_Lb0ELb0EPxS7_N6thrust23THRUST_200600_302600_NS4plusIxEEEE10hipError_tPvRmT2_T3_mT4_P12ihipStream_tbEUlT_E_NS1_11comp_targetILNS1_3genE8ELNS1_11target_archE1030ELNS1_3gpuE2ELNS1_3repE0EEENS1_30default_config_static_selectorELNS0_4arch9wavefront6targetE0EEEvT1_
	.globl	_ZN7rocprim17ROCPRIM_400000_NS6detail17trampoline_kernelINS0_14default_configENS1_35adjacent_difference_config_selectorILb0ExEEZNS1_24adjacent_difference_implIS3_Lb0ELb0EPxS7_N6thrust23THRUST_200600_302600_NS4plusIxEEEE10hipError_tPvRmT2_T3_mT4_P12ihipStream_tbEUlT_E_NS1_11comp_targetILNS1_3genE8ELNS1_11target_archE1030ELNS1_3gpuE2ELNS1_3repE0EEENS1_30default_config_static_selectorELNS0_4arch9wavefront6targetE0EEEvT1_
	.p2align	8
	.type	_ZN7rocprim17ROCPRIM_400000_NS6detail17trampoline_kernelINS0_14default_configENS1_35adjacent_difference_config_selectorILb0ExEEZNS1_24adjacent_difference_implIS3_Lb0ELb0EPxS7_N6thrust23THRUST_200600_302600_NS4plusIxEEEE10hipError_tPvRmT2_T3_mT4_P12ihipStream_tbEUlT_E_NS1_11comp_targetILNS1_3genE8ELNS1_11target_archE1030ELNS1_3gpuE2ELNS1_3repE0EEENS1_30default_config_static_selectorELNS0_4arch9wavefront6targetE0EEEvT1_,@function
_ZN7rocprim17ROCPRIM_400000_NS6detail17trampoline_kernelINS0_14default_configENS1_35adjacent_difference_config_selectorILb0ExEEZNS1_24adjacent_difference_implIS3_Lb0ELb0EPxS7_N6thrust23THRUST_200600_302600_NS4plusIxEEEE10hipError_tPvRmT2_T3_mT4_P12ihipStream_tbEUlT_E_NS1_11comp_targetILNS1_3genE8ELNS1_11target_archE1030ELNS1_3gpuE2ELNS1_3repE0EEENS1_30default_config_static_selectorELNS0_4arch9wavefront6targetE0EEEvT1_: ; @_ZN7rocprim17ROCPRIM_400000_NS6detail17trampoline_kernelINS0_14default_configENS1_35adjacent_difference_config_selectorILb0ExEEZNS1_24adjacent_difference_implIS3_Lb0ELb0EPxS7_N6thrust23THRUST_200600_302600_NS4plusIxEEEE10hipError_tPvRmT2_T3_mT4_P12ihipStream_tbEUlT_E_NS1_11comp_targetILNS1_3genE8ELNS1_11target_archE1030ELNS1_3gpuE2ELNS1_3repE0EEENS1_30default_config_static_selectorELNS0_4arch9wavefront6targetE0EEEvT1_
; %bb.0:
	.section	.rodata,"a",@progbits
	.p2align	6, 0x0
	.amdhsa_kernel _ZN7rocprim17ROCPRIM_400000_NS6detail17trampoline_kernelINS0_14default_configENS1_35adjacent_difference_config_selectorILb0ExEEZNS1_24adjacent_difference_implIS3_Lb0ELb0EPxS7_N6thrust23THRUST_200600_302600_NS4plusIxEEEE10hipError_tPvRmT2_T3_mT4_P12ihipStream_tbEUlT_E_NS1_11comp_targetILNS1_3genE8ELNS1_11target_archE1030ELNS1_3gpuE2ELNS1_3repE0EEENS1_30default_config_static_selectorELNS0_4arch9wavefront6targetE0EEEvT1_
		.amdhsa_group_segment_fixed_size 0
		.amdhsa_private_segment_fixed_size 0
		.amdhsa_kernarg_size 56
		.amdhsa_user_sgpr_count 15
		.amdhsa_user_sgpr_dispatch_ptr 0
		.amdhsa_user_sgpr_queue_ptr 0
		.amdhsa_user_sgpr_kernarg_segment_ptr 1
		.amdhsa_user_sgpr_dispatch_id 0
		.amdhsa_user_sgpr_private_segment_size 0
		.amdhsa_wavefront_size32 1
		.amdhsa_uses_dynamic_stack 0
		.amdhsa_enable_private_segment 0
		.amdhsa_system_sgpr_workgroup_id_x 1
		.amdhsa_system_sgpr_workgroup_id_y 0
		.amdhsa_system_sgpr_workgroup_id_z 0
		.amdhsa_system_sgpr_workgroup_info 0
		.amdhsa_system_vgpr_workitem_id 0
		.amdhsa_next_free_vgpr 1
		.amdhsa_next_free_sgpr 1
		.amdhsa_reserve_vcc 0
		.amdhsa_float_round_mode_32 0
		.amdhsa_float_round_mode_16_64 0
		.amdhsa_float_denorm_mode_32 3
		.amdhsa_float_denorm_mode_16_64 3
		.amdhsa_dx10_clamp 1
		.amdhsa_ieee_mode 1
		.amdhsa_fp16_overflow 0
		.amdhsa_workgroup_processor_mode 1
		.amdhsa_memory_ordered 1
		.amdhsa_forward_progress 0
		.amdhsa_shared_vgpr_count 0
		.amdhsa_exception_fp_ieee_invalid_op 0
		.amdhsa_exception_fp_denorm_src 0
		.amdhsa_exception_fp_ieee_div_zero 0
		.amdhsa_exception_fp_ieee_overflow 0
		.amdhsa_exception_fp_ieee_underflow 0
		.amdhsa_exception_fp_ieee_inexact 0
		.amdhsa_exception_int_div_zero 0
	.end_amdhsa_kernel
	.section	.text._ZN7rocprim17ROCPRIM_400000_NS6detail17trampoline_kernelINS0_14default_configENS1_35adjacent_difference_config_selectorILb0ExEEZNS1_24adjacent_difference_implIS3_Lb0ELb0EPxS7_N6thrust23THRUST_200600_302600_NS4plusIxEEEE10hipError_tPvRmT2_T3_mT4_P12ihipStream_tbEUlT_E_NS1_11comp_targetILNS1_3genE8ELNS1_11target_archE1030ELNS1_3gpuE2ELNS1_3repE0EEENS1_30default_config_static_selectorELNS0_4arch9wavefront6targetE0EEEvT1_,"axG",@progbits,_ZN7rocprim17ROCPRIM_400000_NS6detail17trampoline_kernelINS0_14default_configENS1_35adjacent_difference_config_selectorILb0ExEEZNS1_24adjacent_difference_implIS3_Lb0ELb0EPxS7_N6thrust23THRUST_200600_302600_NS4plusIxEEEE10hipError_tPvRmT2_T3_mT4_P12ihipStream_tbEUlT_E_NS1_11comp_targetILNS1_3genE8ELNS1_11target_archE1030ELNS1_3gpuE2ELNS1_3repE0EEENS1_30default_config_static_selectorELNS0_4arch9wavefront6targetE0EEEvT1_,comdat
.Lfunc_end289:
	.size	_ZN7rocprim17ROCPRIM_400000_NS6detail17trampoline_kernelINS0_14default_configENS1_35adjacent_difference_config_selectorILb0ExEEZNS1_24adjacent_difference_implIS3_Lb0ELb0EPxS7_N6thrust23THRUST_200600_302600_NS4plusIxEEEE10hipError_tPvRmT2_T3_mT4_P12ihipStream_tbEUlT_E_NS1_11comp_targetILNS1_3genE8ELNS1_11target_archE1030ELNS1_3gpuE2ELNS1_3repE0EEENS1_30default_config_static_selectorELNS0_4arch9wavefront6targetE0EEEvT1_, .Lfunc_end289-_ZN7rocprim17ROCPRIM_400000_NS6detail17trampoline_kernelINS0_14default_configENS1_35adjacent_difference_config_selectorILb0ExEEZNS1_24adjacent_difference_implIS3_Lb0ELb0EPxS7_N6thrust23THRUST_200600_302600_NS4plusIxEEEE10hipError_tPvRmT2_T3_mT4_P12ihipStream_tbEUlT_E_NS1_11comp_targetILNS1_3genE8ELNS1_11target_archE1030ELNS1_3gpuE2ELNS1_3repE0EEENS1_30default_config_static_selectorELNS0_4arch9wavefront6targetE0EEEvT1_
                                        ; -- End function
	.section	.AMDGPU.csdata,"",@progbits
; Kernel info:
; codeLenInByte = 0
; NumSgprs: 0
; NumVgprs: 0
; ScratchSize: 0
; MemoryBound: 0
; FloatMode: 240
; IeeeMode: 1
; LDSByteSize: 0 bytes/workgroup (compile time only)
; SGPRBlocks: 0
; VGPRBlocks: 0
; NumSGPRsForWavesPerEU: 1
; NumVGPRsForWavesPerEU: 1
; Occupancy: 16
; WaveLimiterHint : 0
; COMPUTE_PGM_RSRC2:SCRATCH_EN: 0
; COMPUTE_PGM_RSRC2:USER_SGPR: 15
; COMPUTE_PGM_RSRC2:TRAP_HANDLER: 0
; COMPUTE_PGM_RSRC2:TGID_X_EN: 1
; COMPUTE_PGM_RSRC2:TGID_Y_EN: 0
; COMPUTE_PGM_RSRC2:TGID_Z_EN: 0
; COMPUTE_PGM_RSRC2:TIDIG_COMP_CNT: 0
	.section	.text._ZN7rocprim17ROCPRIM_400000_NS6detail17trampoline_kernelINS0_14default_configENS1_25transform_config_selectorIxLb0EEEZNS1_14transform_implILb0ES3_S5_NS0_18transform_iteratorINS0_17counting_iteratorImlEEZNS1_24adjacent_difference_implIS3_Lb1ELb0EPxSB_N6thrust23THRUST_200600_302600_NS4plusIxEEEE10hipError_tPvRmT2_T3_mT4_P12ihipStream_tbEUlmE_xEESB_NS0_8identityIvEEEESG_SJ_SK_mSL_SN_bEUlT_E_NS1_11comp_targetILNS1_3genE0ELNS1_11target_archE4294967295ELNS1_3gpuE0ELNS1_3repE0EEENS1_30default_config_static_selectorELNS0_4arch9wavefront6targetE0EEEvT1_,"axG",@progbits,_ZN7rocprim17ROCPRIM_400000_NS6detail17trampoline_kernelINS0_14default_configENS1_25transform_config_selectorIxLb0EEEZNS1_14transform_implILb0ES3_S5_NS0_18transform_iteratorINS0_17counting_iteratorImlEEZNS1_24adjacent_difference_implIS3_Lb1ELb0EPxSB_N6thrust23THRUST_200600_302600_NS4plusIxEEEE10hipError_tPvRmT2_T3_mT4_P12ihipStream_tbEUlmE_xEESB_NS0_8identityIvEEEESG_SJ_SK_mSL_SN_bEUlT_E_NS1_11comp_targetILNS1_3genE0ELNS1_11target_archE4294967295ELNS1_3gpuE0ELNS1_3repE0EEENS1_30default_config_static_selectorELNS0_4arch9wavefront6targetE0EEEvT1_,comdat
	.protected	_ZN7rocprim17ROCPRIM_400000_NS6detail17trampoline_kernelINS0_14default_configENS1_25transform_config_selectorIxLb0EEEZNS1_14transform_implILb0ES3_S5_NS0_18transform_iteratorINS0_17counting_iteratorImlEEZNS1_24adjacent_difference_implIS3_Lb1ELb0EPxSB_N6thrust23THRUST_200600_302600_NS4plusIxEEEE10hipError_tPvRmT2_T3_mT4_P12ihipStream_tbEUlmE_xEESB_NS0_8identityIvEEEESG_SJ_SK_mSL_SN_bEUlT_E_NS1_11comp_targetILNS1_3genE0ELNS1_11target_archE4294967295ELNS1_3gpuE0ELNS1_3repE0EEENS1_30default_config_static_selectorELNS0_4arch9wavefront6targetE0EEEvT1_ ; -- Begin function _ZN7rocprim17ROCPRIM_400000_NS6detail17trampoline_kernelINS0_14default_configENS1_25transform_config_selectorIxLb0EEEZNS1_14transform_implILb0ES3_S5_NS0_18transform_iteratorINS0_17counting_iteratorImlEEZNS1_24adjacent_difference_implIS3_Lb1ELb0EPxSB_N6thrust23THRUST_200600_302600_NS4plusIxEEEE10hipError_tPvRmT2_T3_mT4_P12ihipStream_tbEUlmE_xEESB_NS0_8identityIvEEEESG_SJ_SK_mSL_SN_bEUlT_E_NS1_11comp_targetILNS1_3genE0ELNS1_11target_archE4294967295ELNS1_3gpuE0ELNS1_3repE0EEENS1_30default_config_static_selectorELNS0_4arch9wavefront6targetE0EEEvT1_
	.globl	_ZN7rocprim17ROCPRIM_400000_NS6detail17trampoline_kernelINS0_14default_configENS1_25transform_config_selectorIxLb0EEEZNS1_14transform_implILb0ES3_S5_NS0_18transform_iteratorINS0_17counting_iteratorImlEEZNS1_24adjacent_difference_implIS3_Lb1ELb0EPxSB_N6thrust23THRUST_200600_302600_NS4plusIxEEEE10hipError_tPvRmT2_T3_mT4_P12ihipStream_tbEUlmE_xEESB_NS0_8identityIvEEEESG_SJ_SK_mSL_SN_bEUlT_E_NS1_11comp_targetILNS1_3genE0ELNS1_11target_archE4294967295ELNS1_3gpuE0ELNS1_3repE0EEENS1_30default_config_static_selectorELNS0_4arch9wavefront6targetE0EEEvT1_
	.p2align	8
	.type	_ZN7rocprim17ROCPRIM_400000_NS6detail17trampoline_kernelINS0_14default_configENS1_25transform_config_selectorIxLb0EEEZNS1_14transform_implILb0ES3_S5_NS0_18transform_iteratorINS0_17counting_iteratorImlEEZNS1_24adjacent_difference_implIS3_Lb1ELb0EPxSB_N6thrust23THRUST_200600_302600_NS4plusIxEEEE10hipError_tPvRmT2_T3_mT4_P12ihipStream_tbEUlmE_xEESB_NS0_8identityIvEEEESG_SJ_SK_mSL_SN_bEUlT_E_NS1_11comp_targetILNS1_3genE0ELNS1_11target_archE4294967295ELNS1_3gpuE0ELNS1_3repE0EEENS1_30default_config_static_selectorELNS0_4arch9wavefront6targetE0EEEvT1_,@function
_ZN7rocprim17ROCPRIM_400000_NS6detail17trampoline_kernelINS0_14default_configENS1_25transform_config_selectorIxLb0EEEZNS1_14transform_implILb0ES3_S5_NS0_18transform_iteratorINS0_17counting_iteratorImlEEZNS1_24adjacent_difference_implIS3_Lb1ELb0EPxSB_N6thrust23THRUST_200600_302600_NS4plusIxEEEE10hipError_tPvRmT2_T3_mT4_P12ihipStream_tbEUlmE_xEESB_NS0_8identityIvEEEESG_SJ_SK_mSL_SN_bEUlT_E_NS1_11comp_targetILNS1_3genE0ELNS1_11target_archE4294967295ELNS1_3gpuE0ELNS1_3repE0EEENS1_30default_config_static_selectorELNS0_4arch9wavefront6targetE0EEEvT1_: ; @_ZN7rocprim17ROCPRIM_400000_NS6detail17trampoline_kernelINS0_14default_configENS1_25transform_config_selectorIxLb0EEEZNS1_14transform_implILb0ES3_S5_NS0_18transform_iteratorINS0_17counting_iteratorImlEEZNS1_24adjacent_difference_implIS3_Lb1ELb0EPxSB_N6thrust23THRUST_200600_302600_NS4plusIxEEEE10hipError_tPvRmT2_T3_mT4_P12ihipStream_tbEUlmE_xEESB_NS0_8identityIvEEEESG_SJ_SK_mSL_SN_bEUlT_E_NS1_11comp_targetILNS1_3genE0ELNS1_11target_archE4294967295ELNS1_3gpuE0ELNS1_3repE0EEENS1_30default_config_static_selectorELNS0_4arch9wavefront6targetE0EEEvT1_
; %bb.0:
	.section	.rodata,"a",@progbits
	.p2align	6, 0x0
	.amdhsa_kernel _ZN7rocprim17ROCPRIM_400000_NS6detail17trampoline_kernelINS0_14default_configENS1_25transform_config_selectorIxLb0EEEZNS1_14transform_implILb0ES3_S5_NS0_18transform_iteratorINS0_17counting_iteratorImlEEZNS1_24adjacent_difference_implIS3_Lb1ELb0EPxSB_N6thrust23THRUST_200600_302600_NS4plusIxEEEE10hipError_tPvRmT2_T3_mT4_P12ihipStream_tbEUlmE_xEESB_NS0_8identityIvEEEESG_SJ_SK_mSL_SN_bEUlT_E_NS1_11comp_targetILNS1_3genE0ELNS1_11target_archE4294967295ELNS1_3gpuE0ELNS1_3repE0EEENS1_30default_config_static_selectorELNS0_4arch9wavefront6targetE0EEEvT1_
		.amdhsa_group_segment_fixed_size 0
		.amdhsa_private_segment_fixed_size 0
		.amdhsa_kernarg_size 56
		.amdhsa_user_sgpr_count 15
		.amdhsa_user_sgpr_dispatch_ptr 0
		.amdhsa_user_sgpr_queue_ptr 0
		.amdhsa_user_sgpr_kernarg_segment_ptr 1
		.amdhsa_user_sgpr_dispatch_id 0
		.amdhsa_user_sgpr_private_segment_size 0
		.amdhsa_wavefront_size32 1
		.amdhsa_uses_dynamic_stack 0
		.amdhsa_enable_private_segment 0
		.amdhsa_system_sgpr_workgroup_id_x 1
		.amdhsa_system_sgpr_workgroup_id_y 0
		.amdhsa_system_sgpr_workgroup_id_z 0
		.amdhsa_system_sgpr_workgroup_info 0
		.amdhsa_system_vgpr_workitem_id 0
		.amdhsa_next_free_vgpr 1
		.amdhsa_next_free_sgpr 1
		.amdhsa_reserve_vcc 0
		.amdhsa_float_round_mode_32 0
		.amdhsa_float_round_mode_16_64 0
		.amdhsa_float_denorm_mode_32 3
		.amdhsa_float_denorm_mode_16_64 3
		.amdhsa_dx10_clamp 1
		.amdhsa_ieee_mode 1
		.amdhsa_fp16_overflow 0
		.amdhsa_workgroup_processor_mode 1
		.amdhsa_memory_ordered 1
		.amdhsa_forward_progress 0
		.amdhsa_shared_vgpr_count 0
		.amdhsa_exception_fp_ieee_invalid_op 0
		.amdhsa_exception_fp_denorm_src 0
		.amdhsa_exception_fp_ieee_div_zero 0
		.amdhsa_exception_fp_ieee_overflow 0
		.amdhsa_exception_fp_ieee_underflow 0
		.amdhsa_exception_fp_ieee_inexact 0
		.amdhsa_exception_int_div_zero 0
	.end_amdhsa_kernel
	.section	.text._ZN7rocprim17ROCPRIM_400000_NS6detail17trampoline_kernelINS0_14default_configENS1_25transform_config_selectorIxLb0EEEZNS1_14transform_implILb0ES3_S5_NS0_18transform_iteratorINS0_17counting_iteratorImlEEZNS1_24adjacent_difference_implIS3_Lb1ELb0EPxSB_N6thrust23THRUST_200600_302600_NS4plusIxEEEE10hipError_tPvRmT2_T3_mT4_P12ihipStream_tbEUlmE_xEESB_NS0_8identityIvEEEESG_SJ_SK_mSL_SN_bEUlT_E_NS1_11comp_targetILNS1_3genE0ELNS1_11target_archE4294967295ELNS1_3gpuE0ELNS1_3repE0EEENS1_30default_config_static_selectorELNS0_4arch9wavefront6targetE0EEEvT1_,"axG",@progbits,_ZN7rocprim17ROCPRIM_400000_NS6detail17trampoline_kernelINS0_14default_configENS1_25transform_config_selectorIxLb0EEEZNS1_14transform_implILb0ES3_S5_NS0_18transform_iteratorINS0_17counting_iteratorImlEEZNS1_24adjacent_difference_implIS3_Lb1ELb0EPxSB_N6thrust23THRUST_200600_302600_NS4plusIxEEEE10hipError_tPvRmT2_T3_mT4_P12ihipStream_tbEUlmE_xEESB_NS0_8identityIvEEEESG_SJ_SK_mSL_SN_bEUlT_E_NS1_11comp_targetILNS1_3genE0ELNS1_11target_archE4294967295ELNS1_3gpuE0ELNS1_3repE0EEENS1_30default_config_static_selectorELNS0_4arch9wavefront6targetE0EEEvT1_,comdat
.Lfunc_end290:
	.size	_ZN7rocprim17ROCPRIM_400000_NS6detail17trampoline_kernelINS0_14default_configENS1_25transform_config_selectorIxLb0EEEZNS1_14transform_implILb0ES3_S5_NS0_18transform_iteratorINS0_17counting_iteratorImlEEZNS1_24adjacent_difference_implIS3_Lb1ELb0EPxSB_N6thrust23THRUST_200600_302600_NS4plusIxEEEE10hipError_tPvRmT2_T3_mT4_P12ihipStream_tbEUlmE_xEESB_NS0_8identityIvEEEESG_SJ_SK_mSL_SN_bEUlT_E_NS1_11comp_targetILNS1_3genE0ELNS1_11target_archE4294967295ELNS1_3gpuE0ELNS1_3repE0EEENS1_30default_config_static_selectorELNS0_4arch9wavefront6targetE0EEEvT1_, .Lfunc_end290-_ZN7rocprim17ROCPRIM_400000_NS6detail17trampoline_kernelINS0_14default_configENS1_25transform_config_selectorIxLb0EEEZNS1_14transform_implILb0ES3_S5_NS0_18transform_iteratorINS0_17counting_iteratorImlEEZNS1_24adjacent_difference_implIS3_Lb1ELb0EPxSB_N6thrust23THRUST_200600_302600_NS4plusIxEEEE10hipError_tPvRmT2_T3_mT4_P12ihipStream_tbEUlmE_xEESB_NS0_8identityIvEEEESG_SJ_SK_mSL_SN_bEUlT_E_NS1_11comp_targetILNS1_3genE0ELNS1_11target_archE4294967295ELNS1_3gpuE0ELNS1_3repE0EEENS1_30default_config_static_selectorELNS0_4arch9wavefront6targetE0EEEvT1_
                                        ; -- End function
	.section	.AMDGPU.csdata,"",@progbits
; Kernel info:
; codeLenInByte = 0
; NumSgprs: 0
; NumVgprs: 0
; ScratchSize: 0
; MemoryBound: 0
; FloatMode: 240
; IeeeMode: 1
; LDSByteSize: 0 bytes/workgroup (compile time only)
; SGPRBlocks: 0
; VGPRBlocks: 0
; NumSGPRsForWavesPerEU: 1
; NumVGPRsForWavesPerEU: 1
; Occupancy: 16
; WaveLimiterHint : 0
; COMPUTE_PGM_RSRC2:SCRATCH_EN: 0
; COMPUTE_PGM_RSRC2:USER_SGPR: 15
; COMPUTE_PGM_RSRC2:TRAP_HANDLER: 0
; COMPUTE_PGM_RSRC2:TGID_X_EN: 1
; COMPUTE_PGM_RSRC2:TGID_Y_EN: 0
; COMPUTE_PGM_RSRC2:TGID_Z_EN: 0
; COMPUTE_PGM_RSRC2:TIDIG_COMP_CNT: 0
	.section	.text._ZN7rocprim17ROCPRIM_400000_NS6detail17trampoline_kernelINS0_14default_configENS1_25transform_config_selectorIxLb0EEEZNS1_14transform_implILb0ES3_S5_NS0_18transform_iteratorINS0_17counting_iteratorImlEEZNS1_24adjacent_difference_implIS3_Lb1ELb0EPxSB_N6thrust23THRUST_200600_302600_NS4plusIxEEEE10hipError_tPvRmT2_T3_mT4_P12ihipStream_tbEUlmE_xEESB_NS0_8identityIvEEEESG_SJ_SK_mSL_SN_bEUlT_E_NS1_11comp_targetILNS1_3genE5ELNS1_11target_archE942ELNS1_3gpuE9ELNS1_3repE0EEENS1_30default_config_static_selectorELNS0_4arch9wavefront6targetE0EEEvT1_,"axG",@progbits,_ZN7rocprim17ROCPRIM_400000_NS6detail17trampoline_kernelINS0_14default_configENS1_25transform_config_selectorIxLb0EEEZNS1_14transform_implILb0ES3_S5_NS0_18transform_iteratorINS0_17counting_iteratorImlEEZNS1_24adjacent_difference_implIS3_Lb1ELb0EPxSB_N6thrust23THRUST_200600_302600_NS4plusIxEEEE10hipError_tPvRmT2_T3_mT4_P12ihipStream_tbEUlmE_xEESB_NS0_8identityIvEEEESG_SJ_SK_mSL_SN_bEUlT_E_NS1_11comp_targetILNS1_3genE5ELNS1_11target_archE942ELNS1_3gpuE9ELNS1_3repE0EEENS1_30default_config_static_selectorELNS0_4arch9wavefront6targetE0EEEvT1_,comdat
	.protected	_ZN7rocprim17ROCPRIM_400000_NS6detail17trampoline_kernelINS0_14default_configENS1_25transform_config_selectorIxLb0EEEZNS1_14transform_implILb0ES3_S5_NS0_18transform_iteratorINS0_17counting_iteratorImlEEZNS1_24adjacent_difference_implIS3_Lb1ELb0EPxSB_N6thrust23THRUST_200600_302600_NS4plusIxEEEE10hipError_tPvRmT2_T3_mT4_P12ihipStream_tbEUlmE_xEESB_NS0_8identityIvEEEESG_SJ_SK_mSL_SN_bEUlT_E_NS1_11comp_targetILNS1_3genE5ELNS1_11target_archE942ELNS1_3gpuE9ELNS1_3repE0EEENS1_30default_config_static_selectorELNS0_4arch9wavefront6targetE0EEEvT1_ ; -- Begin function _ZN7rocprim17ROCPRIM_400000_NS6detail17trampoline_kernelINS0_14default_configENS1_25transform_config_selectorIxLb0EEEZNS1_14transform_implILb0ES3_S5_NS0_18transform_iteratorINS0_17counting_iteratorImlEEZNS1_24adjacent_difference_implIS3_Lb1ELb0EPxSB_N6thrust23THRUST_200600_302600_NS4plusIxEEEE10hipError_tPvRmT2_T3_mT4_P12ihipStream_tbEUlmE_xEESB_NS0_8identityIvEEEESG_SJ_SK_mSL_SN_bEUlT_E_NS1_11comp_targetILNS1_3genE5ELNS1_11target_archE942ELNS1_3gpuE9ELNS1_3repE0EEENS1_30default_config_static_selectorELNS0_4arch9wavefront6targetE0EEEvT1_
	.globl	_ZN7rocprim17ROCPRIM_400000_NS6detail17trampoline_kernelINS0_14default_configENS1_25transform_config_selectorIxLb0EEEZNS1_14transform_implILb0ES3_S5_NS0_18transform_iteratorINS0_17counting_iteratorImlEEZNS1_24adjacent_difference_implIS3_Lb1ELb0EPxSB_N6thrust23THRUST_200600_302600_NS4plusIxEEEE10hipError_tPvRmT2_T3_mT4_P12ihipStream_tbEUlmE_xEESB_NS0_8identityIvEEEESG_SJ_SK_mSL_SN_bEUlT_E_NS1_11comp_targetILNS1_3genE5ELNS1_11target_archE942ELNS1_3gpuE9ELNS1_3repE0EEENS1_30default_config_static_selectorELNS0_4arch9wavefront6targetE0EEEvT1_
	.p2align	8
	.type	_ZN7rocprim17ROCPRIM_400000_NS6detail17trampoline_kernelINS0_14default_configENS1_25transform_config_selectorIxLb0EEEZNS1_14transform_implILb0ES3_S5_NS0_18transform_iteratorINS0_17counting_iteratorImlEEZNS1_24adjacent_difference_implIS3_Lb1ELb0EPxSB_N6thrust23THRUST_200600_302600_NS4plusIxEEEE10hipError_tPvRmT2_T3_mT4_P12ihipStream_tbEUlmE_xEESB_NS0_8identityIvEEEESG_SJ_SK_mSL_SN_bEUlT_E_NS1_11comp_targetILNS1_3genE5ELNS1_11target_archE942ELNS1_3gpuE9ELNS1_3repE0EEENS1_30default_config_static_selectorELNS0_4arch9wavefront6targetE0EEEvT1_,@function
_ZN7rocprim17ROCPRIM_400000_NS6detail17trampoline_kernelINS0_14default_configENS1_25transform_config_selectorIxLb0EEEZNS1_14transform_implILb0ES3_S5_NS0_18transform_iteratorINS0_17counting_iteratorImlEEZNS1_24adjacent_difference_implIS3_Lb1ELb0EPxSB_N6thrust23THRUST_200600_302600_NS4plusIxEEEE10hipError_tPvRmT2_T3_mT4_P12ihipStream_tbEUlmE_xEESB_NS0_8identityIvEEEESG_SJ_SK_mSL_SN_bEUlT_E_NS1_11comp_targetILNS1_3genE5ELNS1_11target_archE942ELNS1_3gpuE9ELNS1_3repE0EEENS1_30default_config_static_selectorELNS0_4arch9wavefront6targetE0EEEvT1_: ; @_ZN7rocprim17ROCPRIM_400000_NS6detail17trampoline_kernelINS0_14default_configENS1_25transform_config_selectorIxLb0EEEZNS1_14transform_implILb0ES3_S5_NS0_18transform_iteratorINS0_17counting_iteratorImlEEZNS1_24adjacent_difference_implIS3_Lb1ELb0EPxSB_N6thrust23THRUST_200600_302600_NS4plusIxEEEE10hipError_tPvRmT2_T3_mT4_P12ihipStream_tbEUlmE_xEESB_NS0_8identityIvEEEESG_SJ_SK_mSL_SN_bEUlT_E_NS1_11comp_targetILNS1_3genE5ELNS1_11target_archE942ELNS1_3gpuE9ELNS1_3repE0EEENS1_30default_config_static_selectorELNS0_4arch9wavefront6targetE0EEEvT1_
; %bb.0:
	.section	.rodata,"a",@progbits
	.p2align	6, 0x0
	.amdhsa_kernel _ZN7rocprim17ROCPRIM_400000_NS6detail17trampoline_kernelINS0_14default_configENS1_25transform_config_selectorIxLb0EEEZNS1_14transform_implILb0ES3_S5_NS0_18transform_iteratorINS0_17counting_iteratorImlEEZNS1_24adjacent_difference_implIS3_Lb1ELb0EPxSB_N6thrust23THRUST_200600_302600_NS4plusIxEEEE10hipError_tPvRmT2_T3_mT4_P12ihipStream_tbEUlmE_xEESB_NS0_8identityIvEEEESG_SJ_SK_mSL_SN_bEUlT_E_NS1_11comp_targetILNS1_3genE5ELNS1_11target_archE942ELNS1_3gpuE9ELNS1_3repE0EEENS1_30default_config_static_selectorELNS0_4arch9wavefront6targetE0EEEvT1_
		.amdhsa_group_segment_fixed_size 0
		.amdhsa_private_segment_fixed_size 0
		.amdhsa_kernarg_size 56
		.amdhsa_user_sgpr_count 15
		.amdhsa_user_sgpr_dispatch_ptr 0
		.amdhsa_user_sgpr_queue_ptr 0
		.amdhsa_user_sgpr_kernarg_segment_ptr 1
		.amdhsa_user_sgpr_dispatch_id 0
		.amdhsa_user_sgpr_private_segment_size 0
		.amdhsa_wavefront_size32 1
		.amdhsa_uses_dynamic_stack 0
		.amdhsa_enable_private_segment 0
		.amdhsa_system_sgpr_workgroup_id_x 1
		.amdhsa_system_sgpr_workgroup_id_y 0
		.amdhsa_system_sgpr_workgroup_id_z 0
		.amdhsa_system_sgpr_workgroup_info 0
		.amdhsa_system_vgpr_workitem_id 0
		.amdhsa_next_free_vgpr 1
		.amdhsa_next_free_sgpr 1
		.amdhsa_reserve_vcc 0
		.amdhsa_float_round_mode_32 0
		.amdhsa_float_round_mode_16_64 0
		.amdhsa_float_denorm_mode_32 3
		.amdhsa_float_denorm_mode_16_64 3
		.amdhsa_dx10_clamp 1
		.amdhsa_ieee_mode 1
		.amdhsa_fp16_overflow 0
		.amdhsa_workgroup_processor_mode 1
		.amdhsa_memory_ordered 1
		.amdhsa_forward_progress 0
		.amdhsa_shared_vgpr_count 0
		.amdhsa_exception_fp_ieee_invalid_op 0
		.amdhsa_exception_fp_denorm_src 0
		.amdhsa_exception_fp_ieee_div_zero 0
		.amdhsa_exception_fp_ieee_overflow 0
		.amdhsa_exception_fp_ieee_underflow 0
		.amdhsa_exception_fp_ieee_inexact 0
		.amdhsa_exception_int_div_zero 0
	.end_amdhsa_kernel
	.section	.text._ZN7rocprim17ROCPRIM_400000_NS6detail17trampoline_kernelINS0_14default_configENS1_25transform_config_selectorIxLb0EEEZNS1_14transform_implILb0ES3_S5_NS0_18transform_iteratorINS0_17counting_iteratorImlEEZNS1_24adjacent_difference_implIS3_Lb1ELb0EPxSB_N6thrust23THRUST_200600_302600_NS4plusIxEEEE10hipError_tPvRmT2_T3_mT4_P12ihipStream_tbEUlmE_xEESB_NS0_8identityIvEEEESG_SJ_SK_mSL_SN_bEUlT_E_NS1_11comp_targetILNS1_3genE5ELNS1_11target_archE942ELNS1_3gpuE9ELNS1_3repE0EEENS1_30default_config_static_selectorELNS0_4arch9wavefront6targetE0EEEvT1_,"axG",@progbits,_ZN7rocprim17ROCPRIM_400000_NS6detail17trampoline_kernelINS0_14default_configENS1_25transform_config_selectorIxLb0EEEZNS1_14transform_implILb0ES3_S5_NS0_18transform_iteratorINS0_17counting_iteratorImlEEZNS1_24adjacent_difference_implIS3_Lb1ELb0EPxSB_N6thrust23THRUST_200600_302600_NS4plusIxEEEE10hipError_tPvRmT2_T3_mT4_P12ihipStream_tbEUlmE_xEESB_NS0_8identityIvEEEESG_SJ_SK_mSL_SN_bEUlT_E_NS1_11comp_targetILNS1_3genE5ELNS1_11target_archE942ELNS1_3gpuE9ELNS1_3repE0EEENS1_30default_config_static_selectorELNS0_4arch9wavefront6targetE0EEEvT1_,comdat
.Lfunc_end291:
	.size	_ZN7rocprim17ROCPRIM_400000_NS6detail17trampoline_kernelINS0_14default_configENS1_25transform_config_selectorIxLb0EEEZNS1_14transform_implILb0ES3_S5_NS0_18transform_iteratorINS0_17counting_iteratorImlEEZNS1_24adjacent_difference_implIS3_Lb1ELb0EPxSB_N6thrust23THRUST_200600_302600_NS4plusIxEEEE10hipError_tPvRmT2_T3_mT4_P12ihipStream_tbEUlmE_xEESB_NS0_8identityIvEEEESG_SJ_SK_mSL_SN_bEUlT_E_NS1_11comp_targetILNS1_3genE5ELNS1_11target_archE942ELNS1_3gpuE9ELNS1_3repE0EEENS1_30default_config_static_selectorELNS0_4arch9wavefront6targetE0EEEvT1_, .Lfunc_end291-_ZN7rocprim17ROCPRIM_400000_NS6detail17trampoline_kernelINS0_14default_configENS1_25transform_config_selectorIxLb0EEEZNS1_14transform_implILb0ES3_S5_NS0_18transform_iteratorINS0_17counting_iteratorImlEEZNS1_24adjacent_difference_implIS3_Lb1ELb0EPxSB_N6thrust23THRUST_200600_302600_NS4plusIxEEEE10hipError_tPvRmT2_T3_mT4_P12ihipStream_tbEUlmE_xEESB_NS0_8identityIvEEEESG_SJ_SK_mSL_SN_bEUlT_E_NS1_11comp_targetILNS1_3genE5ELNS1_11target_archE942ELNS1_3gpuE9ELNS1_3repE0EEENS1_30default_config_static_selectorELNS0_4arch9wavefront6targetE0EEEvT1_
                                        ; -- End function
	.section	.AMDGPU.csdata,"",@progbits
; Kernel info:
; codeLenInByte = 0
; NumSgprs: 0
; NumVgprs: 0
; ScratchSize: 0
; MemoryBound: 0
; FloatMode: 240
; IeeeMode: 1
; LDSByteSize: 0 bytes/workgroup (compile time only)
; SGPRBlocks: 0
; VGPRBlocks: 0
; NumSGPRsForWavesPerEU: 1
; NumVGPRsForWavesPerEU: 1
; Occupancy: 16
; WaveLimiterHint : 0
; COMPUTE_PGM_RSRC2:SCRATCH_EN: 0
; COMPUTE_PGM_RSRC2:USER_SGPR: 15
; COMPUTE_PGM_RSRC2:TRAP_HANDLER: 0
; COMPUTE_PGM_RSRC2:TGID_X_EN: 1
; COMPUTE_PGM_RSRC2:TGID_Y_EN: 0
; COMPUTE_PGM_RSRC2:TGID_Z_EN: 0
; COMPUTE_PGM_RSRC2:TIDIG_COMP_CNT: 0
	.section	.text._ZN7rocprim17ROCPRIM_400000_NS6detail17trampoline_kernelINS0_14default_configENS1_25transform_config_selectorIxLb0EEEZNS1_14transform_implILb0ES3_S5_NS0_18transform_iteratorINS0_17counting_iteratorImlEEZNS1_24adjacent_difference_implIS3_Lb1ELb0EPxSB_N6thrust23THRUST_200600_302600_NS4plusIxEEEE10hipError_tPvRmT2_T3_mT4_P12ihipStream_tbEUlmE_xEESB_NS0_8identityIvEEEESG_SJ_SK_mSL_SN_bEUlT_E_NS1_11comp_targetILNS1_3genE4ELNS1_11target_archE910ELNS1_3gpuE8ELNS1_3repE0EEENS1_30default_config_static_selectorELNS0_4arch9wavefront6targetE0EEEvT1_,"axG",@progbits,_ZN7rocprim17ROCPRIM_400000_NS6detail17trampoline_kernelINS0_14default_configENS1_25transform_config_selectorIxLb0EEEZNS1_14transform_implILb0ES3_S5_NS0_18transform_iteratorINS0_17counting_iteratorImlEEZNS1_24adjacent_difference_implIS3_Lb1ELb0EPxSB_N6thrust23THRUST_200600_302600_NS4plusIxEEEE10hipError_tPvRmT2_T3_mT4_P12ihipStream_tbEUlmE_xEESB_NS0_8identityIvEEEESG_SJ_SK_mSL_SN_bEUlT_E_NS1_11comp_targetILNS1_3genE4ELNS1_11target_archE910ELNS1_3gpuE8ELNS1_3repE0EEENS1_30default_config_static_selectorELNS0_4arch9wavefront6targetE0EEEvT1_,comdat
	.protected	_ZN7rocprim17ROCPRIM_400000_NS6detail17trampoline_kernelINS0_14default_configENS1_25transform_config_selectorIxLb0EEEZNS1_14transform_implILb0ES3_S5_NS0_18transform_iteratorINS0_17counting_iteratorImlEEZNS1_24adjacent_difference_implIS3_Lb1ELb0EPxSB_N6thrust23THRUST_200600_302600_NS4plusIxEEEE10hipError_tPvRmT2_T3_mT4_P12ihipStream_tbEUlmE_xEESB_NS0_8identityIvEEEESG_SJ_SK_mSL_SN_bEUlT_E_NS1_11comp_targetILNS1_3genE4ELNS1_11target_archE910ELNS1_3gpuE8ELNS1_3repE0EEENS1_30default_config_static_selectorELNS0_4arch9wavefront6targetE0EEEvT1_ ; -- Begin function _ZN7rocprim17ROCPRIM_400000_NS6detail17trampoline_kernelINS0_14default_configENS1_25transform_config_selectorIxLb0EEEZNS1_14transform_implILb0ES3_S5_NS0_18transform_iteratorINS0_17counting_iteratorImlEEZNS1_24adjacent_difference_implIS3_Lb1ELb0EPxSB_N6thrust23THRUST_200600_302600_NS4plusIxEEEE10hipError_tPvRmT2_T3_mT4_P12ihipStream_tbEUlmE_xEESB_NS0_8identityIvEEEESG_SJ_SK_mSL_SN_bEUlT_E_NS1_11comp_targetILNS1_3genE4ELNS1_11target_archE910ELNS1_3gpuE8ELNS1_3repE0EEENS1_30default_config_static_selectorELNS0_4arch9wavefront6targetE0EEEvT1_
	.globl	_ZN7rocprim17ROCPRIM_400000_NS6detail17trampoline_kernelINS0_14default_configENS1_25transform_config_selectorIxLb0EEEZNS1_14transform_implILb0ES3_S5_NS0_18transform_iteratorINS0_17counting_iteratorImlEEZNS1_24adjacent_difference_implIS3_Lb1ELb0EPxSB_N6thrust23THRUST_200600_302600_NS4plusIxEEEE10hipError_tPvRmT2_T3_mT4_P12ihipStream_tbEUlmE_xEESB_NS0_8identityIvEEEESG_SJ_SK_mSL_SN_bEUlT_E_NS1_11comp_targetILNS1_3genE4ELNS1_11target_archE910ELNS1_3gpuE8ELNS1_3repE0EEENS1_30default_config_static_selectorELNS0_4arch9wavefront6targetE0EEEvT1_
	.p2align	8
	.type	_ZN7rocprim17ROCPRIM_400000_NS6detail17trampoline_kernelINS0_14default_configENS1_25transform_config_selectorIxLb0EEEZNS1_14transform_implILb0ES3_S5_NS0_18transform_iteratorINS0_17counting_iteratorImlEEZNS1_24adjacent_difference_implIS3_Lb1ELb0EPxSB_N6thrust23THRUST_200600_302600_NS4plusIxEEEE10hipError_tPvRmT2_T3_mT4_P12ihipStream_tbEUlmE_xEESB_NS0_8identityIvEEEESG_SJ_SK_mSL_SN_bEUlT_E_NS1_11comp_targetILNS1_3genE4ELNS1_11target_archE910ELNS1_3gpuE8ELNS1_3repE0EEENS1_30default_config_static_selectorELNS0_4arch9wavefront6targetE0EEEvT1_,@function
_ZN7rocprim17ROCPRIM_400000_NS6detail17trampoline_kernelINS0_14default_configENS1_25transform_config_selectorIxLb0EEEZNS1_14transform_implILb0ES3_S5_NS0_18transform_iteratorINS0_17counting_iteratorImlEEZNS1_24adjacent_difference_implIS3_Lb1ELb0EPxSB_N6thrust23THRUST_200600_302600_NS4plusIxEEEE10hipError_tPvRmT2_T3_mT4_P12ihipStream_tbEUlmE_xEESB_NS0_8identityIvEEEESG_SJ_SK_mSL_SN_bEUlT_E_NS1_11comp_targetILNS1_3genE4ELNS1_11target_archE910ELNS1_3gpuE8ELNS1_3repE0EEENS1_30default_config_static_selectorELNS0_4arch9wavefront6targetE0EEEvT1_: ; @_ZN7rocprim17ROCPRIM_400000_NS6detail17trampoline_kernelINS0_14default_configENS1_25transform_config_selectorIxLb0EEEZNS1_14transform_implILb0ES3_S5_NS0_18transform_iteratorINS0_17counting_iteratorImlEEZNS1_24adjacent_difference_implIS3_Lb1ELb0EPxSB_N6thrust23THRUST_200600_302600_NS4plusIxEEEE10hipError_tPvRmT2_T3_mT4_P12ihipStream_tbEUlmE_xEESB_NS0_8identityIvEEEESG_SJ_SK_mSL_SN_bEUlT_E_NS1_11comp_targetILNS1_3genE4ELNS1_11target_archE910ELNS1_3gpuE8ELNS1_3repE0EEENS1_30default_config_static_selectorELNS0_4arch9wavefront6targetE0EEEvT1_
; %bb.0:
	.section	.rodata,"a",@progbits
	.p2align	6, 0x0
	.amdhsa_kernel _ZN7rocprim17ROCPRIM_400000_NS6detail17trampoline_kernelINS0_14default_configENS1_25transform_config_selectorIxLb0EEEZNS1_14transform_implILb0ES3_S5_NS0_18transform_iteratorINS0_17counting_iteratorImlEEZNS1_24adjacent_difference_implIS3_Lb1ELb0EPxSB_N6thrust23THRUST_200600_302600_NS4plusIxEEEE10hipError_tPvRmT2_T3_mT4_P12ihipStream_tbEUlmE_xEESB_NS0_8identityIvEEEESG_SJ_SK_mSL_SN_bEUlT_E_NS1_11comp_targetILNS1_3genE4ELNS1_11target_archE910ELNS1_3gpuE8ELNS1_3repE0EEENS1_30default_config_static_selectorELNS0_4arch9wavefront6targetE0EEEvT1_
		.amdhsa_group_segment_fixed_size 0
		.amdhsa_private_segment_fixed_size 0
		.amdhsa_kernarg_size 56
		.amdhsa_user_sgpr_count 15
		.amdhsa_user_sgpr_dispatch_ptr 0
		.amdhsa_user_sgpr_queue_ptr 0
		.amdhsa_user_sgpr_kernarg_segment_ptr 1
		.amdhsa_user_sgpr_dispatch_id 0
		.amdhsa_user_sgpr_private_segment_size 0
		.amdhsa_wavefront_size32 1
		.amdhsa_uses_dynamic_stack 0
		.amdhsa_enable_private_segment 0
		.amdhsa_system_sgpr_workgroup_id_x 1
		.amdhsa_system_sgpr_workgroup_id_y 0
		.amdhsa_system_sgpr_workgroup_id_z 0
		.amdhsa_system_sgpr_workgroup_info 0
		.amdhsa_system_vgpr_workitem_id 0
		.amdhsa_next_free_vgpr 1
		.amdhsa_next_free_sgpr 1
		.amdhsa_reserve_vcc 0
		.amdhsa_float_round_mode_32 0
		.amdhsa_float_round_mode_16_64 0
		.amdhsa_float_denorm_mode_32 3
		.amdhsa_float_denorm_mode_16_64 3
		.amdhsa_dx10_clamp 1
		.amdhsa_ieee_mode 1
		.amdhsa_fp16_overflow 0
		.amdhsa_workgroup_processor_mode 1
		.amdhsa_memory_ordered 1
		.amdhsa_forward_progress 0
		.amdhsa_shared_vgpr_count 0
		.amdhsa_exception_fp_ieee_invalid_op 0
		.amdhsa_exception_fp_denorm_src 0
		.amdhsa_exception_fp_ieee_div_zero 0
		.amdhsa_exception_fp_ieee_overflow 0
		.amdhsa_exception_fp_ieee_underflow 0
		.amdhsa_exception_fp_ieee_inexact 0
		.amdhsa_exception_int_div_zero 0
	.end_amdhsa_kernel
	.section	.text._ZN7rocprim17ROCPRIM_400000_NS6detail17trampoline_kernelINS0_14default_configENS1_25transform_config_selectorIxLb0EEEZNS1_14transform_implILb0ES3_S5_NS0_18transform_iteratorINS0_17counting_iteratorImlEEZNS1_24adjacent_difference_implIS3_Lb1ELb0EPxSB_N6thrust23THRUST_200600_302600_NS4plusIxEEEE10hipError_tPvRmT2_T3_mT4_P12ihipStream_tbEUlmE_xEESB_NS0_8identityIvEEEESG_SJ_SK_mSL_SN_bEUlT_E_NS1_11comp_targetILNS1_3genE4ELNS1_11target_archE910ELNS1_3gpuE8ELNS1_3repE0EEENS1_30default_config_static_selectorELNS0_4arch9wavefront6targetE0EEEvT1_,"axG",@progbits,_ZN7rocprim17ROCPRIM_400000_NS6detail17trampoline_kernelINS0_14default_configENS1_25transform_config_selectorIxLb0EEEZNS1_14transform_implILb0ES3_S5_NS0_18transform_iteratorINS0_17counting_iteratorImlEEZNS1_24adjacent_difference_implIS3_Lb1ELb0EPxSB_N6thrust23THRUST_200600_302600_NS4plusIxEEEE10hipError_tPvRmT2_T3_mT4_P12ihipStream_tbEUlmE_xEESB_NS0_8identityIvEEEESG_SJ_SK_mSL_SN_bEUlT_E_NS1_11comp_targetILNS1_3genE4ELNS1_11target_archE910ELNS1_3gpuE8ELNS1_3repE0EEENS1_30default_config_static_selectorELNS0_4arch9wavefront6targetE0EEEvT1_,comdat
.Lfunc_end292:
	.size	_ZN7rocprim17ROCPRIM_400000_NS6detail17trampoline_kernelINS0_14default_configENS1_25transform_config_selectorIxLb0EEEZNS1_14transform_implILb0ES3_S5_NS0_18transform_iteratorINS0_17counting_iteratorImlEEZNS1_24adjacent_difference_implIS3_Lb1ELb0EPxSB_N6thrust23THRUST_200600_302600_NS4plusIxEEEE10hipError_tPvRmT2_T3_mT4_P12ihipStream_tbEUlmE_xEESB_NS0_8identityIvEEEESG_SJ_SK_mSL_SN_bEUlT_E_NS1_11comp_targetILNS1_3genE4ELNS1_11target_archE910ELNS1_3gpuE8ELNS1_3repE0EEENS1_30default_config_static_selectorELNS0_4arch9wavefront6targetE0EEEvT1_, .Lfunc_end292-_ZN7rocprim17ROCPRIM_400000_NS6detail17trampoline_kernelINS0_14default_configENS1_25transform_config_selectorIxLb0EEEZNS1_14transform_implILb0ES3_S5_NS0_18transform_iteratorINS0_17counting_iteratorImlEEZNS1_24adjacent_difference_implIS3_Lb1ELb0EPxSB_N6thrust23THRUST_200600_302600_NS4plusIxEEEE10hipError_tPvRmT2_T3_mT4_P12ihipStream_tbEUlmE_xEESB_NS0_8identityIvEEEESG_SJ_SK_mSL_SN_bEUlT_E_NS1_11comp_targetILNS1_3genE4ELNS1_11target_archE910ELNS1_3gpuE8ELNS1_3repE0EEENS1_30default_config_static_selectorELNS0_4arch9wavefront6targetE0EEEvT1_
                                        ; -- End function
	.section	.AMDGPU.csdata,"",@progbits
; Kernel info:
; codeLenInByte = 0
; NumSgprs: 0
; NumVgprs: 0
; ScratchSize: 0
; MemoryBound: 0
; FloatMode: 240
; IeeeMode: 1
; LDSByteSize: 0 bytes/workgroup (compile time only)
; SGPRBlocks: 0
; VGPRBlocks: 0
; NumSGPRsForWavesPerEU: 1
; NumVGPRsForWavesPerEU: 1
; Occupancy: 16
; WaveLimiterHint : 0
; COMPUTE_PGM_RSRC2:SCRATCH_EN: 0
; COMPUTE_PGM_RSRC2:USER_SGPR: 15
; COMPUTE_PGM_RSRC2:TRAP_HANDLER: 0
; COMPUTE_PGM_RSRC2:TGID_X_EN: 1
; COMPUTE_PGM_RSRC2:TGID_Y_EN: 0
; COMPUTE_PGM_RSRC2:TGID_Z_EN: 0
; COMPUTE_PGM_RSRC2:TIDIG_COMP_CNT: 0
	.section	.text._ZN7rocprim17ROCPRIM_400000_NS6detail17trampoline_kernelINS0_14default_configENS1_25transform_config_selectorIxLb0EEEZNS1_14transform_implILb0ES3_S5_NS0_18transform_iteratorINS0_17counting_iteratorImlEEZNS1_24adjacent_difference_implIS3_Lb1ELb0EPxSB_N6thrust23THRUST_200600_302600_NS4plusIxEEEE10hipError_tPvRmT2_T3_mT4_P12ihipStream_tbEUlmE_xEESB_NS0_8identityIvEEEESG_SJ_SK_mSL_SN_bEUlT_E_NS1_11comp_targetILNS1_3genE3ELNS1_11target_archE908ELNS1_3gpuE7ELNS1_3repE0EEENS1_30default_config_static_selectorELNS0_4arch9wavefront6targetE0EEEvT1_,"axG",@progbits,_ZN7rocprim17ROCPRIM_400000_NS6detail17trampoline_kernelINS0_14default_configENS1_25transform_config_selectorIxLb0EEEZNS1_14transform_implILb0ES3_S5_NS0_18transform_iteratorINS0_17counting_iteratorImlEEZNS1_24adjacent_difference_implIS3_Lb1ELb0EPxSB_N6thrust23THRUST_200600_302600_NS4plusIxEEEE10hipError_tPvRmT2_T3_mT4_P12ihipStream_tbEUlmE_xEESB_NS0_8identityIvEEEESG_SJ_SK_mSL_SN_bEUlT_E_NS1_11comp_targetILNS1_3genE3ELNS1_11target_archE908ELNS1_3gpuE7ELNS1_3repE0EEENS1_30default_config_static_selectorELNS0_4arch9wavefront6targetE0EEEvT1_,comdat
	.protected	_ZN7rocprim17ROCPRIM_400000_NS6detail17trampoline_kernelINS0_14default_configENS1_25transform_config_selectorIxLb0EEEZNS1_14transform_implILb0ES3_S5_NS0_18transform_iteratorINS0_17counting_iteratorImlEEZNS1_24adjacent_difference_implIS3_Lb1ELb0EPxSB_N6thrust23THRUST_200600_302600_NS4plusIxEEEE10hipError_tPvRmT2_T3_mT4_P12ihipStream_tbEUlmE_xEESB_NS0_8identityIvEEEESG_SJ_SK_mSL_SN_bEUlT_E_NS1_11comp_targetILNS1_3genE3ELNS1_11target_archE908ELNS1_3gpuE7ELNS1_3repE0EEENS1_30default_config_static_selectorELNS0_4arch9wavefront6targetE0EEEvT1_ ; -- Begin function _ZN7rocprim17ROCPRIM_400000_NS6detail17trampoline_kernelINS0_14default_configENS1_25transform_config_selectorIxLb0EEEZNS1_14transform_implILb0ES3_S5_NS0_18transform_iteratorINS0_17counting_iteratorImlEEZNS1_24adjacent_difference_implIS3_Lb1ELb0EPxSB_N6thrust23THRUST_200600_302600_NS4plusIxEEEE10hipError_tPvRmT2_T3_mT4_P12ihipStream_tbEUlmE_xEESB_NS0_8identityIvEEEESG_SJ_SK_mSL_SN_bEUlT_E_NS1_11comp_targetILNS1_3genE3ELNS1_11target_archE908ELNS1_3gpuE7ELNS1_3repE0EEENS1_30default_config_static_selectorELNS0_4arch9wavefront6targetE0EEEvT1_
	.globl	_ZN7rocprim17ROCPRIM_400000_NS6detail17trampoline_kernelINS0_14default_configENS1_25transform_config_selectorIxLb0EEEZNS1_14transform_implILb0ES3_S5_NS0_18transform_iteratorINS0_17counting_iteratorImlEEZNS1_24adjacent_difference_implIS3_Lb1ELb0EPxSB_N6thrust23THRUST_200600_302600_NS4plusIxEEEE10hipError_tPvRmT2_T3_mT4_P12ihipStream_tbEUlmE_xEESB_NS0_8identityIvEEEESG_SJ_SK_mSL_SN_bEUlT_E_NS1_11comp_targetILNS1_3genE3ELNS1_11target_archE908ELNS1_3gpuE7ELNS1_3repE0EEENS1_30default_config_static_selectorELNS0_4arch9wavefront6targetE0EEEvT1_
	.p2align	8
	.type	_ZN7rocprim17ROCPRIM_400000_NS6detail17trampoline_kernelINS0_14default_configENS1_25transform_config_selectorIxLb0EEEZNS1_14transform_implILb0ES3_S5_NS0_18transform_iteratorINS0_17counting_iteratorImlEEZNS1_24adjacent_difference_implIS3_Lb1ELb0EPxSB_N6thrust23THRUST_200600_302600_NS4plusIxEEEE10hipError_tPvRmT2_T3_mT4_P12ihipStream_tbEUlmE_xEESB_NS0_8identityIvEEEESG_SJ_SK_mSL_SN_bEUlT_E_NS1_11comp_targetILNS1_3genE3ELNS1_11target_archE908ELNS1_3gpuE7ELNS1_3repE0EEENS1_30default_config_static_selectorELNS0_4arch9wavefront6targetE0EEEvT1_,@function
_ZN7rocprim17ROCPRIM_400000_NS6detail17trampoline_kernelINS0_14default_configENS1_25transform_config_selectorIxLb0EEEZNS1_14transform_implILb0ES3_S5_NS0_18transform_iteratorINS0_17counting_iteratorImlEEZNS1_24adjacent_difference_implIS3_Lb1ELb0EPxSB_N6thrust23THRUST_200600_302600_NS4plusIxEEEE10hipError_tPvRmT2_T3_mT4_P12ihipStream_tbEUlmE_xEESB_NS0_8identityIvEEEESG_SJ_SK_mSL_SN_bEUlT_E_NS1_11comp_targetILNS1_3genE3ELNS1_11target_archE908ELNS1_3gpuE7ELNS1_3repE0EEENS1_30default_config_static_selectorELNS0_4arch9wavefront6targetE0EEEvT1_: ; @_ZN7rocprim17ROCPRIM_400000_NS6detail17trampoline_kernelINS0_14default_configENS1_25transform_config_selectorIxLb0EEEZNS1_14transform_implILb0ES3_S5_NS0_18transform_iteratorINS0_17counting_iteratorImlEEZNS1_24adjacent_difference_implIS3_Lb1ELb0EPxSB_N6thrust23THRUST_200600_302600_NS4plusIxEEEE10hipError_tPvRmT2_T3_mT4_P12ihipStream_tbEUlmE_xEESB_NS0_8identityIvEEEESG_SJ_SK_mSL_SN_bEUlT_E_NS1_11comp_targetILNS1_3genE3ELNS1_11target_archE908ELNS1_3gpuE7ELNS1_3repE0EEENS1_30default_config_static_selectorELNS0_4arch9wavefront6targetE0EEEvT1_
; %bb.0:
	.section	.rodata,"a",@progbits
	.p2align	6, 0x0
	.amdhsa_kernel _ZN7rocprim17ROCPRIM_400000_NS6detail17trampoline_kernelINS0_14default_configENS1_25transform_config_selectorIxLb0EEEZNS1_14transform_implILb0ES3_S5_NS0_18transform_iteratorINS0_17counting_iteratorImlEEZNS1_24adjacent_difference_implIS3_Lb1ELb0EPxSB_N6thrust23THRUST_200600_302600_NS4plusIxEEEE10hipError_tPvRmT2_T3_mT4_P12ihipStream_tbEUlmE_xEESB_NS0_8identityIvEEEESG_SJ_SK_mSL_SN_bEUlT_E_NS1_11comp_targetILNS1_3genE3ELNS1_11target_archE908ELNS1_3gpuE7ELNS1_3repE0EEENS1_30default_config_static_selectorELNS0_4arch9wavefront6targetE0EEEvT1_
		.amdhsa_group_segment_fixed_size 0
		.amdhsa_private_segment_fixed_size 0
		.amdhsa_kernarg_size 56
		.amdhsa_user_sgpr_count 15
		.amdhsa_user_sgpr_dispatch_ptr 0
		.amdhsa_user_sgpr_queue_ptr 0
		.amdhsa_user_sgpr_kernarg_segment_ptr 1
		.amdhsa_user_sgpr_dispatch_id 0
		.amdhsa_user_sgpr_private_segment_size 0
		.amdhsa_wavefront_size32 1
		.amdhsa_uses_dynamic_stack 0
		.amdhsa_enable_private_segment 0
		.amdhsa_system_sgpr_workgroup_id_x 1
		.amdhsa_system_sgpr_workgroup_id_y 0
		.amdhsa_system_sgpr_workgroup_id_z 0
		.amdhsa_system_sgpr_workgroup_info 0
		.amdhsa_system_vgpr_workitem_id 0
		.amdhsa_next_free_vgpr 1
		.amdhsa_next_free_sgpr 1
		.amdhsa_reserve_vcc 0
		.amdhsa_float_round_mode_32 0
		.amdhsa_float_round_mode_16_64 0
		.amdhsa_float_denorm_mode_32 3
		.amdhsa_float_denorm_mode_16_64 3
		.amdhsa_dx10_clamp 1
		.amdhsa_ieee_mode 1
		.amdhsa_fp16_overflow 0
		.amdhsa_workgroup_processor_mode 1
		.amdhsa_memory_ordered 1
		.amdhsa_forward_progress 0
		.amdhsa_shared_vgpr_count 0
		.amdhsa_exception_fp_ieee_invalid_op 0
		.amdhsa_exception_fp_denorm_src 0
		.amdhsa_exception_fp_ieee_div_zero 0
		.amdhsa_exception_fp_ieee_overflow 0
		.amdhsa_exception_fp_ieee_underflow 0
		.amdhsa_exception_fp_ieee_inexact 0
		.amdhsa_exception_int_div_zero 0
	.end_amdhsa_kernel
	.section	.text._ZN7rocprim17ROCPRIM_400000_NS6detail17trampoline_kernelINS0_14default_configENS1_25transform_config_selectorIxLb0EEEZNS1_14transform_implILb0ES3_S5_NS0_18transform_iteratorINS0_17counting_iteratorImlEEZNS1_24adjacent_difference_implIS3_Lb1ELb0EPxSB_N6thrust23THRUST_200600_302600_NS4plusIxEEEE10hipError_tPvRmT2_T3_mT4_P12ihipStream_tbEUlmE_xEESB_NS0_8identityIvEEEESG_SJ_SK_mSL_SN_bEUlT_E_NS1_11comp_targetILNS1_3genE3ELNS1_11target_archE908ELNS1_3gpuE7ELNS1_3repE0EEENS1_30default_config_static_selectorELNS0_4arch9wavefront6targetE0EEEvT1_,"axG",@progbits,_ZN7rocprim17ROCPRIM_400000_NS6detail17trampoline_kernelINS0_14default_configENS1_25transform_config_selectorIxLb0EEEZNS1_14transform_implILb0ES3_S5_NS0_18transform_iteratorINS0_17counting_iteratorImlEEZNS1_24adjacent_difference_implIS3_Lb1ELb0EPxSB_N6thrust23THRUST_200600_302600_NS4plusIxEEEE10hipError_tPvRmT2_T3_mT4_P12ihipStream_tbEUlmE_xEESB_NS0_8identityIvEEEESG_SJ_SK_mSL_SN_bEUlT_E_NS1_11comp_targetILNS1_3genE3ELNS1_11target_archE908ELNS1_3gpuE7ELNS1_3repE0EEENS1_30default_config_static_selectorELNS0_4arch9wavefront6targetE0EEEvT1_,comdat
.Lfunc_end293:
	.size	_ZN7rocprim17ROCPRIM_400000_NS6detail17trampoline_kernelINS0_14default_configENS1_25transform_config_selectorIxLb0EEEZNS1_14transform_implILb0ES3_S5_NS0_18transform_iteratorINS0_17counting_iteratorImlEEZNS1_24adjacent_difference_implIS3_Lb1ELb0EPxSB_N6thrust23THRUST_200600_302600_NS4plusIxEEEE10hipError_tPvRmT2_T3_mT4_P12ihipStream_tbEUlmE_xEESB_NS0_8identityIvEEEESG_SJ_SK_mSL_SN_bEUlT_E_NS1_11comp_targetILNS1_3genE3ELNS1_11target_archE908ELNS1_3gpuE7ELNS1_3repE0EEENS1_30default_config_static_selectorELNS0_4arch9wavefront6targetE0EEEvT1_, .Lfunc_end293-_ZN7rocprim17ROCPRIM_400000_NS6detail17trampoline_kernelINS0_14default_configENS1_25transform_config_selectorIxLb0EEEZNS1_14transform_implILb0ES3_S5_NS0_18transform_iteratorINS0_17counting_iteratorImlEEZNS1_24adjacent_difference_implIS3_Lb1ELb0EPxSB_N6thrust23THRUST_200600_302600_NS4plusIxEEEE10hipError_tPvRmT2_T3_mT4_P12ihipStream_tbEUlmE_xEESB_NS0_8identityIvEEEESG_SJ_SK_mSL_SN_bEUlT_E_NS1_11comp_targetILNS1_3genE3ELNS1_11target_archE908ELNS1_3gpuE7ELNS1_3repE0EEENS1_30default_config_static_selectorELNS0_4arch9wavefront6targetE0EEEvT1_
                                        ; -- End function
	.section	.AMDGPU.csdata,"",@progbits
; Kernel info:
; codeLenInByte = 0
; NumSgprs: 0
; NumVgprs: 0
; ScratchSize: 0
; MemoryBound: 0
; FloatMode: 240
; IeeeMode: 1
; LDSByteSize: 0 bytes/workgroup (compile time only)
; SGPRBlocks: 0
; VGPRBlocks: 0
; NumSGPRsForWavesPerEU: 1
; NumVGPRsForWavesPerEU: 1
; Occupancy: 16
; WaveLimiterHint : 0
; COMPUTE_PGM_RSRC2:SCRATCH_EN: 0
; COMPUTE_PGM_RSRC2:USER_SGPR: 15
; COMPUTE_PGM_RSRC2:TRAP_HANDLER: 0
; COMPUTE_PGM_RSRC2:TGID_X_EN: 1
; COMPUTE_PGM_RSRC2:TGID_Y_EN: 0
; COMPUTE_PGM_RSRC2:TGID_Z_EN: 0
; COMPUTE_PGM_RSRC2:TIDIG_COMP_CNT: 0
	.section	.text._ZN7rocprim17ROCPRIM_400000_NS6detail17trampoline_kernelINS0_14default_configENS1_25transform_config_selectorIxLb0EEEZNS1_14transform_implILb0ES3_S5_NS0_18transform_iteratorINS0_17counting_iteratorImlEEZNS1_24adjacent_difference_implIS3_Lb1ELb0EPxSB_N6thrust23THRUST_200600_302600_NS4plusIxEEEE10hipError_tPvRmT2_T3_mT4_P12ihipStream_tbEUlmE_xEESB_NS0_8identityIvEEEESG_SJ_SK_mSL_SN_bEUlT_E_NS1_11comp_targetILNS1_3genE2ELNS1_11target_archE906ELNS1_3gpuE6ELNS1_3repE0EEENS1_30default_config_static_selectorELNS0_4arch9wavefront6targetE0EEEvT1_,"axG",@progbits,_ZN7rocprim17ROCPRIM_400000_NS6detail17trampoline_kernelINS0_14default_configENS1_25transform_config_selectorIxLb0EEEZNS1_14transform_implILb0ES3_S5_NS0_18transform_iteratorINS0_17counting_iteratorImlEEZNS1_24adjacent_difference_implIS3_Lb1ELb0EPxSB_N6thrust23THRUST_200600_302600_NS4plusIxEEEE10hipError_tPvRmT2_T3_mT4_P12ihipStream_tbEUlmE_xEESB_NS0_8identityIvEEEESG_SJ_SK_mSL_SN_bEUlT_E_NS1_11comp_targetILNS1_3genE2ELNS1_11target_archE906ELNS1_3gpuE6ELNS1_3repE0EEENS1_30default_config_static_selectorELNS0_4arch9wavefront6targetE0EEEvT1_,comdat
	.protected	_ZN7rocprim17ROCPRIM_400000_NS6detail17trampoline_kernelINS0_14default_configENS1_25transform_config_selectorIxLb0EEEZNS1_14transform_implILb0ES3_S5_NS0_18transform_iteratorINS0_17counting_iteratorImlEEZNS1_24adjacent_difference_implIS3_Lb1ELb0EPxSB_N6thrust23THRUST_200600_302600_NS4plusIxEEEE10hipError_tPvRmT2_T3_mT4_P12ihipStream_tbEUlmE_xEESB_NS0_8identityIvEEEESG_SJ_SK_mSL_SN_bEUlT_E_NS1_11comp_targetILNS1_3genE2ELNS1_11target_archE906ELNS1_3gpuE6ELNS1_3repE0EEENS1_30default_config_static_selectorELNS0_4arch9wavefront6targetE0EEEvT1_ ; -- Begin function _ZN7rocprim17ROCPRIM_400000_NS6detail17trampoline_kernelINS0_14default_configENS1_25transform_config_selectorIxLb0EEEZNS1_14transform_implILb0ES3_S5_NS0_18transform_iteratorINS0_17counting_iteratorImlEEZNS1_24adjacent_difference_implIS3_Lb1ELb0EPxSB_N6thrust23THRUST_200600_302600_NS4plusIxEEEE10hipError_tPvRmT2_T3_mT4_P12ihipStream_tbEUlmE_xEESB_NS0_8identityIvEEEESG_SJ_SK_mSL_SN_bEUlT_E_NS1_11comp_targetILNS1_3genE2ELNS1_11target_archE906ELNS1_3gpuE6ELNS1_3repE0EEENS1_30default_config_static_selectorELNS0_4arch9wavefront6targetE0EEEvT1_
	.globl	_ZN7rocprim17ROCPRIM_400000_NS6detail17trampoline_kernelINS0_14default_configENS1_25transform_config_selectorIxLb0EEEZNS1_14transform_implILb0ES3_S5_NS0_18transform_iteratorINS0_17counting_iteratorImlEEZNS1_24adjacent_difference_implIS3_Lb1ELb0EPxSB_N6thrust23THRUST_200600_302600_NS4plusIxEEEE10hipError_tPvRmT2_T3_mT4_P12ihipStream_tbEUlmE_xEESB_NS0_8identityIvEEEESG_SJ_SK_mSL_SN_bEUlT_E_NS1_11comp_targetILNS1_3genE2ELNS1_11target_archE906ELNS1_3gpuE6ELNS1_3repE0EEENS1_30default_config_static_selectorELNS0_4arch9wavefront6targetE0EEEvT1_
	.p2align	8
	.type	_ZN7rocprim17ROCPRIM_400000_NS6detail17trampoline_kernelINS0_14default_configENS1_25transform_config_selectorIxLb0EEEZNS1_14transform_implILb0ES3_S5_NS0_18transform_iteratorINS0_17counting_iteratorImlEEZNS1_24adjacent_difference_implIS3_Lb1ELb0EPxSB_N6thrust23THRUST_200600_302600_NS4plusIxEEEE10hipError_tPvRmT2_T3_mT4_P12ihipStream_tbEUlmE_xEESB_NS0_8identityIvEEEESG_SJ_SK_mSL_SN_bEUlT_E_NS1_11comp_targetILNS1_3genE2ELNS1_11target_archE906ELNS1_3gpuE6ELNS1_3repE0EEENS1_30default_config_static_selectorELNS0_4arch9wavefront6targetE0EEEvT1_,@function
_ZN7rocprim17ROCPRIM_400000_NS6detail17trampoline_kernelINS0_14default_configENS1_25transform_config_selectorIxLb0EEEZNS1_14transform_implILb0ES3_S5_NS0_18transform_iteratorINS0_17counting_iteratorImlEEZNS1_24adjacent_difference_implIS3_Lb1ELb0EPxSB_N6thrust23THRUST_200600_302600_NS4plusIxEEEE10hipError_tPvRmT2_T3_mT4_P12ihipStream_tbEUlmE_xEESB_NS0_8identityIvEEEESG_SJ_SK_mSL_SN_bEUlT_E_NS1_11comp_targetILNS1_3genE2ELNS1_11target_archE906ELNS1_3gpuE6ELNS1_3repE0EEENS1_30default_config_static_selectorELNS0_4arch9wavefront6targetE0EEEvT1_: ; @_ZN7rocprim17ROCPRIM_400000_NS6detail17trampoline_kernelINS0_14default_configENS1_25transform_config_selectorIxLb0EEEZNS1_14transform_implILb0ES3_S5_NS0_18transform_iteratorINS0_17counting_iteratorImlEEZNS1_24adjacent_difference_implIS3_Lb1ELb0EPxSB_N6thrust23THRUST_200600_302600_NS4plusIxEEEE10hipError_tPvRmT2_T3_mT4_P12ihipStream_tbEUlmE_xEESB_NS0_8identityIvEEEESG_SJ_SK_mSL_SN_bEUlT_E_NS1_11comp_targetILNS1_3genE2ELNS1_11target_archE906ELNS1_3gpuE6ELNS1_3repE0EEENS1_30default_config_static_selectorELNS0_4arch9wavefront6targetE0EEEvT1_
; %bb.0:
	.section	.rodata,"a",@progbits
	.p2align	6, 0x0
	.amdhsa_kernel _ZN7rocprim17ROCPRIM_400000_NS6detail17trampoline_kernelINS0_14default_configENS1_25transform_config_selectorIxLb0EEEZNS1_14transform_implILb0ES3_S5_NS0_18transform_iteratorINS0_17counting_iteratorImlEEZNS1_24adjacent_difference_implIS3_Lb1ELb0EPxSB_N6thrust23THRUST_200600_302600_NS4plusIxEEEE10hipError_tPvRmT2_T3_mT4_P12ihipStream_tbEUlmE_xEESB_NS0_8identityIvEEEESG_SJ_SK_mSL_SN_bEUlT_E_NS1_11comp_targetILNS1_3genE2ELNS1_11target_archE906ELNS1_3gpuE6ELNS1_3repE0EEENS1_30default_config_static_selectorELNS0_4arch9wavefront6targetE0EEEvT1_
		.amdhsa_group_segment_fixed_size 0
		.amdhsa_private_segment_fixed_size 0
		.amdhsa_kernarg_size 56
		.amdhsa_user_sgpr_count 15
		.amdhsa_user_sgpr_dispatch_ptr 0
		.amdhsa_user_sgpr_queue_ptr 0
		.amdhsa_user_sgpr_kernarg_segment_ptr 1
		.amdhsa_user_sgpr_dispatch_id 0
		.amdhsa_user_sgpr_private_segment_size 0
		.amdhsa_wavefront_size32 1
		.amdhsa_uses_dynamic_stack 0
		.amdhsa_enable_private_segment 0
		.amdhsa_system_sgpr_workgroup_id_x 1
		.amdhsa_system_sgpr_workgroup_id_y 0
		.amdhsa_system_sgpr_workgroup_id_z 0
		.amdhsa_system_sgpr_workgroup_info 0
		.amdhsa_system_vgpr_workitem_id 0
		.amdhsa_next_free_vgpr 1
		.amdhsa_next_free_sgpr 1
		.amdhsa_reserve_vcc 0
		.amdhsa_float_round_mode_32 0
		.amdhsa_float_round_mode_16_64 0
		.amdhsa_float_denorm_mode_32 3
		.amdhsa_float_denorm_mode_16_64 3
		.amdhsa_dx10_clamp 1
		.amdhsa_ieee_mode 1
		.amdhsa_fp16_overflow 0
		.amdhsa_workgroup_processor_mode 1
		.amdhsa_memory_ordered 1
		.amdhsa_forward_progress 0
		.amdhsa_shared_vgpr_count 0
		.amdhsa_exception_fp_ieee_invalid_op 0
		.amdhsa_exception_fp_denorm_src 0
		.amdhsa_exception_fp_ieee_div_zero 0
		.amdhsa_exception_fp_ieee_overflow 0
		.amdhsa_exception_fp_ieee_underflow 0
		.amdhsa_exception_fp_ieee_inexact 0
		.amdhsa_exception_int_div_zero 0
	.end_amdhsa_kernel
	.section	.text._ZN7rocprim17ROCPRIM_400000_NS6detail17trampoline_kernelINS0_14default_configENS1_25transform_config_selectorIxLb0EEEZNS1_14transform_implILb0ES3_S5_NS0_18transform_iteratorINS0_17counting_iteratorImlEEZNS1_24adjacent_difference_implIS3_Lb1ELb0EPxSB_N6thrust23THRUST_200600_302600_NS4plusIxEEEE10hipError_tPvRmT2_T3_mT4_P12ihipStream_tbEUlmE_xEESB_NS0_8identityIvEEEESG_SJ_SK_mSL_SN_bEUlT_E_NS1_11comp_targetILNS1_3genE2ELNS1_11target_archE906ELNS1_3gpuE6ELNS1_3repE0EEENS1_30default_config_static_selectorELNS0_4arch9wavefront6targetE0EEEvT1_,"axG",@progbits,_ZN7rocprim17ROCPRIM_400000_NS6detail17trampoline_kernelINS0_14default_configENS1_25transform_config_selectorIxLb0EEEZNS1_14transform_implILb0ES3_S5_NS0_18transform_iteratorINS0_17counting_iteratorImlEEZNS1_24adjacent_difference_implIS3_Lb1ELb0EPxSB_N6thrust23THRUST_200600_302600_NS4plusIxEEEE10hipError_tPvRmT2_T3_mT4_P12ihipStream_tbEUlmE_xEESB_NS0_8identityIvEEEESG_SJ_SK_mSL_SN_bEUlT_E_NS1_11comp_targetILNS1_3genE2ELNS1_11target_archE906ELNS1_3gpuE6ELNS1_3repE0EEENS1_30default_config_static_selectorELNS0_4arch9wavefront6targetE0EEEvT1_,comdat
.Lfunc_end294:
	.size	_ZN7rocprim17ROCPRIM_400000_NS6detail17trampoline_kernelINS0_14default_configENS1_25transform_config_selectorIxLb0EEEZNS1_14transform_implILb0ES3_S5_NS0_18transform_iteratorINS0_17counting_iteratorImlEEZNS1_24adjacent_difference_implIS3_Lb1ELb0EPxSB_N6thrust23THRUST_200600_302600_NS4plusIxEEEE10hipError_tPvRmT2_T3_mT4_P12ihipStream_tbEUlmE_xEESB_NS0_8identityIvEEEESG_SJ_SK_mSL_SN_bEUlT_E_NS1_11comp_targetILNS1_3genE2ELNS1_11target_archE906ELNS1_3gpuE6ELNS1_3repE0EEENS1_30default_config_static_selectorELNS0_4arch9wavefront6targetE0EEEvT1_, .Lfunc_end294-_ZN7rocprim17ROCPRIM_400000_NS6detail17trampoline_kernelINS0_14default_configENS1_25transform_config_selectorIxLb0EEEZNS1_14transform_implILb0ES3_S5_NS0_18transform_iteratorINS0_17counting_iteratorImlEEZNS1_24adjacent_difference_implIS3_Lb1ELb0EPxSB_N6thrust23THRUST_200600_302600_NS4plusIxEEEE10hipError_tPvRmT2_T3_mT4_P12ihipStream_tbEUlmE_xEESB_NS0_8identityIvEEEESG_SJ_SK_mSL_SN_bEUlT_E_NS1_11comp_targetILNS1_3genE2ELNS1_11target_archE906ELNS1_3gpuE6ELNS1_3repE0EEENS1_30default_config_static_selectorELNS0_4arch9wavefront6targetE0EEEvT1_
                                        ; -- End function
	.section	.AMDGPU.csdata,"",@progbits
; Kernel info:
; codeLenInByte = 0
; NumSgprs: 0
; NumVgprs: 0
; ScratchSize: 0
; MemoryBound: 0
; FloatMode: 240
; IeeeMode: 1
; LDSByteSize: 0 bytes/workgroup (compile time only)
; SGPRBlocks: 0
; VGPRBlocks: 0
; NumSGPRsForWavesPerEU: 1
; NumVGPRsForWavesPerEU: 1
; Occupancy: 16
; WaveLimiterHint : 0
; COMPUTE_PGM_RSRC2:SCRATCH_EN: 0
; COMPUTE_PGM_RSRC2:USER_SGPR: 15
; COMPUTE_PGM_RSRC2:TRAP_HANDLER: 0
; COMPUTE_PGM_RSRC2:TGID_X_EN: 1
; COMPUTE_PGM_RSRC2:TGID_Y_EN: 0
; COMPUTE_PGM_RSRC2:TGID_Z_EN: 0
; COMPUTE_PGM_RSRC2:TIDIG_COMP_CNT: 0
	.section	.text._ZN7rocprim17ROCPRIM_400000_NS6detail17trampoline_kernelINS0_14default_configENS1_25transform_config_selectorIxLb0EEEZNS1_14transform_implILb0ES3_S5_NS0_18transform_iteratorINS0_17counting_iteratorImlEEZNS1_24adjacent_difference_implIS3_Lb1ELb0EPxSB_N6thrust23THRUST_200600_302600_NS4plusIxEEEE10hipError_tPvRmT2_T3_mT4_P12ihipStream_tbEUlmE_xEESB_NS0_8identityIvEEEESG_SJ_SK_mSL_SN_bEUlT_E_NS1_11comp_targetILNS1_3genE10ELNS1_11target_archE1201ELNS1_3gpuE5ELNS1_3repE0EEENS1_30default_config_static_selectorELNS0_4arch9wavefront6targetE0EEEvT1_,"axG",@progbits,_ZN7rocprim17ROCPRIM_400000_NS6detail17trampoline_kernelINS0_14default_configENS1_25transform_config_selectorIxLb0EEEZNS1_14transform_implILb0ES3_S5_NS0_18transform_iteratorINS0_17counting_iteratorImlEEZNS1_24adjacent_difference_implIS3_Lb1ELb0EPxSB_N6thrust23THRUST_200600_302600_NS4plusIxEEEE10hipError_tPvRmT2_T3_mT4_P12ihipStream_tbEUlmE_xEESB_NS0_8identityIvEEEESG_SJ_SK_mSL_SN_bEUlT_E_NS1_11comp_targetILNS1_3genE10ELNS1_11target_archE1201ELNS1_3gpuE5ELNS1_3repE0EEENS1_30default_config_static_selectorELNS0_4arch9wavefront6targetE0EEEvT1_,comdat
	.protected	_ZN7rocprim17ROCPRIM_400000_NS6detail17trampoline_kernelINS0_14default_configENS1_25transform_config_selectorIxLb0EEEZNS1_14transform_implILb0ES3_S5_NS0_18transform_iteratorINS0_17counting_iteratorImlEEZNS1_24adjacent_difference_implIS3_Lb1ELb0EPxSB_N6thrust23THRUST_200600_302600_NS4plusIxEEEE10hipError_tPvRmT2_T3_mT4_P12ihipStream_tbEUlmE_xEESB_NS0_8identityIvEEEESG_SJ_SK_mSL_SN_bEUlT_E_NS1_11comp_targetILNS1_3genE10ELNS1_11target_archE1201ELNS1_3gpuE5ELNS1_3repE0EEENS1_30default_config_static_selectorELNS0_4arch9wavefront6targetE0EEEvT1_ ; -- Begin function _ZN7rocprim17ROCPRIM_400000_NS6detail17trampoline_kernelINS0_14default_configENS1_25transform_config_selectorIxLb0EEEZNS1_14transform_implILb0ES3_S5_NS0_18transform_iteratorINS0_17counting_iteratorImlEEZNS1_24adjacent_difference_implIS3_Lb1ELb0EPxSB_N6thrust23THRUST_200600_302600_NS4plusIxEEEE10hipError_tPvRmT2_T3_mT4_P12ihipStream_tbEUlmE_xEESB_NS0_8identityIvEEEESG_SJ_SK_mSL_SN_bEUlT_E_NS1_11comp_targetILNS1_3genE10ELNS1_11target_archE1201ELNS1_3gpuE5ELNS1_3repE0EEENS1_30default_config_static_selectorELNS0_4arch9wavefront6targetE0EEEvT1_
	.globl	_ZN7rocprim17ROCPRIM_400000_NS6detail17trampoline_kernelINS0_14default_configENS1_25transform_config_selectorIxLb0EEEZNS1_14transform_implILb0ES3_S5_NS0_18transform_iteratorINS0_17counting_iteratorImlEEZNS1_24adjacent_difference_implIS3_Lb1ELb0EPxSB_N6thrust23THRUST_200600_302600_NS4plusIxEEEE10hipError_tPvRmT2_T3_mT4_P12ihipStream_tbEUlmE_xEESB_NS0_8identityIvEEEESG_SJ_SK_mSL_SN_bEUlT_E_NS1_11comp_targetILNS1_3genE10ELNS1_11target_archE1201ELNS1_3gpuE5ELNS1_3repE0EEENS1_30default_config_static_selectorELNS0_4arch9wavefront6targetE0EEEvT1_
	.p2align	8
	.type	_ZN7rocprim17ROCPRIM_400000_NS6detail17trampoline_kernelINS0_14default_configENS1_25transform_config_selectorIxLb0EEEZNS1_14transform_implILb0ES3_S5_NS0_18transform_iteratorINS0_17counting_iteratorImlEEZNS1_24adjacent_difference_implIS3_Lb1ELb0EPxSB_N6thrust23THRUST_200600_302600_NS4plusIxEEEE10hipError_tPvRmT2_T3_mT4_P12ihipStream_tbEUlmE_xEESB_NS0_8identityIvEEEESG_SJ_SK_mSL_SN_bEUlT_E_NS1_11comp_targetILNS1_3genE10ELNS1_11target_archE1201ELNS1_3gpuE5ELNS1_3repE0EEENS1_30default_config_static_selectorELNS0_4arch9wavefront6targetE0EEEvT1_,@function
_ZN7rocprim17ROCPRIM_400000_NS6detail17trampoline_kernelINS0_14default_configENS1_25transform_config_selectorIxLb0EEEZNS1_14transform_implILb0ES3_S5_NS0_18transform_iteratorINS0_17counting_iteratorImlEEZNS1_24adjacent_difference_implIS3_Lb1ELb0EPxSB_N6thrust23THRUST_200600_302600_NS4plusIxEEEE10hipError_tPvRmT2_T3_mT4_P12ihipStream_tbEUlmE_xEESB_NS0_8identityIvEEEESG_SJ_SK_mSL_SN_bEUlT_E_NS1_11comp_targetILNS1_3genE10ELNS1_11target_archE1201ELNS1_3gpuE5ELNS1_3repE0EEENS1_30default_config_static_selectorELNS0_4arch9wavefront6targetE0EEEvT1_: ; @_ZN7rocprim17ROCPRIM_400000_NS6detail17trampoline_kernelINS0_14default_configENS1_25transform_config_selectorIxLb0EEEZNS1_14transform_implILb0ES3_S5_NS0_18transform_iteratorINS0_17counting_iteratorImlEEZNS1_24adjacent_difference_implIS3_Lb1ELb0EPxSB_N6thrust23THRUST_200600_302600_NS4plusIxEEEE10hipError_tPvRmT2_T3_mT4_P12ihipStream_tbEUlmE_xEESB_NS0_8identityIvEEEESG_SJ_SK_mSL_SN_bEUlT_E_NS1_11comp_targetILNS1_3genE10ELNS1_11target_archE1201ELNS1_3gpuE5ELNS1_3repE0EEENS1_30default_config_static_selectorELNS0_4arch9wavefront6targetE0EEEvT1_
; %bb.0:
	.section	.rodata,"a",@progbits
	.p2align	6, 0x0
	.amdhsa_kernel _ZN7rocprim17ROCPRIM_400000_NS6detail17trampoline_kernelINS0_14default_configENS1_25transform_config_selectorIxLb0EEEZNS1_14transform_implILb0ES3_S5_NS0_18transform_iteratorINS0_17counting_iteratorImlEEZNS1_24adjacent_difference_implIS3_Lb1ELb0EPxSB_N6thrust23THRUST_200600_302600_NS4plusIxEEEE10hipError_tPvRmT2_T3_mT4_P12ihipStream_tbEUlmE_xEESB_NS0_8identityIvEEEESG_SJ_SK_mSL_SN_bEUlT_E_NS1_11comp_targetILNS1_3genE10ELNS1_11target_archE1201ELNS1_3gpuE5ELNS1_3repE0EEENS1_30default_config_static_selectorELNS0_4arch9wavefront6targetE0EEEvT1_
		.amdhsa_group_segment_fixed_size 0
		.amdhsa_private_segment_fixed_size 0
		.amdhsa_kernarg_size 56
		.amdhsa_user_sgpr_count 15
		.amdhsa_user_sgpr_dispatch_ptr 0
		.amdhsa_user_sgpr_queue_ptr 0
		.amdhsa_user_sgpr_kernarg_segment_ptr 1
		.amdhsa_user_sgpr_dispatch_id 0
		.amdhsa_user_sgpr_private_segment_size 0
		.amdhsa_wavefront_size32 1
		.amdhsa_uses_dynamic_stack 0
		.amdhsa_enable_private_segment 0
		.amdhsa_system_sgpr_workgroup_id_x 1
		.amdhsa_system_sgpr_workgroup_id_y 0
		.amdhsa_system_sgpr_workgroup_id_z 0
		.amdhsa_system_sgpr_workgroup_info 0
		.amdhsa_system_vgpr_workitem_id 0
		.amdhsa_next_free_vgpr 1
		.amdhsa_next_free_sgpr 1
		.amdhsa_reserve_vcc 0
		.amdhsa_float_round_mode_32 0
		.amdhsa_float_round_mode_16_64 0
		.amdhsa_float_denorm_mode_32 3
		.amdhsa_float_denorm_mode_16_64 3
		.amdhsa_dx10_clamp 1
		.amdhsa_ieee_mode 1
		.amdhsa_fp16_overflow 0
		.amdhsa_workgroup_processor_mode 1
		.amdhsa_memory_ordered 1
		.amdhsa_forward_progress 0
		.amdhsa_shared_vgpr_count 0
		.amdhsa_exception_fp_ieee_invalid_op 0
		.amdhsa_exception_fp_denorm_src 0
		.amdhsa_exception_fp_ieee_div_zero 0
		.amdhsa_exception_fp_ieee_overflow 0
		.amdhsa_exception_fp_ieee_underflow 0
		.amdhsa_exception_fp_ieee_inexact 0
		.amdhsa_exception_int_div_zero 0
	.end_amdhsa_kernel
	.section	.text._ZN7rocprim17ROCPRIM_400000_NS6detail17trampoline_kernelINS0_14default_configENS1_25transform_config_selectorIxLb0EEEZNS1_14transform_implILb0ES3_S5_NS0_18transform_iteratorINS0_17counting_iteratorImlEEZNS1_24adjacent_difference_implIS3_Lb1ELb0EPxSB_N6thrust23THRUST_200600_302600_NS4plusIxEEEE10hipError_tPvRmT2_T3_mT4_P12ihipStream_tbEUlmE_xEESB_NS0_8identityIvEEEESG_SJ_SK_mSL_SN_bEUlT_E_NS1_11comp_targetILNS1_3genE10ELNS1_11target_archE1201ELNS1_3gpuE5ELNS1_3repE0EEENS1_30default_config_static_selectorELNS0_4arch9wavefront6targetE0EEEvT1_,"axG",@progbits,_ZN7rocprim17ROCPRIM_400000_NS6detail17trampoline_kernelINS0_14default_configENS1_25transform_config_selectorIxLb0EEEZNS1_14transform_implILb0ES3_S5_NS0_18transform_iteratorINS0_17counting_iteratorImlEEZNS1_24adjacent_difference_implIS3_Lb1ELb0EPxSB_N6thrust23THRUST_200600_302600_NS4plusIxEEEE10hipError_tPvRmT2_T3_mT4_P12ihipStream_tbEUlmE_xEESB_NS0_8identityIvEEEESG_SJ_SK_mSL_SN_bEUlT_E_NS1_11comp_targetILNS1_3genE10ELNS1_11target_archE1201ELNS1_3gpuE5ELNS1_3repE0EEENS1_30default_config_static_selectorELNS0_4arch9wavefront6targetE0EEEvT1_,comdat
.Lfunc_end295:
	.size	_ZN7rocprim17ROCPRIM_400000_NS6detail17trampoline_kernelINS0_14default_configENS1_25transform_config_selectorIxLb0EEEZNS1_14transform_implILb0ES3_S5_NS0_18transform_iteratorINS0_17counting_iteratorImlEEZNS1_24adjacent_difference_implIS3_Lb1ELb0EPxSB_N6thrust23THRUST_200600_302600_NS4plusIxEEEE10hipError_tPvRmT2_T3_mT4_P12ihipStream_tbEUlmE_xEESB_NS0_8identityIvEEEESG_SJ_SK_mSL_SN_bEUlT_E_NS1_11comp_targetILNS1_3genE10ELNS1_11target_archE1201ELNS1_3gpuE5ELNS1_3repE0EEENS1_30default_config_static_selectorELNS0_4arch9wavefront6targetE0EEEvT1_, .Lfunc_end295-_ZN7rocprim17ROCPRIM_400000_NS6detail17trampoline_kernelINS0_14default_configENS1_25transform_config_selectorIxLb0EEEZNS1_14transform_implILb0ES3_S5_NS0_18transform_iteratorINS0_17counting_iteratorImlEEZNS1_24adjacent_difference_implIS3_Lb1ELb0EPxSB_N6thrust23THRUST_200600_302600_NS4plusIxEEEE10hipError_tPvRmT2_T3_mT4_P12ihipStream_tbEUlmE_xEESB_NS0_8identityIvEEEESG_SJ_SK_mSL_SN_bEUlT_E_NS1_11comp_targetILNS1_3genE10ELNS1_11target_archE1201ELNS1_3gpuE5ELNS1_3repE0EEENS1_30default_config_static_selectorELNS0_4arch9wavefront6targetE0EEEvT1_
                                        ; -- End function
	.section	.AMDGPU.csdata,"",@progbits
; Kernel info:
; codeLenInByte = 0
; NumSgprs: 0
; NumVgprs: 0
; ScratchSize: 0
; MemoryBound: 0
; FloatMode: 240
; IeeeMode: 1
; LDSByteSize: 0 bytes/workgroup (compile time only)
; SGPRBlocks: 0
; VGPRBlocks: 0
; NumSGPRsForWavesPerEU: 1
; NumVGPRsForWavesPerEU: 1
; Occupancy: 16
; WaveLimiterHint : 0
; COMPUTE_PGM_RSRC2:SCRATCH_EN: 0
; COMPUTE_PGM_RSRC2:USER_SGPR: 15
; COMPUTE_PGM_RSRC2:TRAP_HANDLER: 0
; COMPUTE_PGM_RSRC2:TGID_X_EN: 1
; COMPUTE_PGM_RSRC2:TGID_Y_EN: 0
; COMPUTE_PGM_RSRC2:TGID_Z_EN: 0
; COMPUTE_PGM_RSRC2:TIDIG_COMP_CNT: 0
	.section	.text._ZN7rocprim17ROCPRIM_400000_NS6detail17trampoline_kernelINS0_14default_configENS1_25transform_config_selectorIxLb0EEEZNS1_14transform_implILb0ES3_S5_NS0_18transform_iteratorINS0_17counting_iteratorImlEEZNS1_24adjacent_difference_implIS3_Lb1ELb0EPxSB_N6thrust23THRUST_200600_302600_NS4plusIxEEEE10hipError_tPvRmT2_T3_mT4_P12ihipStream_tbEUlmE_xEESB_NS0_8identityIvEEEESG_SJ_SK_mSL_SN_bEUlT_E_NS1_11comp_targetILNS1_3genE10ELNS1_11target_archE1200ELNS1_3gpuE4ELNS1_3repE0EEENS1_30default_config_static_selectorELNS0_4arch9wavefront6targetE0EEEvT1_,"axG",@progbits,_ZN7rocprim17ROCPRIM_400000_NS6detail17trampoline_kernelINS0_14default_configENS1_25transform_config_selectorIxLb0EEEZNS1_14transform_implILb0ES3_S5_NS0_18transform_iteratorINS0_17counting_iteratorImlEEZNS1_24adjacent_difference_implIS3_Lb1ELb0EPxSB_N6thrust23THRUST_200600_302600_NS4plusIxEEEE10hipError_tPvRmT2_T3_mT4_P12ihipStream_tbEUlmE_xEESB_NS0_8identityIvEEEESG_SJ_SK_mSL_SN_bEUlT_E_NS1_11comp_targetILNS1_3genE10ELNS1_11target_archE1200ELNS1_3gpuE4ELNS1_3repE0EEENS1_30default_config_static_selectorELNS0_4arch9wavefront6targetE0EEEvT1_,comdat
	.protected	_ZN7rocprim17ROCPRIM_400000_NS6detail17trampoline_kernelINS0_14default_configENS1_25transform_config_selectorIxLb0EEEZNS1_14transform_implILb0ES3_S5_NS0_18transform_iteratorINS0_17counting_iteratorImlEEZNS1_24adjacent_difference_implIS3_Lb1ELb0EPxSB_N6thrust23THRUST_200600_302600_NS4plusIxEEEE10hipError_tPvRmT2_T3_mT4_P12ihipStream_tbEUlmE_xEESB_NS0_8identityIvEEEESG_SJ_SK_mSL_SN_bEUlT_E_NS1_11comp_targetILNS1_3genE10ELNS1_11target_archE1200ELNS1_3gpuE4ELNS1_3repE0EEENS1_30default_config_static_selectorELNS0_4arch9wavefront6targetE0EEEvT1_ ; -- Begin function _ZN7rocprim17ROCPRIM_400000_NS6detail17trampoline_kernelINS0_14default_configENS1_25transform_config_selectorIxLb0EEEZNS1_14transform_implILb0ES3_S5_NS0_18transform_iteratorINS0_17counting_iteratorImlEEZNS1_24adjacent_difference_implIS3_Lb1ELb0EPxSB_N6thrust23THRUST_200600_302600_NS4plusIxEEEE10hipError_tPvRmT2_T3_mT4_P12ihipStream_tbEUlmE_xEESB_NS0_8identityIvEEEESG_SJ_SK_mSL_SN_bEUlT_E_NS1_11comp_targetILNS1_3genE10ELNS1_11target_archE1200ELNS1_3gpuE4ELNS1_3repE0EEENS1_30default_config_static_selectorELNS0_4arch9wavefront6targetE0EEEvT1_
	.globl	_ZN7rocprim17ROCPRIM_400000_NS6detail17trampoline_kernelINS0_14default_configENS1_25transform_config_selectorIxLb0EEEZNS1_14transform_implILb0ES3_S5_NS0_18transform_iteratorINS0_17counting_iteratorImlEEZNS1_24adjacent_difference_implIS3_Lb1ELb0EPxSB_N6thrust23THRUST_200600_302600_NS4plusIxEEEE10hipError_tPvRmT2_T3_mT4_P12ihipStream_tbEUlmE_xEESB_NS0_8identityIvEEEESG_SJ_SK_mSL_SN_bEUlT_E_NS1_11comp_targetILNS1_3genE10ELNS1_11target_archE1200ELNS1_3gpuE4ELNS1_3repE0EEENS1_30default_config_static_selectorELNS0_4arch9wavefront6targetE0EEEvT1_
	.p2align	8
	.type	_ZN7rocprim17ROCPRIM_400000_NS6detail17trampoline_kernelINS0_14default_configENS1_25transform_config_selectorIxLb0EEEZNS1_14transform_implILb0ES3_S5_NS0_18transform_iteratorINS0_17counting_iteratorImlEEZNS1_24adjacent_difference_implIS3_Lb1ELb0EPxSB_N6thrust23THRUST_200600_302600_NS4plusIxEEEE10hipError_tPvRmT2_T3_mT4_P12ihipStream_tbEUlmE_xEESB_NS0_8identityIvEEEESG_SJ_SK_mSL_SN_bEUlT_E_NS1_11comp_targetILNS1_3genE10ELNS1_11target_archE1200ELNS1_3gpuE4ELNS1_3repE0EEENS1_30default_config_static_selectorELNS0_4arch9wavefront6targetE0EEEvT1_,@function
_ZN7rocprim17ROCPRIM_400000_NS6detail17trampoline_kernelINS0_14default_configENS1_25transform_config_selectorIxLb0EEEZNS1_14transform_implILb0ES3_S5_NS0_18transform_iteratorINS0_17counting_iteratorImlEEZNS1_24adjacent_difference_implIS3_Lb1ELb0EPxSB_N6thrust23THRUST_200600_302600_NS4plusIxEEEE10hipError_tPvRmT2_T3_mT4_P12ihipStream_tbEUlmE_xEESB_NS0_8identityIvEEEESG_SJ_SK_mSL_SN_bEUlT_E_NS1_11comp_targetILNS1_3genE10ELNS1_11target_archE1200ELNS1_3gpuE4ELNS1_3repE0EEENS1_30default_config_static_selectorELNS0_4arch9wavefront6targetE0EEEvT1_: ; @_ZN7rocprim17ROCPRIM_400000_NS6detail17trampoline_kernelINS0_14default_configENS1_25transform_config_selectorIxLb0EEEZNS1_14transform_implILb0ES3_S5_NS0_18transform_iteratorINS0_17counting_iteratorImlEEZNS1_24adjacent_difference_implIS3_Lb1ELb0EPxSB_N6thrust23THRUST_200600_302600_NS4plusIxEEEE10hipError_tPvRmT2_T3_mT4_P12ihipStream_tbEUlmE_xEESB_NS0_8identityIvEEEESG_SJ_SK_mSL_SN_bEUlT_E_NS1_11comp_targetILNS1_3genE10ELNS1_11target_archE1200ELNS1_3gpuE4ELNS1_3repE0EEENS1_30default_config_static_selectorELNS0_4arch9wavefront6targetE0EEEvT1_
; %bb.0:
	.section	.rodata,"a",@progbits
	.p2align	6, 0x0
	.amdhsa_kernel _ZN7rocprim17ROCPRIM_400000_NS6detail17trampoline_kernelINS0_14default_configENS1_25transform_config_selectorIxLb0EEEZNS1_14transform_implILb0ES3_S5_NS0_18transform_iteratorINS0_17counting_iteratorImlEEZNS1_24adjacent_difference_implIS3_Lb1ELb0EPxSB_N6thrust23THRUST_200600_302600_NS4plusIxEEEE10hipError_tPvRmT2_T3_mT4_P12ihipStream_tbEUlmE_xEESB_NS0_8identityIvEEEESG_SJ_SK_mSL_SN_bEUlT_E_NS1_11comp_targetILNS1_3genE10ELNS1_11target_archE1200ELNS1_3gpuE4ELNS1_3repE0EEENS1_30default_config_static_selectorELNS0_4arch9wavefront6targetE0EEEvT1_
		.amdhsa_group_segment_fixed_size 0
		.amdhsa_private_segment_fixed_size 0
		.amdhsa_kernarg_size 56
		.amdhsa_user_sgpr_count 15
		.amdhsa_user_sgpr_dispatch_ptr 0
		.amdhsa_user_sgpr_queue_ptr 0
		.amdhsa_user_sgpr_kernarg_segment_ptr 1
		.amdhsa_user_sgpr_dispatch_id 0
		.amdhsa_user_sgpr_private_segment_size 0
		.amdhsa_wavefront_size32 1
		.amdhsa_uses_dynamic_stack 0
		.amdhsa_enable_private_segment 0
		.amdhsa_system_sgpr_workgroup_id_x 1
		.amdhsa_system_sgpr_workgroup_id_y 0
		.amdhsa_system_sgpr_workgroup_id_z 0
		.amdhsa_system_sgpr_workgroup_info 0
		.amdhsa_system_vgpr_workitem_id 0
		.amdhsa_next_free_vgpr 1
		.amdhsa_next_free_sgpr 1
		.amdhsa_reserve_vcc 0
		.amdhsa_float_round_mode_32 0
		.amdhsa_float_round_mode_16_64 0
		.amdhsa_float_denorm_mode_32 3
		.amdhsa_float_denorm_mode_16_64 3
		.amdhsa_dx10_clamp 1
		.amdhsa_ieee_mode 1
		.amdhsa_fp16_overflow 0
		.amdhsa_workgroup_processor_mode 1
		.amdhsa_memory_ordered 1
		.amdhsa_forward_progress 0
		.amdhsa_shared_vgpr_count 0
		.amdhsa_exception_fp_ieee_invalid_op 0
		.amdhsa_exception_fp_denorm_src 0
		.amdhsa_exception_fp_ieee_div_zero 0
		.amdhsa_exception_fp_ieee_overflow 0
		.amdhsa_exception_fp_ieee_underflow 0
		.amdhsa_exception_fp_ieee_inexact 0
		.amdhsa_exception_int_div_zero 0
	.end_amdhsa_kernel
	.section	.text._ZN7rocprim17ROCPRIM_400000_NS6detail17trampoline_kernelINS0_14default_configENS1_25transform_config_selectorIxLb0EEEZNS1_14transform_implILb0ES3_S5_NS0_18transform_iteratorINS0_17counting_iteratorImlEEZNS1_24adjacent_difference_implIS3_Lb1ELb0EPxSB_N6thrust23THRUST_200600_302600_NS4plusIxEEEE10hipError_tPvRmT2_T3_mT4_P12ihipStream_tbEUlmE_xEESB_NS0_8identityIvEEEESG_SJ_SK_mSL_SN_bEUlT_E_NS1_11comp_targetILNS1_3genE10ELNS1_11target_archE1200ELNS1_3gpuE4ELNS1_3repE0EEENS1_30default_config_static_selectorELNS0_4arch9wavefront6targetE0EEEvT1_,"axG",@progbits,_ZN7rocprim17ROCPRIM_400000_NS6detail17trampoline_kernelINS0_14default_configENS1_25transform_config_selectorIxLb0EEEZNS1_14transform_implILb0ES3_S5_NS0_18transform_iteratorINS0_17counting_iteratorImlEEZNS1_24adjacent_difference_implIS3_Lb1ELb0EPxSB_N6thrust23THRUST_200600_302600_NS4plusIxEEEE10hipError_tPvRmT2_T3_mT4_P12ihipStream_tbEUlmE_xEESB_NS0_8identityIvEEEESG_SJ_SK_mSL_SN_bEUlT_E_NS1_11comp_targetILNS1_3genE10ELNS1_11target_archE1200ELNS1_3gpuE4ELNS1_3repE0EEENS1_30default_config_static_selectorELNS0_4arch9wavefront6targetE0EEEvT1_,comdat
.Lfunc_end296:
	.size	_ZN7rocprim17ROCPRIM_400000_NS6detail17trampoline_kernelINS0_14default_configENS1_25transform_config_selectorIxLb0EEEZNS1_14transform_implILb0ES3_S5_NS0_18transform_iteratorINS0_17counting_iteratorImlEEZNS1_24adjacent_difference_implIS3_Lb1ELb0EPxSB_N6thrust23THRUST_200600_302600_NS4plusIxEEEE10hipError_tPvRmT2_T3_mT4_P12ihipStream_tbEUlmE_xEESB_NS0_8identityIvEEEESG_SJ_SK_mSL_SN_bEUlT_E_NS1_11comp_targetILNS1_3genE10ELNS1_11target_archE1200ELNS1_3gpuE4ELNS1_3repE0EEENS1_30default_config_static_selectorELNS0_4arch9wavefront6targetE0EEEvT1_, .Lfunc_end296-_ZN7rocprim17ROCPRIM_400000_NS6detail17trampoline_kernelINS0_14default_configENS1_25transform_config_selectorIxLb0EEEZNS1_14transform_implILb0ES3_S5_NS0_18transform_iteratorINS0_17counting_iteratorImlEEZNS1_24adjacent_difference_implIS3_Lb1ELb0EPxSB_N6thrust23THRUST_200600_302600_NS4plusIxEEEE10hipError_tPvRmT2_T3_mT4_P12ihipStream_tbEUlmE_xEESB_NS0_8identityIvEEEESG_SJ_SK_mSL_SN_bEUlT_E_NS1_11comp_targetILNS1_3genE10ELNS1_11target_archE1200ELNS1_3gpuE4ELNS1_3repE0EEENS1_30default_config_static_selectorELNS0_4arch9wavefront6targetE0EEEvT1_
                                        ; -- End function
	.section	.AMDGPU.csdata,"",@progbits
; Kernel info:
; codeLenInByte = 0
; NumSgprs: 0
; NumVgprs: 0
; ScratchSize: 0
; MemoryBound: 0
; FloatMode: 240
; IeeeMode: 1
; LDSByteSize: 0 bytes/workgroup (compile time only)
; SGPRBlocks: 0
; VGPRBlocks: 0
; NumSGPRsForWavesPerEU: 1
; NumVGPRsForWavesPerEU: 1
; Occupancy: 16
; WaveLimiterHint : 0
; COMPUTE_PGM_RSRC2:SCRATCH_EN: 0
; COMPUTE_PGM_RSRC2:USER_SGPR: 15
; COMPUTE_PGM_RSRC2:TRAP_HANDLER: 0
; COMPUTE_PGM_RSRC2:TGID_X_EN: 1
; COMPUTE_PGM_RSRC2:TGID_Y_EN: 0
; COMPUTE_PGM_RSRC2:TGID_Z_EN: 0
; COMPUTE_PGM_RSRC2:TIDIG_COMP_CNT: 0
	.section	.text._ZN7rocprim17ROCPRIM_400000_NS6detail17trampoline_kernelINS0_14default_configENS1_25transform_config_selectorIxLb0EEEZNS1_14transform_implILb0ES3_S5_NS0_18transform_iteratorINS0_17counting_iteratorImlEEZNS1_24adjacent_difference_implIS3_Lb1ELb0EPxSB_N6thrust23THRUST_200600_302600_NS4plusIxEEEE10hipError_tPvRmT2_T3_mT4_P12ihipStream_tbEUlmE_xEESB_NS0_8identityIvEEEESG_SJ_SK_mSL_SN_bEUlT_E_NS1_11comp_targetILNS1_3genE9ELNS1_11target_archE1100ELNS1_3gpuE3ELNS1_3repE0EEENS1_30default_config_static_selectorELNS0_4arch9wavefront6targetE0EEEvT1_,"axG",@progbits,_ZN7rocprim17ROCPRIM_400000_NS6detail17trampoline_kernelINS0_14default_configENS1_25transform_config_selectorIxLb0EEEZNS1_14transform_implILb0ES3_S5_NS0_18transform_iteratorINS0_17counting_iteratorImlEEZNS1_24adjacent_difference_implIS3_Lb1ELb0EPxSB_N6thrust23THRUST_200600_302600_NS4plusIxEEEE10hipError_tPvRmT2_T3_mT4_P12ihipStream_tbEUlmE_xEESB_NS0_8identityIvEEEESG_SJ_SK_mSL_SN_bEUlT_E_NS1_11comp_targetILNS1_3genE9ELNS1_11target_archE1100ELNS1_3gpuE3ELNS1_3repE0EEENS1_30default_config_static_selectorELNS0_4arch9wavefront6targetE0EEEvT1_,comdat
	.protected	_ZN7rocprim17ROCPRIM_400000_NS6detail17trampoline_kernelINS0_14default_configENS1_25transform_config_selectorIxLb0EEEZNS1_14transform_implILb0ES3_S5_NS0_18transform_iteratorINS0_17counting_iteratorImlEEZNS1_24adjacent_difference_implIS3_Lb1ELb0EPxSB_N6thrust23THRUST_200600_302600_NS4plusIxEEEE10hipError_tPvRmT2_T3_mT4_P12ihipStream_tbEUlmE_xEESB_NS0_8identityIvEEEESG_SJ_SK_mSL_SN_bEUlT_E_NS1_11comp_targetILNS1_3genE9ELNS1_11target_archE1100ELNS1_3gpuE3ELNS1_3repE0EEENS1_30default_config_static_selectorELNS0_4arch9wavefront6targetE0EEEvT1_ ; -- Begin function _ZN7rocprim17ROCPRIM_400000_NS6detail17trampoline_kernelINS0_14default_configENS1_25transform_config_selectorIxLb0EEEZNS1_14transform_implILb0ES3_S5_NS0_18transform_iteratorINS0_17counting_iteratorImlEEZNS1_24adjacent_difference_implIS3_Lb1ELb0EPxSB_N6thrust23THRUST_200600_302600_NS4plusIxEEEE10hipError_tPvRmT2_T3_mT4_P12ihipStream_tbEUlmE_xEESB_NS0_8identityIvEEEESG_SJ_SK_mSL_SN_bEUlT_E_NS1_11comp_targetILNS1_3genE9ELNS1_11target_archE1100ELNS1_3gpuE3ELNS1_3repE0EEENS1_30default_config_static_selectorELNS0_4arch9wavefront6targetE0EEEvT1_
	.globl	_ZN7rocprim17ROCPRIM_400000_NS6detail17trampoline_kernelINS0_14default_configENS1_25transform_config_selectorIxLb0EEEZNS1_14transform_implILb0ES3_S5_NS0_18transform_iteratorINS0_17counting_iteratorImlEEZNS1_24adjacent_difference_implIS3_Lb1ELb0EPxSB_N6thrust23THRUST_200600_302600_NS4plusIxEEEE10hipError_tPvRmT2_T3_mT4_P12ihipStream_tbEUlmE_xEESB_NS0_8identityIvEEEESG_SJ_SK_mSL_SN_bEUlT_E_NS1_11comp_targetILNS1_3genE9ELNS1_11target_archE1100ELNS1_3gpuE3ELNS1_3repE0EEENS1_30default_config_static_selectorELNS0_4arch9wavefront6targetE0EEEvT1_
	.p2align	8
	.type	_ZN7rocprim17ROCPRIM_400000_NS6detail17trampoline_kernelINS0_14default_configENS1_25transform_config_selectorIxLb0EEEZNS1_14transform_implILb0ES3_S5_NS0_18transform_iteratorINS0_17counting_iteratorImlEEZNS1_24adjacent_difference_implIS3_Lb1ELb0EPxSB_N6thrust23THRUST_200600_302600_NS4plusIxEEEE10hipError_tPvRmT2_T3_mT4_P12ihipStream_tbEUlmE_xEESB_NS0_8identityIvEEEESG_SJ_SK_mSL_SN_bEUlT_E_NS1_11comp_targetILNS1_3genE9ELNS1_11target_archE1100ELNS1_3gpuE3ELNS1_3repE0EEENS1_30default_config_static_selectorELNS0_4arch9wavefront6targetE0EEEvT1_,@function
_ZN7rocprim17ROCPRIM_400000_NS6detail17trampoline_kernelINS0_14default_configENS1_25transform_config_selectorIxLb0EEEZNS1_14transform_implILb0ES3_S5_NS0_18transform_iteratorINS0_17counting_iteratorImlEEZNS1_24adjacent_difference_implIS3_Lb1ELb0EPxSB_N6thrust23THRUST_200600_302600_NS4plusIxEEEE10hipError_tPvRmT2_T3_mT4_P12ihipStream_tbEUlmE_xEESB_NS0_8identityIvEEEESG_SJ_SK_mSL_SN_bEUlT_E_NS1_11comp_targetILNS1_3genE9ELNS1_11target_archE1100ELNS1_3gpuE3ELNS1_3repE0EEENS1_30default_config_static_selectorELNS0_4arch9wavefront6targetE0EEEvT1_: ; @_ZN7rocprim17ROCPRIM_400000_NS6detail17trampoline_kernelINS0_14default_configENS1_25transform_config_selectorIxLb0EEEZNS1_14transform_implILb0ES3_S5_NS0_18transform_iteratorINS0_17counting_iteratorImlEEZNS1_24adjacent_difference_implIS3_Lb1ELb0EPxSB_N6thrust23THRUST_200600_302600_NS4plusIxEEEE10hipError_tPvRmT2_T3_mT4_P12ihipStream_tbEUlmE_xEESB_NS0_8identityIvEEEESG_SJ_SK_mSL_SN_bEUlT_E_NS1_11comp_targetILNS1_3genE9ELNS1_11target_archE1100ELNS1_3gpuE3ELNS1_3repE0EEENS1_30default_config_static_selectorELNS0_4arch9wavefront6targetE0EEEvT1_
; %bb.0:
	s_clause 0x4
	s_load_b128 s[4:7], s[0:1], 0x0
	s_load_b64 s[2:3], s[0:1], 0x18
	s_load_b64 s[12:13], s[0:1], 0x28
	s_load_b32 s11, s[0:1], 0x38
	s_load_b32 s8, s[0:1], 0x10
	s_waitcnt lgkmcnt(0)
	s_add_u32 s9, s2, s4
	s_addc_u32 s10, s3, s5
	s_lshl_b64 s[2:3], s[2:3], 3
	s_delay_alu instid0(SALU_CYCLE_1)
	s_add_u32 s4, s12, s2
	s_addc_u32 s5, s13, s3
	s_add_i32 s11, s11, -1
	s_lshl_b32 s2, s15, 9
	s_mov_b32 s3, 0
	s_cmp_lg_u32 s15, s11
	s_mov_b32 s11, -1
	s_cbranch_scc0 .LBB297_2
; %bb.1:
	s_add_u32 s11, s9, s2
	s_addc_u32 s12, s10, 0
	v_add_co_u32 v3, s11, s11, v0
	s_delay_alu instid0(VALU_DEP_1) | instskip(SKIP_1) | instid1(VALU_DEP_2)
	v_add_co_ci_u32_e64 v5, null, s12, 0, s11
	s_lshl_b64 s[12:13], s[2:3], 3
	v_mad_u64_u32 v[1:2], null, v3, s8, 0
	s_add_u32 s12, s4, s12
	s_addc_u32 s13, s5, s13
	s_mov_b32 s11, s3
	s_delay_alu instid0(VALU_DEP_1) | instskip(NEXT) | instid1(VALU_DEP_1)
	v_mad_u64_u32 v[3:4], null, v5, s8, v[2:3]
	v_dual_mov_b32 v2, v3 :: v_dual_lshlrev_b32 v3, 3, v0
	s_delay_alu instid0(VALU_DEP_1) | instskip(NEXT) | instid1(VALU_DEP_1)
	v_lshlrev_b64 v[1:2], 3, v[1:2]
	v_add_co_u32 v1, vcc_lo, s6, v1
	s_delay_alu instid0(VALU_DEP_2)
	v_add_co_ci_u32_e32 v2, vcc_lo, s7, v2, vcc_lo
	global_load_b64 v[1:2], v[1:2], off
	s_waitcnt vmcnt(0)
	global_store_b64 v3, v[1:2], s[12:13]
.LBB297_2:
	s_and_not1_b32 vcc_lo, exec_lo, s11
	s_cbranch_vccnz .LBB297_7
; %bb.3:
	s_load_b32 s0, s[0:1], 0x20
                                        ; implicit-def: $vgpr1_vgpr2
	s_waitcnt lgkmcnt(0)
	s_sub_i32 s0, s0, s2
	s_delay_alu instid0(SALU_CYCLE_1)
	v_cmp_gt_u32_e32 vcc_lo, s0, v0
	s_and_saveexec_b32 s1, vcc_lo
	s_cbranch_execz .LBB297_5
; %bb.4:
	s_add_u32 s0, s9, s2
	s_addc_u32 s9, s10, 0
	v_add_co_u32 v3, s0, s0, v0
	s_delay_alu instid0(VALU_DEP_1) | instskip(NEXT) | instid1(VALU_DEP_2)
	v_add_co_ci_u32_e64 v5, null, s9, 0, s0
	v_mad_u64_u32 v[1:2], null, v3, s8, 0
	s_delay_alu instid0(VALU_DEP_1) | instskip(NEXT) | instid1(VALU_DEP_1)
	v_mad_u64_u32 v[3:4], null, v5, s8, v[2:3]
	v_mov_b32_e32 v2, v3
	s_delay_alu instid0(VALU_DEP_1) | instskip(NEXT) | instid1(VALU_DEP_1)
	v_lshlrev_b64 v[1:2], 3, v[1:2]
	v_add_co_u32 v1, s0, s6, v1
	s_delay_alu instid0(VALU_DEP_1)
	v_add_co_ci_u32_e64 v2, s0, s7, v2, s0
	global_load_b64 v[1:2], v[1:2], off
.LBB297_5:
	s_or_b32 exec_lo, exec_lo, s1
	s_and_saveexec_b32 s0, vcc_lo
	s_cbranch_execz .LBB297_7
; %bb.6:
	s_lshl_b64 s[0:1], s[2:3], 3
	v_lshlrev_b32_e32 v0, 3, v0
	s_add_u32 s0, s4, s0
	s_addc_u32 s1, s5, s1
	s_waitcnt vmcnt(0)
	global_store_b64 v0, v[1:2], s[0:1]
.LBB297_7:
	s_nop 0
	s_sendmsg sendmsg(MSG_DEALLOC_VGPRS)
	s_endpgm
	.section	.rodata,"a",@progbits
	.p2align	6, 0x0
	.amdhsa_kernel _ZN7rocprim17ROCPRIM_400000_NS6detail17trampoline_kernelINS0_14default_configENS1_25transform_config_selectorIxLb0EEEZNS1_14transform_implILb0ES3_S5_NS0_18transform_iteratorINS0_17counting_iteratorImlEEZNS1_24adjacent_difference_implIS3_Lb1ELb0EPxSB_N6thrust23THRUST_200600_302600_NS4plusIxEEEE10hipError_tPvRmT2_T3_mT4_P12ihipStream_tbEUlmE_xEESB_NS0_8identityIvEEEESG_SJ_SK_mSL_SN_bEUlT_E_NS1_11comp_targetILNS1_3genE9ELNS1_11target_archE1100ELNS1_3gpuE3ELNS1_3repE0EEENS1_30default_config_static_selectorELNS0_4arch9wavefront6targetE0EEEvT1_
		.amdhsa_group_segment_fixed_size 0
		.amdhsa_private_segment_fixed_size 0
		.amdhsa_kernarg_size 312
		.amdhsa_user_sgpr_count 15
		.amdhsa_user_sgpr_dispatch_ptr 0
		.amdhsa_user_sgpr_queue_ptr 0
		.amdhsa_user_sgpr_kernarg_segment_ptr 1
		.amdhsa_user_sgpr_dispatch_id 0
		.amdhsa_user_sgpr_private_segment_size 0
		.amdhsa_wavefront_size32 1
		.amdhsa_uses_dynamic_stack 0
		.amdhsa_enable_private_segment 0
		.amdhsa_system_sgpr_workgroup_id_x 1
		.amdhsa_system_sgpr_workgroup_id_y 0
		.amdhsa_system_sgpr_workgroup_id_z 0
		.amdhsa_system_sgpr_workgroup_info 0
		.amdhsa_system_vgpr_workitem_id 0
		.amdhsa_next_free_vgpr 6
		.amdhsa_next_free_sgpr 16
		.amdhsa_reserve_vcc 1
		.amdhsa_float_round_mode_32 0
		.amdhsa_float_round_mode_16_64 0
		.amdhsa_float_denorm_mode_32 3
		.amdhsa_float_denorm_mode_16_64 3
		.amdhsa_dx10_clamp 1
		.amdhsa_ieee_mode 1
		.amdhsa_fp16_overflow 0
		.amdhsa_workgroup_processor_mode 1
		.amdhsa_memory_ordered 1
		.amdhsa_forward_progress 0
		.amdhsa_shared_vgpr_count 0
		.amdhsa_exception_fp_ieee_invalid_op 0
		.amdhsa_exception_fp_denorm_src 0
		.amdhsa_exception_fp_ieee_div_zero 0
		.amdhsa_exception_fp_ieee_overflow 0
		.amdhsa_exception_fp_ieee_underflow 0
		.amdhsa_exception_fp_ieee_inexact 0
		.amdhsa_exception_int_div_zero 0
	.end_amdhsa_kernel
	.section	.text._ZN7rocprim17ROCPRIM_400000_NS6detail17trampoline_kernelINS0_14default_configENS1_25transform_config_selectorIxLb0EEEZNS1_14transform_implILb0ES3_S5_NS0_18transform_iteratorINS0_17counting_iteratorImlEEZNS1_24adjacent_difference_implIS3_Lb1ELb0EPxSB_N6thrust23THRUST_200600_302600_NS4plusIxEEEE10hipError_tPvRmT2_T3_mT4_P12ihipStream_tbEUlmE_xEESB_NS0_8identityIvEEEESG_SJ_SK_mSL_SN_bEUlT_E_NS1_11comp_targetILNS1_3genE9ELNS1_11target_archE1100ELNS1_3gpuE3ELNS1_3repE0EEENS1_30default_config_static_selectorELNS0_4arch9wavefront6targetE0EEEvT1_,"axG",@progbits,_ZN7rocprim17ROCPRIM_400000_NS6detail17trampoline_kernelINS0_14default_configENS1_25transform_config_selectorIxLb0EEEZNS1_14transform_implILb0ES3_S5_NS0_18transform_iteratorINS0_17counting_iteratorImlEEZNS1_24adjacent_difference_implIS3_Lb1ELb0EPxSB_N6thrust23THRUST_200600_302600_NS4plusIxEEEE10hipError_tPvRmT2_T3_mT4_P12ihipStream_tbEUlmE_xEESB_NS0_8identityIvEEEESG_SJ_SK_mSL_SN_bEUlT_E_NS1_11comp_targetILNS1_3genE9ELNS1_11target_archE1100ELNS1_3gpuE3ELNS1_3repE0EEENS1_30default_config_static_selectorELNS0_4arch9wavefront6targetE0EEEvT1_,comdat
.Lfunc_end297:
	.size	_ZN7rocprim17ROCPRIM_400000_NS6detail17trampoline_kernelINS0_14default_configENS1_25transform_config_selectorIxLb0EEEZNS1_14transform_implILb0ES3_S5_NS0_18transform_iteratorINS0_17counting_iteratorImlEEZNS1_24adjacent_difference_implIS3_Lb1ELb0EPxSB_N6thrust23THRUST_200600_302600_NS4plusIxEEEE10hipError_tPvRmT2_T3_mT4_P12ihipStream_tbEUlmE_xEESB_NS0_8identityIvEEEESG_SJ_SK_mSL_SN_bEUlT_E_NS1_11comp_targetILNS1_3genE9ELNS1_11target_archE1100ELNS1_3gpuE3ELNS1_3repE0EEENS1_30default_config_static_selectorELNS0_4arch9wavefront6targetE0EEEvT1_, .Lfunc_end297-_ZN7rocprim17ROCPRIM_400000_NS6detail17trampoline_kernelINS0_14default_configENS1_25transform_config_selectorIxLb0EEEZNS1_14transform_implILb0ES3_S5_NS0_18transform_iteratorINS0_17counting_iteratorImlEEZNS1_24adjacent_difference_implIS3_Lb1ELb0EPxSB_N6thrust23THRUST_200600_302600_NS4plusIxEEEE10hipError_tPvRmT2_T3_mT4_P12ihipStream_tbEUlmE_xEESB_NS0_8identityIvEEEESG_SJ_SK_mSL_SN_bEUlT_E_NS1_11comp_targetILNS1_3genE9ELNS1_11target_archE1100ELNS1_3gpuE3ELNS1_3repE0EEENS1_30default_config_static_selectorELNS0_4arch9wavefront6targetE0EEEvT1_
                                        ; -- End function
	.section	.AMDGPU.csdata,"",@progbits
; Kernel info:
; codeLenInByte = 400
; NumSgprs: 18
; NumVgprs: 6
; ScratchSize: 0
; MemoryBound: 0
; FloatMode: 240
; IeeeMode: 1
; LDSByteSize: 0 bytes/workgroup (compile time only)
; SGPRBlocks: 2
; VGPRBlocks: 0
; NumSGPRsForWavesPerEU: 18
; NumVGPRsForWavesPerEU: 6
; Occupancy: 16
; WaveLimiterHint : 0
; COMPUTE_PGM_RSRC2:SCRATCH_EN: 0
; COMPUTE_PGM_RSRC2:USER_SGPR: 15
; COMPUTE_PGM_RSRC2:TRAP_HANDLER: 0
; COMPUTE_PGM_RSRC2:TGID_X_EN: 1
; COMPUTE_PGM_RSRC2:TGID_Y_EN: 0
; COMPUTE_PGM_RSRC2:TGID_Z_EN: 0
; COMPUTE_PGM_RSRC2:TIDIG_COMP_CNT: 0
	.section	.text._ZN7rocprim17ROCPRIM_400000_NS6detail17trampoline_kernelINS0_14default_configENS1_25transform_config_selectorIxLb0EEEZNS1_14transform_implILb0ES3_S5_NS0_18transform_iteratorINS0_17counting_iteratorImlEEZNS1_24adjacent_difference_implIS3_Lb1ELb0EPxSB_N6thrust23THRUST_200600_302600_NS4plusIxEEEE10hipError_tPvRmT2_T3_mT4_P12ihipStream_tbEUlmE_xEESB_NS0_8identityIvEEEESG_SJ_SK_mSL_SN_bEUlT_E_NS1_11comp_targetILNS1_3genE8ELNS1_11target_archE1030ELNS1_3gpuE2ELNS1_3repE0EEENS1_30default_config_static_selectorELNS0_4arch9wavefront6targetE0EEEvT1_,"axG",@progbits,_ZN7rocprim17ROCPRIM_400000_NS6detail17trampoline_kernelINS0_14default_configENS1_25transform_config_selectorIxLb0EEEZNS1_14transform_implILb0ES3_S5_NS0_18transform_iteratorINS0_17counting_iteratorImlEEZNS1_24adjacent_difference_implIS3_Lb1ELb0EPxSB_N6thrust23THRUST_200600_302600_NS4plusIxEEEE10hipError_tPvRmT2_T3_mT4_P12ihipStream_tbEUlmE_xEESB_NS0_8identityIvEEEESG_SJ_SK_mSL_SN_bEUlT_E_NS1_11comp_targetILNS1_3genE8ELNS1_11target_archE1030ELNS1_3gpuE2ELNS1_3repE0EEENS1_30default_config_static_selectorELNS0_4arch9wavefront6targetE0EEEvT1_,comdat
	.protected	_ZN7rocprim17ROCPRIM_400000_NS6detail17trampoline_kernelINS0_14default_configENS1_25transform_config_selectorIxLb0EEEZNS1_14transform_implILb0ES3_S5_NS0_18transform_iteratorINS0_17counting_iteratorImlEEZNS1_24adjacent_difference_implIS3_Lb1ELb0EPxSB_N6thrust23THRUST_200600_302600_NS4plusIxEEEE10hipError_tPvRmT2_T3_mT4_P12ihipStream_tbEUlmE_xEESB_NS0_8identityIvEEEESG_SJ_SK_mSL_SN_bEUlT_E_NS1_11comp_targetILNS1_3genE8ELNS1_11target_archE1030ELNS1_3gpuE2ELNS1_3repE0EEENS1_30default_config_static_selectorELNS0_4arch9wavefront6targetE0EEEvT1_ ; -- Begin function _ZN7rocprim17ROCPRIM_400000_NS6detail17trampoline_kernelINS0_14default_configENS1_25transform_config_selectorIxLb0EEEZNS1_14transform_implILb0ES3_S5_NS0_18transform_iteratorINS0_17counting_iteratorImlEEZNS1_24adjacent_difference_implIS3_Lb1ELb0EPxSB_N6thrust23THRUST_200600_302600_NS4plusIxEEEE10hipError_tPvRmT2_T3_mT4_P12ihipStream_tbEUlmE_xEESB_NS0_8identityIvEEEESG_SJ_SK_mSL_SN_bEUlT_E_NS1_11comp_targetILNS1_3genE8ELNS1_11target_archE1030ELNS1_3gpuE2ELNS1_3repE0EEENS1_30default_config_static_selectorELNS0_4arch9wavefront6targetE0EEEvT1_
	.globl	_ZN7rocprim17ROCPRIM_400000_NS6detail17trampoline_kernelINS0_14default_configENS1_25transform_config_selectorIxLb0EEEZNS1_14transform_implILb0ES3_S5_NS0_18transform_iteratorINS0_17counting_iteratorImlEEZNS1_24adjacent_difference_implIS3_Lb1ELb0EPxSB_N6thrust23THRUST_200600_302600_NS4plusIxEEEE10hipError_tPvRmT2_T3_mT4_P12ihipStream_tbEUlmE_xEESB_NS0_8identityIvEEEESG_SJ_SK_mSL_SN_bEUlT_E_NS1_11comp_targetILNS1_3genE8ELNS1_11target_archE1030ELNS1_3gpuE2ELNS1_3repE0EEENS1_30default_config_static_selectorELNS0_4arch9wavefront6targetE0EEEvT1_
	.p2align	8
	.type	_ZN7rocprim17ROCPRIM_400000_NS6detail17trampoline_kernelINS0_14default_configENS1_25transform_config_selectorIxLb0EEEZNS1_14transform_implILb0ES3_S5_NS0_18transform_iteratorINS0_17counting_iteratorImlEEZNS1_24adjacent_difference_implIS3_Lb1ELb0EPxSB_N6thrust23THRUST_200600_302600_NS4plusIxEEEE10hipError_tPvRmT2_T3_mT4_P12ihipStream_tbEUlmE_xEESB_NS0_8identityIvEEEESG_SJ_SK_mSL_SN_bEUlT_E_NS1_11comp_targetILNS1_3genE8ELNS1_11target_archE1030ELNS1_3gpuE2ELNS1_3repE0EEENS1_30default_config_static_selectorELNS0_4arch9wavefront6targetE0EEEvT1_,@function
_ZN7rocprim17ROCPRIM_400000_NS6detail17trampoline_kernelINS0_14default_configENS1_25transform_config_selectorIxLb0EEEZNS1_14transform_implILb0ES3_S5_NS0_18transform_iteratorINS0_17counting_iteratorImlEEZNS1_24adjacent_difference_implIS3_Lb1ELb0EPxSB_N6thrust23THRUST_200600_302600_NS4plusIxEEEE10hipError_tPvRmT2_T3_mT4_P12ihipStream_tbEUlmE_xEESB_NS0_8identityIvEEEESG_SJ_SK_mSL_SN_bEUlT_E_NS1_11comp_targetILNS1_3genE8ELNS1_11target_archE1030ELNS1_3gpuE2ELNS1_3repE0EEENS1_30default_config_static_selectorELNS0_4arch9wavefront6targetE0EEEvT1_: ; @_ZN7rocprim17ROCPRIM_400000_NS6detail17trampoline_kernelINS0_14default_configENS1_25transform_config_selectorIxLb0EEEZNS1_14transform_implILb0ES3_S5_NS0_18transform_iteratorINS0_17counting_iteratorImlEEZNS1_24adjacent_difference_implIS3_Lb1ELb0EPxSB_N6thrust23THRUST_200600_302600_NS4plusIxEEEE10hipError_tPvRmT2_T3_mT4_P12ihipStream_tbEUlmE_xEESB_NS0_8identityIvEEEESG_SJ_SK_mSL_SN_bEUlT_E_NS1_11comp_targetILNS1_3genE8ELNS1_11target_archE1030ELNS1_3gpuE2ELNS1_3repE0EEENS1_30default_config_static_selectorELNS0_4arch9wavefront6targetE0EEEvT1_
; %bb.0:
	.section	.rodata,"a",@progbits
	.p2align	6, 0x0
	.amdhsa_kernel _ZN7rocprim17ROCPRIM_400000_NS6detail17trampoline_kernelINS0_14default_configENS1_25transform_config_selectorIxLb0EEEZNS1_14transform_implILb0ES3_S5_NS0_18transform_iteratorINS0_17counting_iteratorImlEEZNS1_24adjacent_difference_implIS3_Lb1ELb0EPxSB_N6thrust23THRUST_200600_302600_NS4plusIxEEEE10hipError_tPvRmT2_T3_mT4_P12ihipStream_tbEUlmE_xEESB_NS0_8identityIvEEEESG_SJ_SK_mSL_SN_bEUlT_E_NS1_11comp_targetILNS1_3genE8ELNS1_11target_archE1030ELNS1_3gpuE2ELNS1_3repE0EEENS1_30default_config_static_selectorELNS0_4arch9wavefront6targetE0EEEvT1_
		.amdhsa_group_segment_fixed_size 0
		.amdhsa_private_segment_fixed_size 0
		.amdhsa_kernarg_size 56
		.amdhsa_user_sgpr_count 15
		.amdhsa_user_sgpr_dispatch_ptr 0
		.amdhsa_user_sgpr_queue_ptr 0
		.amdhsa_user_sgpr_kernarg_segment_ptr 1
		.amdhsa_user_sgpr_dispatch_id 0
		.amdhsa_user_sgpr_private_segment_size 0
		.amdhsa_wavefront_size32 1
		.amdhsa_uses_dynamic_stack 0
		.amdhsa_enable_private_segment 0
		.amdhsa_system_sgpr_workgroup_id_x 1
		.amdhsa_system_sgpr_workgroup_id_y 0
		.amdhsa_system_sgpr_workgroup_id_z 0
		.amdhsa_system_sgpr_workgroup_info 0
		.amdhsa_system_vgpr_workitem_id 0
		.amdhsa_next_free_vgpr 1
		.amdhsa_next_free_sgpr 1
		.amdhsa_reserve_vcc 0
		.amdhsa_float_round_mode_32 0
		.amdhsa_float_round_mode_16_64 0
		.amdhsa_float_denorm_mode_32 3
		.amdhsa_float_denorm_mode_16_64 3
		.amdhsa_dx10_clamp 1
		.amdhsa_ieee_mode 1
		.amdhsa_fp16_overflow 0
		.amdhsa_workgroup_processor_mode 1
		.amdhsa_memory_ordered 1
		.amdhsa_forward_progress 0
		.amdhsa_shared_vgpr_count 0
		.amdhsa_exception_fp_ieee_invalid_op 0
		.amdhsa_exception_fp_denorm_src 0
		.amdhsa_exception_fp_ieee_div_zero 0
		.amdhsa_exception_fp_ieee_overflow 0
		.amdhsa_exception_fp_ieee_underflow 0
		.amdhsa_exception_fp_ieee_inexact 0
		.amdhsa_exception_int_div_zero 0
	.end_amdhsa_kernel
	.section	.text._ZN7rocprim17ROCPRIM_400000_NS6detail17trampoline_kernelINS0_14default_configENS1_25transform_config_selectorIxLb0EEEZNS1_14transform_implILb0ES3_S5_NS0_18transform_iteratorINS0_17counting_iteratorImlEEZNS1_24adjacent_difference_implIS3_Lb1ELb0EPxSB_N6thrust23THRUST_200600_302600_NS4plusIxEEEE10hipError_tPvRmT2_T3_mT4_P12ihipStream_tbEUlmE_xEESB_NS0_8identityIvEEEESG_SJ_SK_mSL_SN_bEUlT_E_NS1_11comp_targetILNS1_3genE8ELNS1_11target_archE1030ELNS1_3gpuE2ELNS1_3repE0EEENS1_30default_config_static_selectorELNS0_4arch9wavefront6targetE0EEEvT1_,"axG",@progbits,_ZN7rocprim17ROCPRIM_400000_NS6detail17trampoline_kernelINS0_14default_configENS1_25transform_config_selectorIxLb0EEEZNS1_14transform_implILb0ES3_S5_NS0_18transform_iteratorINS0_17counting_iteratorImlEEZNS1_24adjacent_difference_implIS3_Lb1ELb0EPxSB_N6thrust23THRUST_200600_302600_NS4plusIxEEEE10hipError_tPvRmT2_T3_mT4_P12ihipStream_tbEUlmE_xEESB_NS0_8identityIvEEEESG_SJ_SK_mSL_SN_bEUlT_E_NS1_11comp_targetILNS1_3genE8ELNS1_11target_archE1030ELNS1_3gpuE2ELNS1_3repE0EEENS1_30default_config_static_selectorELNS0_4arch9wavefront6targetE0EEEvT1_,comdat
.Lfunc_end298:
	.size	_ZN7rocprim17ROCPRIM_400000_NS6detail17trampoline_kernelINS0_14default_configENS1_25transform_config_selectorIxLb0EEEZNS1_14transform_implILb0ES3_S5_NS0_18transform_iteratorINS0_17counting_iteratorImlEEZNS1_24adjacent_difference_implIS3_Lb1ELb0EPxSB_N6thrust23THRUST_200600_302600_NS4plusIxEEEE10hipError_tPvRmT2_T3_mT4_P12ihipStream_tbEUlmE_xEESB_NS0_8identityIvEEEESG_SJ_SK_mSL_SN_bEUlT_E_NS1_11comp_targetILNS1_3genE8ELNS1_11target_archE1030ELNS1_3gpuE2ELNS1_3repE0EEENS1_30default_config_static_selectorELNS0_4arch9wavefront6targetE0EEEvT1_, .Lfunc_end298-_ZN7rocprim17ROCPRIM_400000_NS6detail17trampoline_kernelINS0_14default_configENS1_25transform_config_selectorIxLb0EEEZNS1_14transform_implILb0ES3_S5_NS0_18transform_iteratorINS0_17counting_iteratorImlEEZNS1_24adjacent_difference_implIS3_Lb1ELb0EPxSB_N6thrust23THRUST_200600_302600_NS4plusIxEEEE10hipError_tPvRmT2_T3_mT4_P12ihipStream_tbEUlmE_xEESB_NS0_8identityIvEEEESG_SJ_SK_mSL_SN_bEUlT_E_NS1_11comp_targetILNS1_3genE8ELNS1_11target_archE1030ELNS1_3gpuE2ELNS1_3repE0EEENS1_30default_config_static_selectorELNS0_4arch9wavefront6targetE0EEEvT1_
                                        ; -- End function
	.section	.AMDGPU.csdata,"",@progbits
; Kernel info:
; codeLenInByte = 0
; NumSgprs: 0
; NumVgprs: 0
; ScratchSize: 0
; MemoryBound: 0
; FloatMode: 240
; IeeeMode: 1
; LDSByteSize: 0 bytes/workgroup (compile time only)
; SGPRBlocks: 0
; VGPRBlocks: 0
; NumSGPRsForWavesPerEU: 1
; NumVGPRsForWavesPerEU: 1
; Occupancy: 16
; WaveLimiterHint : 0
; COMPUTE_PGM_RSRC2:SCRATCH_EN: 0
; COMPUTE_PGM_RSRC2:USER_SGPR: 15
; COMPUTE_PGM_RSRC2:TRAP_HANDLER: 0
; COMPUTE_PGM_RSRC2:TGID_X_EN: 1
; COMPUTE_PGM_RSRC2:TGID_Y_EN: 0
; COMPUTE_PGM_RSRC2:TGID_Z_EN: 0
; COMPUTE_PGM_RSRC2:TIDIG_COMP_CNT: 0
	.section	.text._ZN7rocprim17ROCPRIM_400000_NS6detail17trampoline_kernelINS0_14default_configENS1_35adjacent_difference_config_selectorILb1ExEEZNS1_24adjacent_difference_implIS3_Lb1ELb0EPxS7_N6thrust23THRUST_200600_302600_NS4plusIxEEEE10hipError_tPvRmT2_T3_mT4_P12ihipStream_tbEUlT_E_NS1_11comp_targetILNS1_3genE0ELNS1_11target_archE4294967295ELNS1_3gpuE0ELNS1_3repE0EEENS1_30default_config_static_selectorELNS0_4arch9wavefront6targetE0EEEvT1_,"axG",@progbits,_ZN7rocprim17ROCPRIM_400000_NS6detail17trampoline_kernelINS0_14default_configENS1_35adjacent_difference_config_selectorILb1ExEEZNS1_24adjacent_difference_implIS3_Lb1ELb0EPxS7_N6thrust23THRUST_200600_302600_NS4plusIxEEEE10hipError_tPvRmT2_T3_mT4_P12ihipStream_tbEUlT_E_NS1_11comp_targetILNS1_3genE0ELNS1_11target_archE4294967295ELNS1_3gpuE0ELNS1_3repE0EEENS1_30default_config_static_selectorELNS0_4arch9wavefront6targetE0EEEvT1_,comdat
	.protected	_ZN7rocprim17ROCPRIM_400000_NS6detail17trampoline_kernelINS0_14default_configENS1_35adjacent_difference_config_selectorILb1ExEEZNS1_24adjacent_difference_implIS3_Lb1ELb0EPxS7_N6thrust23THRUST_200600_302600_NS4plusIxEEEE10hipError_tPvRmT2_T3_mT4_P12ihipStream_tbEUlT_E_NS1_11comp_targetILNS1_3genE0ELNS1_11target_archE4294967295ELNS1_3gpuE0ELNS1_3repE0EEENS1_30default_config_static_selectorELNS0_4arch9wavefront6targetE0EEEvT1_ ; -- Begin function _ZN7rocprim17ROCPRIM_400000_NS6detail17trampoline_kernelINS0_14default_configENS1_35adjacent_difference_config_selectorILb1ExEEZNS1_24adjacent_difference_implIS3_Lb1ELb0EPxS7_N6thrust23THRUST_200600_302600_NS4plusIxEEEE10hipError_tPvRmT2_T3_mT4_P12ihipStream_tbEUlT_E_NS1_11comp_targetILNS1_3genE0ELNS1_11target_archE4294967295ELNS1_3gpuE0ELNS1_3repE0EEENS1_30default_config_static_selectorELNS0_4arch9wavefront6targetE0EEEvT1_
	.globl	_ZN7rocprim17ROCPRIM_400000_NS6detail17trampoline_kernelINS0_14default_configENS1_35adjacent_difference_config_selectorILb1ExEEZNS1_24adjacent_difference_implIS3_Lb1ELb0EPxS7_N6thrust23THRUST_200600_302600_NS4plusIxEEEE10hipError_tPvRmT2_T3_mT4_P12ihipStream_tbEUlT_E_NS1_11comp_targetILNS1_3genE0ELNS1_11target_archE4294967295ELNS1_3gpuE0ELNS1_3repE0EEENS1_30default_config_static_selectorELNS0_4arch9wavefront6targetE0EEEvT1_
	.p2align	8
	.type	_ZN7rocprim17ROCPRIM_400000_NS6detail17trampoline_kernelINS0_14default_configENS1_35adjacent_difference_config_selectorILb1ExEEZNS1_24adjacent_difference_implIS3_Lb1ELb0EPxS7_N6thrust23THRUST_200600_302600_NS4plusIxEEEE10hipError_tPvRmT2_T3_mT4_P12ihipStream_tbEUlT_E_NS1_11comp_targetILNS1_3genE0ELNS1_11target_archE4294967295ELNS1_3gpuE0ELNS1_3repE0EEENS1_30default_config_static_selectorELNS0_4arch9wavefront6targetE0EEEvT1_,@function
_ZN7rocprim17ROCPRIM_400000_NS6detail17trampoline_kernelINS0_14default_configENS1_35adjacent_difference_config_selectorILb1ExEEZNS1_24adjacent_difference_implIS3_Lb1ELb0EPxS7_N6thrust23THRUST_200600_302600_NS4plusIxEEEE10hipError_tPvRmT2_T3_mT4_P12ihipStream_tbEUlT_E_NS1_11comp_targetILNS1_3genE0ELNS1_11target_archE4294967295ELNS1_3gpuE0ELNS1_3repE0EEENS1_30default_config_static_selectorELNS0_4arch9wavefront6targetE0EEEvT1_: ; @_ZN7rocprim17ROCPRIM_400000_NS6detail17trampoline_kernelINS0_14default_configENS1_35adjacent_difference_config_selectorILb1ExEEZNS1_24adjacent_difference_implIS3_Lb1ELb0EPxS7_N6thrust23THRUST_200600_302600_NS4plusIxEEEE10hipError_tPvRmT2_T3_mT4_P12ihipStream_tbEUlT_E_NS1_11comp_targetILNS1_3genE0ELNS1_11target_archE4294967295ELNS1_3gpuE0ELNS1_3repE0EEENS1_30default_config_static_selectorELNS0_4arch9wavefront6targetE0EEEvT1_
; %bb.0:
	.section	.rodata,"a",@progbits
	.p2align	6, 0x0
	.amdhsa_kernel _ZN7rocprim17ROCPRIM_400000_NS6detail17trampoline_kernelINS0_14default_configENS1_35adjacent_difference_config_selectorILb1ExEEZNS1_24adjacent_difference_implIS3_Lb1ELb0EPxS7_N6thrust23THRUST_200600_302600_NS4plusIxEEEE10hipError_tPvRmT2_T3_mT4_P12ihipStream_tbEUlT_E_NS1_11comp_targetILNS1_3genE0ELNS1_11target_archE4294967295ELNS1_3gpuE0ELNS1_3repE0EEENS1_30default_config_static_selectorELNS0_4arch9wavefront6targetE0EEEvT1_
		.amdhsa_group_segment_fixed_size 0
		.amdhsa_private_segment_fixed_size 0
		.amdhsa_kernarg_size 56
		.amdhsa_user_sgpr_count 15
		.amdhsa_user_sgpr_dispatch_ptr 0
		.amdhsa_user_sgpr_queue_ptr 0
		.amdhsa_user_sgpr_kernarg_segment_ptr 1
		.amdhsa_user_sgpr_dispatch_id 0
		.amdhsa_user_sgpr_private_segment_size 0
		.amdhsa_wavefront_size32 1
		.amdhsa_uses_dynamic_stack 0
		.amdhsa_enable_private_segment 0
		.amdhsa_system_sgpr_workgroup_id_x 1
		.amdhsa_system_sgpr_workgroup_id_y 0
		.amdhsa_system_sgpr_workgroup_id_z 0
		.amdhsa_system_sgpr_workgroup_info 0
		.amdhsa_system_vgpr_workitem_id 0
		.amdhsa_next_free_vgpr 1
		.amdhsa_next_free_sgpr 1
		.amdhsa_reserve_vcc 0
		.amdhsa_float_round_mode_32 0
		.amdhsa_float_round_mode_16_64 0
		.amdhsa_float_denorm_mode_32 3
		.amdhsa_float_denorm_mode_16_64 3
		.amdhsa_dx10_clamp 1
		.amdhsa_ieee_mode 1
		.amdhsa_fp16_overflow 0
		.amdhsa_workgroup_processor_mode 1
		.amdhsa_memory_ordered 1
		.amdhsa_forward_progress 0
		.amdhsa_shared_vgpr_count 0
		.amdhsa_exception_fp_ieee_invalid_op 0
		.amdhsa_exception_fp_denorm_src 0
		.amdhsa_exception_fp_ieee_div_zero 0
		.amdhsa_exception_fp_ieee_overflow 0
		.amdhsa_exception_fp_ieee_underflow 0
		.amdhsa_exception_fp_ieee_inexact 0
		.amdhsa_exception_int_div_zero 0
	.end_amdhsa_kernel
	.section	.text._ZN7rocprim17ROCPRIM_400000_NS6detail17trampoline_kernelINS0_14default_configENS1_35adjacent_difference_config_selectorILb1ExEEZNS1_24adjacent_difference_implIS3_Lb1ELb0EPxS7_N6thrust23THRUST_200600_302600_NS4plusIxEEEE10hipError_tPvRmT2_T3_mT4_P12ihipStream_tbEUlT_E_NS1_11comp_targetILNS1_3genE0ELNS1_11target_archE4294967295ELNS1_3gpuE0ELNS1_3repE0EEENS1_30default_config_static_selectorELNS0_4arch9wavefront6targetE0EEEvT1_,"axG",@progbits,_ZN7rocprim17ROCPRIM_400000_NS6detail17trampoline_kernelINS0_14default_configENS1_35adjacent_difference_config_selectorILb1ExEEZNS1_24adjacent_difference_implIS3_Lb1ELb0EPxS7_N6thrust23THRUST_200600_302600_NS4plusIxEEEE10hipError_tPvRmT2_T3_mT4_P12ihipStream_tbEUlT_E_NS1_11comp_targetILNS1_3genE0ELNS1_11target_archE4294967295ELNS1_3gpuE0ELNS1_3repE0EEENS1_30default_config_static_selectorELNS0_4arch9wavefront6targetE0EEEvT1_,comdat
.Lfunc_end299:
	.size	_ZN7rocprim17ROCPRIM_400000_NS6detail17trampoline_kernelINS0_14default_configENS1_35adjacent_difference_config_selectorILb1ExEEZNS1_24adjacent_difference_implIS3_Lb1ELb0EPxS7_N6thrust23THRUST_200600_302600_NS4plusIxEEEE10hipError_tPvRmT2_T3_mT4_P12ihipStream_tbEUlT_E_NS1_11comp_targetILNS1_3genE0ELNS1_11target_archE4294967295ELNS1_3gpuE0ELNS1_3repE0EEENS1_30default_config_static_selectorELNS0_4arch9wavefront6targetE0EEEvT1_, .Lfunc_end299-_ZN7rocprim17ROCPRIM_400000_NS6detail17trampoline_kernelINS0_14default_configENS1_35adjacent_difference_config_selectorILb1ExEEZNS1_24adjacent_difference_implIS3_Lb1ELb0EPxS7_N6thrust23THRUST_200600_302600_NS4plusIxEEEE10hipError_tPvRmT2_T3_mT4_P12ihipStream_tbEUlT_E_NS1_11comp_targetILNS1_3genE0ELNS1_11target_archE4294967295ELNS1_3gpuE0ELNS1_3repE0EEENS1_30default_config_static_selectorELNS0_4arch9wavefront6targetE0EEEvT1_
                                        ; -- End function
	.section	.AMDGPU.csdata,"",@progbits
; Kernel info:
; codeLenInByte = 0
; NumSgprs: 0
; NumVgprs: 0
; ScratchSize: 0
; MemoryBound: 0
; FloatMode: 240
; IeeeMode: 1
; LDSByteSize: 0 bytes/workgroup (compile time only)
; SGPRBlocks: 0
; VGPRBlocks: 0
; NumSGPRsForWavesPerEU: 1
; NumVGPRsForWavesPerEU: 1
; Occupancy: 16
; WaveLimiterHint : 0
; COMPUTE_PGM_RSRC2:SCRATCH_EN: 0
; COMPUTE_PGM_RSRC2:USER_SGPR: 15
; COMPUTE_PGM_RSRC2:TRAP_HANDLER: 0
; COMPUTE_PGM_RSRC2:TGID_X_EN: 1
; COMPUTE_PGM_RSRC2:TGID_Y_EN: 0
; COMPUTE_PGM_RSRC2:TGID_Z_EN: 0
; COMPUTE_PGM_RSRC2:TIDIG_COMP_CNT: 0
	.section	.text._ZN7rocprim17ROCPRIM_400000_NS6detail17trampoline_kernelINS0_14default_configENS1_35adjacent_difference_config_selectorILb1ExEEZNS1_24adjacent_difference_implIS3_Lb1ELb0EPxS7_N6thrust23THRUST_200600_302600_NS4plusIxEEEE10hipError_tPvRmT2_T3_mT4_P12ihipStream_tbEUlT_E_NS1_11comp_targetILNS1_3genE10ELNS1_11target_archE1201ELNS1_3gpuE5ELNS1_3repE0EEENS1_30default_config_static_selectorELNS0_4arch9wavefront6targetE0EEEvT1_,"axG",@progbits,_ZN7rocprim17ROCPRIM_400000_NS6detail17trampoline_kernelINS0_14default_configENS1_35adjacent_difference_config_selectorILb1ExEEZNS1_24adjacent_difference_implIS3_Lb1ELb0EPxS7_N6thrust23THRUST_200600_302600_NS4plusIxEEEE10hipError_tPvRmT2_T3_mT4_P12ihipStream_tbEUlT_E_NS1_11comp_targetILNS1_3genE10ELNS1_11target_archE1201ELNS1_3gpuE5ELNS1_3repE0EEENS1_30default_config_static_selectorELNS0_4arch9wavefront6targetE0EEEvT1_,comdat
	.protected	_ZN7rocprim17ROCPRIM_400000_NS6detail17trampoline_kernelINS0_14default_configENS1_35adjacent_difference_config_selectorILb1ExEEZNS1_24adjacent_difference_implIS3_Lb1ELb0EPxS7_N6thrust23THRUST_200600_302600_NS4plusIxEEEE10hipError_tPvRmT2_T3_mT4_P12ihipStream_tbEUlT_E_NS1_11comp_targetILNS1_3genE10ELNS1_11target_archE1201ELNS1_3gpuE5ELNS1_3repE0EEENS1_30default_config_static_selectorELNS0_4arch9wavefront6targetE0EEEvT1_ ; -- Begin function _ZN7rocprim17ROCPRIM_400000_NS6detail17trampoline_kernelINS0_14default_configENS1_35adjacent_difference_config_selectorILb1ExEEZNS1_24adjacent_difference_implIS3_Lb1ELb0EPxS7_N6thrust23THRUST_200600_302600_NS4plusIxEEEE10hipError_tPvRmT2_T3_mT4_P12ihipStream_tbEUlT_E_NS1_11comp_targetILNS1_3genE10ELNS1_11target_archE1201ELNS1_3gpuE5ELNS1_3repE0EEENS1_30default_config_static_selectorELNS0_4arch9wavefront6targetE0EEEvT1_
	.globl	_ZN7rocprim17ROCPRIM_400000_NS6detail17trampoline_kernelINS0_14default_configENS1_35adjacent_difference_config_selectorILb1ExEEZNS1_24adjacent_difference_implIS3_Lb1ELb0EPxS7_N6thrust23THRUST_200600_302600_NS4plusIxEEEE10hipError_tPvRmT2_T3_mT4_P12ihipStream_tbEUlT_E_NS1_11comp_targetILNS1_3genE10ELNS1_11target_archE1201ELNS1_3gpuE5ELNS1_3repE0EEENS1_30default_config_static_selectorELNS0_4arch9wavefront6targetE0EEEvT1_
	.p2align	8
	.type	_ZN7rocprim17ROCPRIM_400000_NS6detail17trampoline_kernelINS0_14default_configENS1_35adjacent_difference_config_selectorILb1ExEEZNS1_24adjacent_difference_implIS3_Lb1ELb0EPxS7_N6thrust23THRUST_200600_302600_NS4plusIxEEEE10hipError_tPvRmT2_T3_mT4_P12ihipStream_tbEUlT_E_NS1_11comp_targetILNS1_3genE10ELNS1_11target_archE1201ELNS1_3gpuE5ELNS1_3repE0EEENS1_30default_config_static_selectorELNS0_4arch9wavefront6targetE0EEEvT1_,@function
_ZN7rocprim17ROCPRIM_400000_NS6detail17trampoline_kernelINS0_14default_configENS1_35adjacent_difference_config_selectorILb1ExEEZNS1_24adjacent_difference_implIS3_Lb1ELb0EPxS7_N6thrust23THRUST_200600_302600_NS4plusIxEEEE10hipError_tPvRmT2_T3_mT4_P12ihipStream_tbEUlT_E_NS1_11comp_targetILNS1_3genE10ELNS1_11target_archE1201ELNS1_3gpuE5ELNS1_3repE0EEENS1_30default_config_static_selectorELNS0_4arch9wavefront6targetE0EEEvT1_: ; @_ZN7rocprim17ROCPRIM_400000_NS6detail17trampoline_kernelINS0_14default_configENS1_35adjacent_difference_config_selectorILb1ExEEZNS1_24adjacent_difference_implIS3_Lb1ELb0EPxS7_N6thrust23THRUST_200600_302600_NS4plusIxEEEE10hipError_tPvRmT2_T3_mT4_P12ihipStream_tbEUlT_E_NS1_11comp_targetILNS1_3genE10ELNS1_11target_archE1201ELNS1_3gpuE5ELNS1_3repE0EEENS1_30default_config_static_selectorELNS0_4arch9wavefront6targetE0EEEvT1_
; %bb.0:
	.section	.rodata,"a",@progbits
	.p2align	6, 0x0
	.amdhsa_kernel _ZN7rocprim17ROCPRIM_400000_NS6detail17trampoline_kernelINS0_14default_configENS1_35adjacent_difference_config_selectorILb1ExEEZNS1_24adjacent_difference_implIS3_Lb1ELb0EPxS7_N6thrust23THRUST_200600_302600_NS4plusIxEEEE10hipError_tPvRmT2_T3_mT4_P12ihipStream_tbEUlT_E_NS1_11comp_targetILNS1_3genE10ELNS1_11target_archE1201ELNS1_3gpuE5ELNS1_3repE0EEENS1_30default_config_static_selectorELNS0_4arch9wavefront6targetE0EEEvT1_
		.amdhsa_group_segment_fixed_size 0
		.amdhsa_private_segment_fixed_size 0
		.amdhsa_kernarg_size 56
		.amdhsa_user_sgpr_count 15
		.amdhsa_user_sgpr_dispatch_ptr 0
		.amdhsa_user_sgpr_queue_ptr 0
		.amdhsa_user_sgpr_kernarg_segment_ptr 1
		.amdhsa_user_sgpr_dispatch_id 0
		.amdhsa_user_sgpr_private_segment_size 0
		.amdhsa_wavefront_size32 1
		.amdhsa_uses_dynamic_stack 0
		.amdhsa_enable_private_segment 0
		.amdhsa_system_sgpr_workgroup_id_x 1
		.amdhsa_system_sgpr_workgroup_id_y 0
		.amdhsa_system_sgpr_workgroup_id_z 0
		.amdhsa_system_sgpr_workgroup_info 0
		.amdhsa_system_vgpr_workitem_id 0
		.amdhsa_next_free_vgpr 1
		.amdhsa_next_free_sgpr 1
		.amdhsa_reserve_vcc 0
		.amdhsa_float_round_mode_32 0
		.amdhsa_float_round_mode_16_64 0
		.amdhsa_float_denorm_mode_32 3
		.amdhsa_float_denorm_mode_16_64 3
		.amdhsa_dx10_clamp 1
		.amdhsa_ieee_mode 1
		.amdhsa_fp16_overflow 0
		.amdhsa_workgroup_processor_mode 1
		.amdhsa_memory_ordered 1
		.amdhsa_forward_progress 0
		.amdhsa_shared_vgpr_count 0
		.amdhsa_exception_fp_ieee_invalid_op 0
		.amdhsa_exception_fp_denorm_src 0
		.amdhsa_exception_fp_ieee_div_zero 0
		.amdhsa_exception_fp_ieee_overflow 0
		.amdhsa_exception_fp_ieee_underflow 0
		.amdhsa_exception_fp_ieee_inexact 0
		.amdhsa_exception_int_div_zero 0
	.end_amdhsa_kernel
	.section	.text._ZN7rocprim17ROCPRIM_400000_NS6detail17trampoline_kernelINS0_14default_configENS1_35adjacent_difference_config_selectorILb1ExEEZNS1_24adjacent_difference_implIS3_Lb1ELb0EPxS7_N6thrust23THRUST_200600_302600_NS4plusIxEEEE10hipError_tPvRmT2_T3_mT4_P12ihipStream_tbEUlT_E_NS1_11comp_targetILNS1_3genE10ELNS1_11target_archE1201ELNS1_3gpuE5ELNS1_3repE0EEENS1_30default_config_static_selectorELNS0_4arch9wavefront6targetE0EEEvT1_,"axG",@progbits,_ZN7rocprim17ROCPRIM_400000_NS6detail17trampoline_kernelINS0_14default_configENS1_35adjacent_difference_config_selectorILb1ExEEZNS1_24adjacent_difference_implIS3_Lb1ELb0EPxS7_N6thrust23THRUST_200600_302600_NS4plusIxEEEE10hipError_tPvRmT2_T3_mT4_P12ihipStream_tbEUlT_E_NS1_11comp_targetILNS1_3genE10ELNS1_11target_archE1201ELNS1_3gpuE5ELNS1_3repE0EEENS1_30default_config_static_selectorELNS0_4arch9wavefront6targetE0EEEvT1_,comdat
.Lfunc_end300:
	.size	_ZN7rocprim17ROCPRIM_400000_NS6detail17trampoline_kernelINS0_14default_configENS1_35adjacent_difference_config_selectorILb1ExEEZNS1_24adjacent_difference_implIS3_Lb1ELb0EPxS7_N6thrust23THRUST_200600_302600_NS4plusIxEEEE10hipError_tPvRmT2_T3_mT4_P12ihipStream_tbEUlT_E_NS1_11comp_targetILNS1_3genE10ELNS1_11target_archE1201ELNS1_3gpuE5ELNS1_3repE0EEENS1_30default_config_static_selectorELNS0_4arch9wavefront6targetE0EEEvT1_, .Lfunc_end300-_ZN7rocprim17ROCPRIM_400000_NS6detail17trampoline_kernelINS0_14default_configENS1_35adjacent_difference_config_selectorILb1ExEEZNS1_24adjacent_difference_implIS3_Lb1ELb0EPxS7_N6thrust23THRUST_200600_302600_NS4plusIxEEEE10hipError_tPvRmT2_T3_mT4_P12ihipStream_tbEUlT_E_NS1_11comp_targetILNS1_3genE10ELNS1_11target_archE1201ELNS1_3gpuE5ELNS1_3repE0EEENS1_30default_config_static_selectorELNS0_4arch9wavefront6targetE0EEEvT1_
                                        ; -- End function
	.section	.AMDGPU.csdata,"",@progbits
; Kernel info:
; codeLenInByte = 0
; NumSgprs: 0
; NumVgprs: 0
; ScratchSize: 0
; MemoryBound: 0
; FloatMode: 240
; IeeeMode: 1
; LDSByteSize: 0 bytes/workgroup (compile time only)
; SGPRBlocks: 0
; VGPRBlocks: 0
; NumSGPRsForWavesPerEU: 1
; NumVGPRsForWavesPerEU: 1
; Occupancy: 16
; WaveLimiterHint : 0
; COMPUTE_PGM_RSRC2:SCRATCH_EN: 0
; COMPUTE_PGM_RSRC2:USER_SGPR: 15
; COMPUTE_PGM_RSRC2:TRAP_HANDLER: 0
; COMPUTE_PGM_RSRC2:TGID_X_EN: 1
; COMPUTE_PGM_RSRC2:TGID_Y_EN: 0
; COMPUTE_PGM_RSRC2:TGID_Z_EN: 0
; COMPUTE_PGM_RSRC2:TIDIG_COMP_CNT: 0
	.section	.text._ZN7rocprim17ROCPRIM_400000_NS6detail17trampoline_kernelINS0_14default_configENS1_35adjacent_difference_config_selectorILb1ExEEZNS1_24adjacent_difference_implIS3_Lb1ELb0EPxS7_N6thrust23THRUST_200600_302600_NS4plusIxEEEE10hipError_tPvRmT2_T3_mT4_P12ihipStream_tbEUlT_E_NS1_11comp_targetILNS1_3genE5ELNS1_11target_archE942ELNS1_3gpuE9ELNS1_3repE0EEENS1_30default_config_static_selectorELNS0_4arch9wavefront6targetE0EEEvT1_,"axG",@progbits,_ZN7rocprim17ROCPRIM_400000_NS6detail17trampoline_kernelINS0_14default_configENS1_35adjacent_difference_config_selectorILb1ExEEZNS1_24adjacent_difference_implIS3_Lb1ELb0EPxS7_N6thrust23THRUST_200600_302600_NS4plusIxEEEE10hipError_tPvRmT2_T3_mT4_P12ihipStream_tbEUlT_E_NS1_11comp_targetILNS1_3genE5ELNS1_11target_archE942ELNS1_3gpuE9ELNS1_3repE0EEENS1_30default_config_static_selectorELNS0_4arch9wavefront6targetE0EEEvT1_,comdat
	.protected	_ZN7rocprim17ROCPRIM_400000_NS6detail17trampoline_kernelINS0_14default_configENS1_35adjacent_difference_config_selectorILb1ExEEZNS1_24adjacent_difference_implIS3_Lb1ELb0EPxS7_N6thrust23THRUST_200600_302600_NS4plusIxEEEE10hipError_tPvRmT2_T3_mT4_P12ihipStream_tbEUlT_E_NS1_11comp_targetILNS1_3genE5ELNS1_11target_archE942ELNS1_3gpuE9ELNS1_3repE0EEENS1_30default_config_static_selectorELNS0_4arch9wavefront6targetE0EEEvT1_ ; -- Begin function _ZN7rocprim17ROCPRIM_400000_NS6detail17trampoline_kernelINS0_14default_configENS1_35adjacent_difference_config_selectorILb1ExEEZNS1_24adjacent_difference_implIS3_Lb1ELb0EPxS7_N6thrust23THRUST_200600_302600_NS4plusIxEEEE10hipError_tPvRmT2_T3_mT4_P12ihipStream_tbEUlT_E_NS1_11comp_targetILNS1_3genE5ELNS1_11target_archE942ELNS1_3gpuE9ELNS1_3repE0EEENS1_30default_config_static_selectorELNS0_4arch9wavefront6targetE0EEEvT1_
	.globl	_ZN7rocprim17ROCPRIM_400000_NS6detail17trampoline_kernelINS0_14default_configENS1_35adjacent_difference_config_selectorILb1ExEEZNS1_24adjacent_difference_implIS3_Lb1ELb0EPxS7_N6thrust23THRUST_200600_302600_NS4plusIxEEEE10hipError_tPvRmT2_T3_mT4_P12ihipStream_tbEUlT_E_NS1_11comp_targetILNS1_3genE5ELNS1_11target_archE942ELNS1_3gpuE9ELNS1_3repE0EEENS1_30default_config_static_selectorELNS0_4arch9wavefront6targetE0EEEvT1_
	.p2align	8
	.type	_ZN7rocprim17ROCPRIM_400000_NS6detail17trampoline_kernelINS0_14default_configENS1_35adjacent_difference_config_selectorILb1ExEEZNS1_24adjacent_difference_implIS3_Lb1ELb0EPxS7_N6thrust23THRUST_200600_302600_NS4plusIxEEEE10hipError_tPvRmT2_T3_mT4_P12ihipStream_tbEUlT_E_NS1_11comp_targetILNS1_3genE5ELNS1_11target_archE942ELNS1_3gpuE9ELNS1_3repE0EEENS1_30default_config_static_selectorELNS0_4arch9wavefront6targetE0EEEvT1_,@function
_ZN7rocprim17ROCPRIM_400000_NS6detail17trampoline_kernelINS0_14default_configENS1_35adjacent_difference_config_selectorILb1ExEEZNS1_24adjacent_difference_implIS3_Lb1ELb0EPxS7_N6thrust23THRUST_200600_302600_NS4plusIxEEEE10hipError_tPvRmT2_T3_mT4_P12ihipStream_tbEUlT_E_NS1_11comp_targetILNS1_3genE5ELNS1_11target_archE942ELNS1_3gpuE9ELNS1_3repE0EEENS1_30default_config_static_selectorELNS0_4arch9wavefront6targetE0EEEvT1_: ; @_ZN7rocprim17ROCPRIM_400000_NS6detail17trampoline_kernelINS0_14default_configENS1_35adjacent_difference_config_selectorILb1ExEEZNS1_24adjacent_difference_implIS3_Lb1ELb0EPxS7_N6thrust23THRUST_200600_302600_NS4plusIxEEEE10hipError_tPvRmT2_T3_mT4_P12ihipStream_tbEUlT_E_NS1_11comp_targetILNS1_3genE5ELNS1_11target_archE942ELNS1_3gpuE9ELNS1_3repE0EEENS1_30default_config_static_selectorELNS0_4arch9wavefront6targetE0EEEvT1_
; %bb.0:
	.section	.rodata,"a",@progbits
	.p2align	6, 0x0
	.amdhsa_kernel _ZN7rocprim17ROCPRIM_400000_NS6detail17trampoline_kernelINS0_14default_configENS1_35adjacent_difference_config_selectorILb1ExEEZNS1_24adjacent_difference_implIS3_Lb1ELb0EPxS7_N6thrust23THRUST_200600_302600_NS4plusIxEEEE10hipError_tPvRmT2_T3_mT4_P12ihipStream_tbEUlT_E_NS1_11comp_targetILNS1_3genE5ELNS1_11target_archE942ELNS1_3gpuE9ELNS1_3repE0EEENS1_30default_config_static_selectorELNS0_4arch9wavefront6targetE0EEEvT1_
		.amdhsa_group_segment_fixed_size 0
		.amdhsa_private_segment_fixed_size 0
		.amdhsa_kernarg_size 56
		.amdhsa_user_sgpr_count 15
		.amdhsa_user_sgpr_dispatch_ptr 0
		.amdhsa_user_sgpr_queue_ptr 0
		.amdhsa_user_sgpr_kernarg_segment_ptr 1
		.amdhsa_user_sgpr_dispatch_id 0
		.amdhsa_user_sgpr_private_segment_size 0
		.amdhsa_wavefront_size32 1
		.amdhsa_uses_dynamic_stack 0
		.amdhsa_enable_private_segment 0
		.amdhsa_system_sgpr_workgroup_id_x 1
		.amdhsa_system_sgpr_workgroup_id_y 0
		.amdhsa_system_sgpr_workgroup_id_z 0
		.amdhsa_system_sgpr_workgroup_info 0
		.amdhsa_system_vgpr_workitem_id 0
		.amdhsa_next_free_vgpr 1
		.amdhsa_next_free_sgpr 1
		.amdhsa_reserve_vcc 0
		.amdhsa_float_round_mode_32 0
		.amdhsa_float_round_mode_16_64 0
		.amdhsa_float_denorm_mode_32 3
		.amdhsa_float_denorm_mode_16_64 3
		.amdhsa_dx10_clamp 1
		.amdhsa_ieee_mode 1
		.amdhsa_fp16_overflow 0
		.amdhsa_workgroup_processor_mode 1
		.amdhsa_memory_ordered 1
		.amdhsa_forward_progress 0
		.amdhsa_shared_vgpr_count 0
		.amdhsa_exception_fp_ieee_invalid_op 0
		.amdhsa_exception_fp_denorm_src 0
		.amdhsa_exception_fp_ieee_div_zero 0
		.amdhsa_exception_fp_ieee_overflow 0
		.amdhsa_exception_fp_ieee_underflow 0
		.amdhsa_exception_fp_ieee_inexact 0
		.amdhsa_exception_int_div_zero 0
	.end_amdhsa_kernel
	.section	.text._ZN7rocprim17ROCPRIM_400000_NS6detail17trampoline_kernelINS0_14default_configENS1_35adjacent_difference_config_selectorILb1ExEEZNS1_24adjacent_difference_implIS3_Lb1ELb0EPxS7_N6thrust23THRUST_200600_302600_NS4plusIxEEEE10hipError_tPvRmT2_T3_mT4_P12ihipStream_tbEUlT_E_NS1_11comp_targetILNS1_3genE5ELNS1_11target_archE942ELNS1_3gpuE9ELNS1_3repE0EEENS1_30default_config_static_selectorELNS0_4arch9wavefront6targetE0EEEvT1_,"axG",@progbits,_ZN7rocprim17ROCPRIM_400000_NS6detail17trampoline_kernelINS0_14default_configENS1_35adjacent_difference_config_selectorILb1ExEEZNS1_24adjacent_difference_implIS3_Lb1ELb0EPxS7_N6thrust23THRUST_200600_302600_NS4plusIxEEEE10hipError_tPvRmT2_T3_mT4_P12ihipStream_tbEUlT_E_NS1_11comp_targetILNS1_3genE5ELNS1_11target_archE942ELNS1_3gpuE9ELNS1_3repE0EEENS1_30default_config_static_selectorELNS0_4arch9wavefront6targetE0EEEvT1_,comdat
.Lfunc_end301:
	.size	_ZN7rocprim17ROCPRIM_400000_NS6detail17trampoline_kernelINS0_14default_configENS1_35adjacent_difference_config_selectorILb1ExEEZNS1_24adjacent_difference_implIS3_Lb1ELb0EPxS7_N6thrust23THRUST_200600_302600_NS4plusIxEEEE10hipError_tPvRmT2_T3_mT4_P12ihipStream_tbEUlT_E_NS1_11comp_targetILNS1_3genE5ELNS1_11target_archE942ELNS1_3gpuE9ELNS1_3repE0EEENS1_30default_config_static_selectorELNS0_4arch9wavefront6targetE0EEEvT1_, .Lfunc_end301-_ZN7rocprim17ROCPRIM_400000_NS6detail17trampoline_kernelINS0_14default_configENS1_35adjacent_difference_config_selectorILb1ExEEZNS1_24adjacent_difference_implIS3_Lb1ELb0EPxS7_N6thrust23THRUST_200600_302600_NS4plusIxEEEE10hipError_tPvRmT2_T3_mT4_P12ihipStream_tbEUlT_E_NS1_11comp_targetILNS1_3genE5ELNS1_11target_archE942ELNS1_3gpuE9ELNS1_3repE0EEENS1_30default_config_static_selectorELNS0_4arch9wavefront6targetE0EEEvT1_
                                        ; -- End function
	.section	.AMDGPU.csdata,"",@progbits
; Kernel info:
; codeLenInByte = 0
; NumSgprs: 0
; NumVgprs: 0
; ScratchSize: 0
; MemoryBound: 0
; FloatMode: 240
; IeeeMode: 1
; LDSByteSize: 0 bytes/workgroup (compile time only)
; SGPRBlocks: 0
; VGPRBlocks: 0
; NumSGPRsForWavesPerEU: 1
; NumVGPRsForWavesPerEU: 1
; Occupancy: 16
; WaveLimiterHint : 0
; COMPUTE_PGM_RSRC2:SCRATCH_EN: 0
; COMPUTE_PGM_RSRC2:USER_SGPR: 15
; COMPUTE_PGM_RSRC2:TRAP_HANDLER: 0
; COMPUTE_PGM_RSRC2:TGID_X_EN: 1
; COMPUTE_PGM_RSRC2:TGID_Y_EN: 0
; COMPUTE_PGM_RSRC2:TGID_Z_EN: 0
; COMPUTE_PGM_RSRC2:TIDIG_COMP_CNT: 0
	.section	.text._ZN7rocprim17ROCPRIM_400000_NS6detail17trampoline_kernelINS0_14default_configENS1_35adjacent_difference_config_selectorILb1ExEEZNS1_24adjacent_difference_implIS3_Lb1ELb0EPxS7_N6thrust23THRUST_200600_302600_NS4plusIxEEEE10hipError_tPvRmT2_T3_mT4_P12ihipStream_tbEUlT_E_NS1_11comp_targetILNS1_3genE4ELNS1_11target_archE910ELNS1_3gpuE8ELNS1_3repE0EEENS1_30default_config_static_selectorELNS0_4arch9wavefront6targetE0EEEvT1_,"axG",@progbits,_ZN7rocprim17ROCPRIM_400000_NS6detail17trampoline_kernelINS0_14default_configENS1_35adjacent_difference_config_selectorILb1ExEEZNS1_24adjacent_difference_implIS3_Lb1ELb0EPxS7_N6thrust23THRUST_200600_302600_NS4plusIxEEEE10hipError_tPvRmT2_T3_mT4_P12ihipStream_tbEUlT_E_NS1_11comp_targetILNS1_3genE4ELNS1_11target_archE910ELNS1_3gpuE8ELNS1_3repE0EEENS1_30default_config_static_selectorELNS0_4arch9wavefront6targetE0EEEvT1_,comdat
	.protected	_ZN7rocprim17ROCPRIM_400000_NS6detail17trampoline_kernelINS0_14default_configENS1_35adjacent_difference_config_selectorILb1ExEEZNS1_24adjacent_difference_implIS3_Lb1ELb0EPxS7_N6thrust23THRUST_200600_302600_NS4plusIxEEEE10hipError_tPvRmT2_T3_mT4_P12ihipStream_tbEUlT_E_NS1_11comp_targetILNS1_3genE4ELNS1_11target_archE910ELNS1_3gpuE8ELNS1_3repE0EEENS1_30default_config_static_selectorELNS0_4arch9wavefront6targetE0EEEvT1_ ; -- Begin function _ZN7rocprim17ROCPRIM_400000_NS6detail17trampoline_kernelINS0_14default_configENS1_35adjacent_difference_config_selectorILb1ExEEZNS1_24adjacent_difference_implIS3_Lb1ELb0EPxS7_N6thrust23THRUST_200600_302600_NS4plusIxEEEE10hipError_tPvRmT2_T3_mT4_P12ihipStream_tbEUlT_E_NS1_11comp_targetILNS1_3genE4ELNS1_11target_archE910ELNS1_3gpuE8ELNS1_3repE0EEENS1_30default_config_static_selectorELNS0_4arch9wavefront6targetE0EEEvT1_
	.globl	_ZN7rocprim17ROCPRIM_400000_NS6detail17trampoline_kernelINS0_14default_configENS1_35adjacent_difference_config_selectorILb1ExEEZNS1_24adjacent_difference_implIS3_Lb1ELb0EPxS7_N6thrust23THRUST_200600_302600_NS4plusIxEEEE10hipError_tPvRmT2_T3_mT4_P12ihipStream_tbEUlT_E_NS1_11comp_targetILNS1_3genE4ELNS1_11target_archE910ELNS1_3gpuE8ELNS1_3repE0EEENS1_30default_config_static_selectorELNS0_4arch9wavefront6targetE0EEEvT1_
	.p2align	8
	.type	_ZN7rocprim17ROCPRIM_400000_NS6detail17trampoline_kernelINS0_14default_configENS1_35adjacent_difference_config_selectorILb1ExEEZNS1_24adjacent_difference_implIS3_Lb1ELb0EPxS7_N6thrust23THRUST_200600_302600_NS4plusIxEEEE10hipError_tPvRmT2_T3_mT4_P12ihipStream_tbEUlT_E_NS1_11comp_targetILNS1_3genE4ELNS1_11target_archE910ELNS1_3gpuE8ELNS1_3repE0EEENS1_30default_config_static_selectorELNS0_4arch9wavefront6targetE0EEEvT1_,@function
_ZN7rocprim17ROCPRIM_400000_NS6detail17trampoline_kernelINS0_14default_configENS1_35adjacent_difference_config_selectorILb1ExEEZNS1_24adjacent_difference_implIS3_Lb1ELb0EPxS7_N6thrust23THRUST_200600_302600_NS4plusIxEEEE10hipError_tPvRmT2_T3_mT4_P12ihipStream_tbEUlT_E_NS1_11comp_targetILNS1_3genE4ELNS1_11target_archE910ELNS1_3gpuE8ELNS1_3repE0EEENS1_30default_config_static_selectorELNS0_4arch9wavefront6targetE0EEEvT1_: ; @_ZN7rocprim17ROCPRIM_400000_NS6detail17trampoline_kernelINS0_14default_configENS1_35adjacent_difference_config_selectorILb1ExEEZNS1_24adjacent_difference_implIS3_Lb1ELb0EPxS7_N6thrust23THRUST_200600_302600_NS4plusIxEEEE10hipError_tPvRmT2_T3_mT4_P12ihipStream_tbEUlT_E_NS1_11comp_targetILNS1_3genE4ELNS1_11target_archE910ELNS1_3gpuE8ELNS1_3repE0EEENS1_30default_config_static_selectorELNS0_4arch9wavefront6targetE0EEEvT1_
; %bb.0:
	.section	.rodata,"a",@progbits
	.p2align	6, 0x0
	.amdhsa_kernel _ZN7rocprim17ROCPRIM_400000_NS6detail17trampoline_kernelINS0_14default_configENS1_35adjacent_difference_config_selectorILb1ExEEZNS1_24adjacent_difference_implIS3_Lb1ELb0EPxS7_N6thrust23THRUST_200600_302600_NS4plusIxEEEE10hipError_tPvRmT2_T3_mT4_P12ihipStream_tbEUlT_E_NS1_11comp_targetILNS1_3genE4ELNS1_11target_archE910ELNS1_3gpuE8ELNS1_3repE0EEENS1_30default_config_static_selectorELNS0_4arch9wavefront6targetE0EEEvT1_
		.amdhsa_group_segment_fixed_size 0
		.amdhsa_private_segment_fixed_size 0
		.amdhsa_kernarg_size 56
		.amdhsa_user_sgpr_count 15
		.amdhsa_user_sgpr_dispatch_ptr 0
		.amdhsa_user_sgpr_queue_ptr 0
		.amdhsa_user_sgpr_kernarg_segment_ptr 1
		.amdhsa_user_sgpr_dispatch_id 0
		.amdhsa_user_sgpr_private_segment_size 0
		.amdhsa_wavefront_size32 1
		.amdhsa_uses_dynamic_stack 0
		.amdhsa_enable_private_segment 0
		.amdhsa_system_sgpr_workgroup_id_x 1
		.amdhsa_system_sgpr_workgroup_id_y 0
		.amdhsa_system_sgpr_workgroup_id_z 0
		.amdhsa_system_sgpr_workgroup_info 0
		.amdhsa_system_vgpr_workitem_id 0
		.amdhsa_next_free_vgpr 1
		.amdhsa_next_free_sgpr 1
		.amdhsa_reserve_vcc 0
		.amdhsa_float_round_mode_32 0
		.amdhsa_float_round_mode_16_64 0
		.amdhsa_float_denorm_mode_32 3
		.amdhsa_float_denorm_mode_16_64 3
		.amdhsa_dx10_clamp 1
		.amdhsa_ieee_mode 1
		.amdhsa_fp16_overflow 0
		.amdhsa_workgroup_processor_mode 1
		.amdhsa_memory_ordered 1
		.amdhsa_forward_progress 0
		.amdhsa_shared_vgpr_count 0
		.amdhsa_exception_fp_ieee_invalid_op 0
		.amdhsa_exception_fp_denorm_src 0
		.amdhsa_exception_fp_ieee_div_zero 0
		.amdhsa_exception_fp_ieee_overflow 0
		.amdhsa_exception_fp_ieee_underflow 0
		.amdhsa_exception_fp_ieee_inexact 0
		.amdhsa_exception_int_div_zero 0
	.end_amdhsa_kernel
	.section	.text._ZN7rocprim17ROCPRIM_400000_NS6detail17trampoline_kernelINS0_14default_configENS1_35adjacent_difference_config_selectorILb1ExEEZNS1_24adjacent_difference_implIS3_Lb1ELb0EPxS7_N6thrust23THRUST_200600_302600_NS4plusIxEEEE10hipError_tPvRmT2_T3_mT4_P12ihipStream_tbEUlT_E_NS1_11comp_targetILNS1_3genE4ELNS1_11target_archE910ELNS1_3gpuE8ELNS1_3repE0EEENS1_30default_config_static_selectorELNS0_4arch9wavefront6targetE0EEEvT1_,"axG",@progbits,_ZN7rocprim17ROCPRIM_400000_NS6detail17trampoline_kernelINS0_14default_configENS1_35adjacent_difference_config_selectorILb1ExEEZNS1_24adjacent_difference_implIS3_Lb1ELb0EPxS7_N6thrust23THRUST_200600_302600_NS4plusIxEEEE10hipError_tPvRmT2_T3_mT4_P12ihipStream_tbEUlT_E_NS1_11comp_targetILNS1_3genE4ELNS1_11target_archE910ELNS1_3gpuE8ELNS1_3repE0EEENS1_30default_config_static_selectorELNS0_4arch9wavefront6targetE0EEEvT1_,comdat
.Lfunc_end302:
	.size	_ZN7rocprim17ROCPRIM_400000_NS6detail17trampoline_kernelINS0_14default_configENS1_35adjacent_difference_config_selectorILb1ExEEZNS1_24adjacent_difference_implIS3_Lb1ELb0EPxS7_N6thrust23THRUST_200600_302600_NS4plusIxEEEE10hipError_tPvRmT2_T3_mT4_P12ihipStream_tbEUlT_E_NS1_11comp_targetILNS1_3genE4ELNS1_11target_archE910ELNS1_3gpuE8ELNS1_3repE0EEENS1_30default_config_static_selectorELNS0_4arch9wavefront6targetE0EEEvT1_, .Lfunc_end302-_ZN7rocprim17ROCPRIM_400000_NS6detail17trampoline_kernelINS0_14default_configENS1_35adjacent_difference_config_selectorILb1ExEEZNS1_24adjacent_difference_implIS3_Lb1ELb0EPxS7_N6thrust23THRUST_200600_302600_NS4plusIxEEEE10hipError_tPvRmT2_T3_mT4_P12ihipStream_tbEUlT_E_NS1_11comp_targetILNS1_3genE4ELNS1_11target_archE910ELNS1_3gpuE8ELNS1_3repE0EEENS1_30default_config_static_selectorELNS0_4arch9wavefront6targetE0EEEvT1_
                                        ; -- End function
	.section	.AMDGPU.csdata,"",@progbits
; Kernel info:
; codeLenInByte = 0
; NumSgprs: 0
; NumVgprs: 0
; ScratchSize: 0
; MemoryBound: 0
; FloatMode: 240
; IeeeMode: 1
; LDSByteSize: 0 bytes/workgroup (compile time only)
; SGPRBlocks: 0
; VGPRBlocks: 0
; NumSGPRsForWavesPerEU: 1
; NumVGPRsForWavesPerEU: 1
; Occupancy: 16
; WaveLimiterHint : 0
; COMPUTE_PGM_RSRC2:SCRATCH_EN: 0
; COMPUTE_PGM_RSRC2:USER_SGPR: 15
; COMPUTE_PGM_RSRC2:TRAP_HANDLER: 0
; COMPUTE_PGM_RSRC2:TGID_X_EN: 1
; COMPUTE_PGM_RSRC2:TGID_Y_EN: 0
; COMPUTE_PGM_RSRC2:TGID_Z_EN: 0
; COMPUTE_PGM_RSRC2:TIDIG_COMP_CNT: 0
	.section	.text._ZN7rocprim17ROCPRIM_400000_NS6detail17trampoline_kernelINS0_14default_configENS1_35adjacent_difference_config_selectorILb1ExEEZNS1_24adjacent_difference_implIS3_Lb1ELb0EPxS7_N6thrust23THRUST_200600_302600_NS4plusIxEEEE10hipError_tPvRmT2_T3_mT4_P12ihipStream_tbEUlT_E_NS1_11comp_targetILNS1_3genE3ELNS1_11target_archE908ELNS1_3gpuE7ELNS1_3repE0EEENS1_30default_config_static_selectorELNS0_4arch9wavefront6targetE0EEEvT1_,"axG",@progbits,_ZN7rocprim17ROCPRIM_400000_NS6detail17trampoline_kernelINS0_14default_configENS1_35adjacent_difference_config_selectorILb1ExEEZNS1_24adjacent_difference_implIS3_Lb1ELb0EPxS7_N6thrust23THRUST_200600_302600_NS4plusIxEEEE10hipError_tPvRmT2_T3_mT4_P12ihipStream_tbEUlT_E_NS1_11comp_targetILNS1_3genE3ELNS1_11target_archE908ELNS1_3gpuE7ELNS1_3repE0EEENS1_30default_config_static_selectorELNS0_4arch9wavefront6targetE0EEEvT1_,comdat
	.protected	_ZN7rocprim17ROCPRIM_400000_NS6detail17trampoline_kernelINS0_14default_configENS1_35adjacent_difference_config_selectorILb1ExEEZNS1_24adjacent_difference_implIS3_Lb1ELb0EPxS7_N6thrust23THRUST_200600_302600_NS4plusIxEEEE10hipError_tPvRmT2_T3_mT4_P12ihipStream_tbEUlT_E_NS1_11comp_targetILNS1_3genE3ELNS1_11target_archE908ELNS1_3gpuE7ELNS1_3repE0EEENS1_30default_config_static_selectorELNS0_4arch9wavefront6targetE0EEEvT1_ ; -- Begin function _ZN7rocprim17ROCPRIM_400000_NS6detail17trampoline_kernelINS0_14default_configENS1_35adjacent_difference_config_selectorILb1ExEEZNS1_24adjacent_difference_implIS3_Lb1ELb0EPxS7_N6thrust23THRUST_200600_302600_NS4plusIxEEEE10hipError_tPvRmT2_T3_mT4_P12ihipStream_tbEUlT_E_NS1_11comp_targetILNS1_3genE3ELNS1_11target_archE908ELNS1_3gpuE7ELNS1_3repE0EEENS1_30default_config_static_selectorELNS0_4arch9wavefront6targetE0EEEvT1_
	.globl	_ZN7rocprim17ROCPRIM_400000_NS6detail17trampoline_kernelINS0_14default_configENS1_35adjacent_difference_config_selectorILb1ExEEZNS1_24adjacent_difference_implIS3_Lb1ELb0EPxS7_N6thrust23THRUST_200600_302600_NS4plusIxEEEE10hipError_tPvRmT2_T3_mT4_P12ihipStream_tbEUlT_E_NS1_11comp_targetILNS1_3genE3ELNS1_11target_archE908ELNS1_3gpuE7ELNS1_3repE0EEENS1_30default_config_static_selectorELNS0_4arch9wavefront6targetE0EEEvT1_
	.p2align	8
	.type	_ZN7rocprim17ROCPRIM_400000_NS6detail17trampoline_kernelINS0_14default_configENS1_35adjacent_difference_config_selectorILb1ExEEZNS1_24adjacent_difference_implIS3_Lb1ELb0EPxS7_N6thrust23THRUST_200600_302600_NS4plusIxEEEE10hipError_tPvRmT2_T3_mT4_P12ihipStream_tbEUlT_E_NS1_11comp_targetILNS1_3genE3ELNS1_11target_archE908ELNS1_3gpuE7ELNS1_3repE0EEENS1_30default_config_static_selectorELNS0_4arch9wavefront6targetE0EEEvT1_,@function
_ZN7rocprim17ROCPRIM_400000_NS6detail17trampoline_kernelINS0_14default_configENS1_35adjacent_difference_config_selectorILb1ExEEZNS1_24adjacent_difference_implIS3_Lb1ELb0EPxS7_N6thrust23THRUST_200600_302600_NS4plusIxEEEE10hipError_tPvRmT2_T3_mT4_P12ihipStream_tbEUlT_E_NS1_11comp_targetILNS1_3genE3ELNS1_11target_archE908ELNS1_3gpuE7ELNS1_3repE0EEENS1_30default_config_static_selectorELNS0_4arch9wavefront6targetE0EEEvT1_: ; @_ZN7rocprim17ROCPRIM_400000_NS6detail17trampoline_kernelINS0_14default_configENS1_35adjacent_difference_config_selectorILb1ExEEZNS1_24adjacent_difference_implIS3_Lb1ELb0EPxS7_N6thrust23THRUST_200600_302600_NS4plusIxEEEE10hipError_tPvRmT2_T3_mT4_P12ihipStream_tbEUlT_E_NS1_11comp_targetILNS1_3genE3ELNS1_11target_archE908ELNS1_3gpuE7ELNS1_3repE0EEENS1_30default_config_static_selectorELNS0_4arch9wavefront6targetE0EEEvT1_
; %bb.0:
	.section	.rodata,"a",@progbits
	.p2align	6, 0x0
	.amdhsa_kernel _ZN7rocprim17ROCPRIM_400000_NS6detail17trampoline_kernelINS0_14default_configENS1_35adjacent_difference_config_selectorILb1ExEEZNS1_24adjacent_difference_implIS3_Lb1ELb0EPxS7_N6thrust23THRUST_200600_302600_NS4plusIxEEEE10hipError_tPvRmT2_T3_mT4_P12ihipStream_tbEUlT_E_NS1_11comp_targetILNS1_3genE3ELNS1_11target_archE908ELNS1_3gpuE7ELNS1_3repE0EEENS1_30default_config_static_selectorELNS0_4arch9wavefront6targetE0EEEvT1_
		.amdhsa_group_segment_fixed_size 0
		.amdhsa_private_segment_fixed_size 0
		.amdhsa_kernarg_size 56
		.amdhsa_user_sgpr_count 15
		.amdhsa_user_sgpr_dispatch_ptr 0
		.amdhsa_user_sgpr_queue_ptr 0
		.amdhsa_user_sgpr_kernarg_segment_ptr 1
		.amdhsa_user_sgpr_dispatch_id 0
		.amdhsa_user_sgpr_private_segment_size 0
		.amdhsa_wavefront_size32 1
		.amdhsa_uses_dynamic_stack 0
		.amdhsa_enable_private_segment 0
		.amdhsa_system_sgpr_workgroup_id_x 1
		.amdhsa_system_sgpr_workgroup_id_y 0
		.amdhsa_system_sgpr_workgroup_id_z 0
		.amdhsa_system_sgpr_workgroup_info 0
		.amdhsa_system_vgpr_workitem_id 0
		.amdhsa_next_free_vgpr 1
		.amdhsa_next_free_sgpr 1
		.amdhsa_reserve_vcc 0
		.amdhsa_float_round_mode_32 0
		.amdhsa_float_round_mode_16_64 0
		.amdhsa_float_denorm_mode_32 3
		.amdhsa_float_denorm_mode_16_64 3
		.amdhsa_dx10_clamp 1
		.amdhsa_ieee_mode 1
		.amdhsa_fp16_overflow 0
		.amdhsa_workgroup_processor_mode 1
		.amdhsa_memory_ordered 1
		.amdhsa_forward_progress 0
		.amdhsa_shared_vgpr_count 0
		.amdhsa_exception_fp_ieee_invalid_op 0
		.amdhsa_exception_fp_denorm_src 0
		.amdhsa_exception_fp_ieee_div_zero 0
		.amdhsa_exception_fp_ieee_overflow 0
		.amdhsa_exception_fp_ieee_underflow 0
		.amdhsa_exception_fp_ieee_inexact 0
		.amdhsa_exception_int_div_zero 0
	.end_amdhsa_kernel
	.section	.text._ZN7rocprim17ROCPRIM_400000_NS6detail17trampoline_kernelINS0_14default_configENS1_35adjacent_difference_config_selectorILb1ExEEZNS1_24adjacent_difference_implIS3_Lb1ELb0EPxS7_N6thrust23THRUST_200600_302600_NS4plusIxEEEE10hipError_tPvRmT2_T3_mT4_P12ihipStream_tbEUlT_E_NS1_11comp_targetILNS1_3genE3ELNS1_11target_archE908ELNS1_3gpuE7ELNS1_3repE0EEENS1_30default_config_static_selectorELNS0_4arch9wavefront6targetE0EEEvT1_,"axG",@progbits,_ZN7rocprim17ROCPRIM_400000_NS6detail17trampoline_kernelINS0_14default_configENS1_35adjacent_difference_config_selectorILb1ExEEZNS1_24adjacent_difference_implIS3_Lb1ELb0EPxS7_N6thrust23THRUST_200600_302600_NS4plusIxEEEE10hipError_tPvRmT2_T3_mT4_P12ihipStream_tbEUlT_E_NS1_11comp_targetILNS1_3genE3ELNS1_11target_archE908ELNS1_3gpuE7ELNS1_3repE0EEENS1_30default_config_static_selectorELNS0_4arch9wavefront6targetE0EEEvT1_,comdat
.Lfunc_end303:
	.size	_ZN7rocprim17ROCPRIM_400000_NS6detail17trampoline_kernelINS0_14default_configENS1_35adjacent_difference_config_selectorILb1ExEEZNS1_24adjacent_difference_implIS3_Lb1ELb0EPxS7_N6thrust23THRUST_200600_302600_NS4plusIxEEEE10hipError_tPvRmT2_T3_mT4_P12ihipStream_tbEUlT_E_NS1_11comp_targetILNS1_3genE3ELNS1_11target_archE908ELNS1_3gpuE7ELNS1_3repE0EEENS1_30default_config_static_selectorELNS0_4arch9wavefront6targetE0EEEvT1_, .Lfunc_end303-_ZN7rocprim17ROCPRIM_400000_NS6detail17trampoline_kernelINS0_14default_configENS1_35adjacent_difference_config_selectorILb1ExEEZNS1_24adjacent_difference_implIS3_Lb1ELb0EPxS7_N6thrust23THRUST_200600_302600_NS4plusIxEEEE10hipError_tPvRmT2_T3_mT4_P12ihipStream_tbEUlT_E_NS1_11comp_targetILNS1_3genE3ELNS1_11target_archE908ELNS1_3gpuE7ELNS1_3repE0EEENS1_30default_config_static_selectorELNS0_4arch9wavefront6targetE0EEEvT1_
                                        ; -- End function
	.section	.AMDGPU.csdata,"",@progbits
; Kernel info:
; codeLenInByte = 0
; NumSgprs: 0
; NumVgprs: 0
; ScratchSize: 0
; MemoryBound: 0
; FloatMode: 240
; IeeeMode: 1
; LDSByteSize: 0 bytes/workgroup (compile time only)
; SGPRBlocks: 0
; VGPRBlocks: 0
; NumSGPRsForWavesPerEU: 1
; NumVGPRsForWavesPerEU: 1
; Occupancy: 16
; WaveLimiterHint : 0
; COMPUTE_PGM_RSRC2:SCRATCH_EN: 0
; COMPUTE_PGM_RSRC2:USER_SGPR: 15
; COMPUTE_PGM_RSRC2:TRAP_HANDLER: 0
; COMPUTE_PGM_RSRC2:TGID_X_EN: 1
; COMPUTE_PGM_RSRC2:TGID_Y_EN: 0
; COMPUTE_PGM_RSRC2:TGID_Z_EN: 0
; COMPUTE_PGM_RSRC2:TIDIG_COMP_CNT: 0
	.section	.text._ZN7rocprim17ROCPRIM_400000_NS6detail17trampoline_kernelINS0_14default_configENS1_35adjacent_difference_config_selectorILb1ExEEZNS1_24adjacent_difference_implIS3_Lb1ELb0EPxS7_N6thrust23THRUST_200600_302600_NS4plusIxEEEE10hipError_tPvRmT2_T3_mT4_P12ihipStream_tbEUlT_E_NS1_11comp_targetILNS1_3genE2ELNS1_11target_archE906ELNS1_3gpuE6ELNS1_3repE0EEENS1_30default_config_static_selectorELNS0_4arch9wavefront6targetE0EEEvT1_,"axG",@progbits,_ZN7rocprim17ROCPRIM_400000_NS6detail17trampoline_kernelINS0_14default_configENS1_35adjacent_difference_config_selectorILb1ExEEZNS1_24adjacent_difference_implIS3_Lb1ELb0EPxS7_N6thrust23THRUST_200600_302600_NS4plusIxEEEE10hipError_tPvRmT2_T3_mT4_P12ihipStream_tbEUlT_E_NS1_11comp_targetILNS1_3genE2ELNS1_11target_archE906ELNS1_3gpuE6ELNS1_3repE0EEENS1_30default_config_static_selectorELNS0_4arch9wavefront6targetE0EEEvT1_,comdat
	.protected	_ZN7rocprim17ROCPRIM_400000_NS6detail17trampoline_kernelINS0_14default_configENS1_35adjacent_difference_config_selectorILb1ExEEZNS1_24adjacent_difference_implIS3_Lb1ELb0EPxS7_N6thrust23THRUST_200600_302600_NS4plusIxEEEE10hipError_tPvRmT2_T3_mT4_P12ihipStream_tbEUlT_E_NS1_11comp_targetILNS1_3genE2ELNS1_11target_archE906ELNS1_3gpuE6ELNS1_3repE0EEENS1_30default_config_static_selectorELNS0_4arch9wavefront6targetE0EEEvT1_ ; -- Begin function _ZN7rocprim17ROCPRIM_400000_NS6detail17trampoline_kernelINS0_14default_configENS1_35adjacent_difference_config_selectorILb1ExEEZNS1_24adjacent_difference_implIS3_Lb1ELb0EPxS7_N6thrust23THRUST_200600_302600_NS4plusIxEEEE10hipError_tPvRmT2_T3_mT4_P12ihipStream_tbEUlT_E_NS1_11comp_targetILNS1_3genE2ELNS1_11target_archE906ELNS1_3gpuE6ELNS1_3repE0EEENS1_30default_config_static_selectorELNS0_4arch9wavefront6targetE0EEEvT1_
	.globl	_ZN7rocprim17ROCPRIM_400000_NS6detail17trampoline_kernelINS0_14default_configENS1_35adjacent_difference_config_selectorILb1ExEEZNS1_24adjacent_difference_implIS3_Lb1ELb0EPxS7_N6thrust23THRUST_200600_302600_NS4plusIxEEEE10hipError_tPvRmT2_T3_mT4_P12ihipStream_tbEUlT_E_NS1_11comp_targetILNS1_3genE2ELNS1_11target_archE906ELNS1_3gpuE6ELNS1_3repE0EEENS1_30default_config_static_selectorELNS0_4arch9wavefront6targetE0EEEvT1_
	.p2align	8
	.type	_ZN7rocprim17ROCPRIM_400000_NS6detail17trampoline_kernelINS0_14default_configENS1_35adjacent_difference_config_selectorILb1ExEEZNS1_24adjacent_difference_implIS3_Lb1ELb0EPxS7_N6thrust23THRUST_200600_302600_NS4plusIxEEEE10hipError_tPvRmT2_T3_mT4_P12ihipStream_tbEUlT_E_NS1_11comp_targetILNS1_3genE2ELNS1_11target_archE906ELNS1_3gpuE6ELNS1_3repE0EEENS1_30default_config_static_selectorELNS0_4arch9wavefront6targetE0EEEvT1_,@function
_ZN7rocprim17ROCPRIM_400000_NS6detail17trampoline_kernelINS0_14default_configENS1_35adjacent_difference_config_selectorILb1ExEEZNS1_24adjacent_difference_implIS3_Lb1ELb0EPxS7_N6thrust23THRUST_200600_302600_NS4plusIxEEEE10hipError_tPvRmT2_T3_mT4_P12ihipStream_tbEUlT_E_NS1_11comp_targetILNS1_3genE2ELNS1_11target_archE906ELNS1_3gpuE6ELNS1_3repE0EEENS1_30default_config_static_selectorELNS0_4arch9wavefront6targetE0EEEvT1_: ; @_ZN7rocprim17ROCPRIM_400000_NS6detail17trampoline_kernelINS0_14default_configENS1_35adjacent_difference_config_selectorILb1ExEEZNS1_24adjacent_difference_implIS3_Lb1ELb0EPxS7_N6thrust23THRUST_200600_302600_NS4plusIxEEEE10hipError_tPvRmT2_T3_mT4_P12ihipStream_tbEUlT_E_NS1_11comp_targetILNS1_3genE2ELNS1_11target_archE906ELNS1_3gpuE6ELNS1_3repE0EEENS1_30default_config_static_selectorELNS0_4arch9wavefront6targetE0EEEvT1_
; %bb.0:
	.section	.rodata,"a",@progbits
	.p2align	6, 0x0
	.amdhsa_kernel _ZN7rocprim17ROCPRIM_400000_NS6detail17trampoline_kernelINS0_14default_configENS1_35adjacent_difference_config_selectorILb1ExEEZNS1_24adjacent_difference_implIS3_Lb1ELb0EPxS7_N6thrust23THRUST_200600_302600_NS4plusIxEEEE10hipError_tPvRmT2_T3_mT4_P12ihipStream_tbEUlT_E_NS1_11comp_targetILNS1_3genE2ELNS1_11target_archE906ELNS1_3gpuE6ELNS1_3repE0EEENS1_30default_config_static_selectorELNS0_4arch9wavefront6targetE0EEEvT1_
		.amdhsa_group_segment_fixed_size 0
		.amdhsa_private_segment_fixed_size 0
		.amdhsa_kernarg_size 56
		.amdhsa_user_sgpr_count 15
		.amdhsa_user_sgpr_dispatch_ptr 0
		.amdhsa_user_sgpr_queue_ptr 0
		.amdhsa_user_sgpr_kernarg_segment_ptr 1
		.amdhsa_user_sgpr_dispatch_id 0
		.amdhsa_user_sgpr_private_segment_size 0
		.amdhsa_wavefront_size32 1
		.amdhsa_uses_dynamic_stack 0
		.amdhsa_enable_private_segment 0
		.amdhsa_system_sgpr_workgroup_id_x 1
		.amdhsa_system_sgpr_workgroup_id_y 0
		.amdhsa_system_sgpr_workgroup_id_z 0
		.amdhsa_system_sgpr_workgroup_info 0
		.amdhsa_system_vgpr_workitem_id 0
		.amdhsa_next_free_vgpr 1
		.amdhsa_next_free_sgpr 1
		.amdhsa_reserve_vcc 0
		.amdhsa_float_round_mode_32 0
		.amdhsa_float_round_mode_16_64 0
		.amdhsa_float_denorm_mode_32 3
		.amdhsa_float_denorm_mode_16_64 3
		.amdhsa_dx10_clamp 1
		.amdhsa_ieee_mode 1
		.amdhsa_fp16_overflow 0
		.amdhsa_workgroup_processor_mode 1
		.amdhsa_memory_ordered 1
		.amdhsa_forward_progress 0
		.amdhsa_shared_vgpr_count 0
		.amdhsa_exception_fp_ieee_invalid_op 0
		.amdhsa_exception_fp_denorm_src 0
		.amdhsa_exception_fp_ieee_div_zero 0
		.amdhsa_exception_fp_ieee_overflow 0
		.amdhsa_exception_fp_ieee_underflow 0
		.amdhsa_exception_fp_ieee_inexact 0
		.amdhsa_exception_int_div_zero 0
	.end_amdhsa_kernel
	.section	.text._ZN7rocprim17ROCPRIM_400000_NS6detail17trampoline_kernelINS0_14default_configENS1_35adjacent_difference_config_selectorILb1ExEEZNS1_24adjacent_difference_implIS3_Lb1ELb0EPxS7_N6thrust23THRUST_200600_302600_NS4plusIxEEEE10hipError_tPvRmT2_T3_mT4_P12ihipStream_tbEUlT_E_NS1_11comp_targetILNS1_3genE2ELNS1_11target_archE906ELNS1_3gpuE6ELNS1_3repE0EEENS1_30default_config_static_selectorELNS0_4arch9wavefront6targetE0EEEvT1_,"axG",@progbits,_ZN7rocprim17ROCPRIM_400000_NS6detail17trampoline_kernelINS0_14default_configENS1_35adjacent_difference_config_selectorILb1ExEEZNS1_24adjacent_difference_implIS3_Lb1ELb0EPxS7_N6thrust23THRUST_200600_302600_NS4plusIxEEEE10hipError_tPvRmT2_T3_mT4_P12ihipStream_tbEUlT_E_NS1_11comp_targetILNS1_3genE2ELNS1_11target_archE906ELNS1_3gpuE6ELNS1_3repE0EEENS1_30default_config_static_selectorELNS0_4arch9wavefront6targetE0EEEvT1_,comdat
.Lfunc_end304:
	.size	_ZN7rocprim17ROCPRIM_400000_NS6detail17trampoline_kernelINS0_14default_configENS1_35adjacent_difference_config_selectorILb1ExEEZNS1_24adjacent_difference_implIS3_Lb1ELb0EPxS7_N6thrust23THRUST_200600_302600_NS4plusIxEEEE10hipError_tPvRmT2_T3_mT4_P12ihipStream_tbEUlT_E_NS1_11comp_targetILNS1_3genE2ELNS1_11target_archE906ELNS1_3gpuE6ELNS1_3repE0EEENS1_30default_config_static_selectorELNS0_4arch9wavefront6targetE0EEEvT1_, .Lfunc_end304-_ZN7rocprim17ROCPRIM_400000_NS6detail17trampoline_kernelINS0_14default_configENS1_35adjacent_difference_config_selectorILb1ExEEZNS1_24adjacent_difference_implIS3_Lb1ELb0EPxS7_N6thrust23THRUST_200600_302600_NS4plusIxEEEE10hipError_tPvRmT2_T3_mT4_P12ihipStream_tbEUlT_E_NS1_11comp_targetILNS1_3genE2ELNS1_11target_archE906ELNS1_3gpuE6ELNS1_3repE0EEENS1_30default_config_static_selectorELNS0_4arch9wavefront6targetE0EEEvT1_
                                        ; -- End function
	.section	.AMDGPU.csdata,"",@progbits
; Kernel info:
; codeLenInByte = 0
; NumSgprs: 0
; NumVgprs: 0
; ScratchSize: 0
; MemoryBound: 0
; FloatMode: 240
; IeeeMode: 1
; LDSByteSize: 0 bytes/workgroup (compile time only)
; SGPRBlocks: 0
; VGPRBlocks: 0
; NumSGPRsForWavesPerEU: 1
; NumVGPRsForWavesPerEU: 1
; Occupancy: 16
; WaveLimiterHint : 0
; COMPUTE_PGM_RSRC2:SCRATCH_EN: 0
; COMPUTE_PGM_RSRC2:USER_SGPR: 15
; COMPUTE_PGM_RSRC2:TRAP_HANDLER: 0
; COMPUTE_PGM_RSRC2:TGID_X_EN: 1
; COMPUTE_PGM_RSRC2:TGID_Y_EN: 0
; COMPUTE_PGM_RSRC2:TGID_Z_EN: 0
; COMPUTE_PGM_RSRC2:TIDIG_COMP_CNT: 0
	.section	.text._ZN7rocprim17ROCPRIM_400000_NS6detail17trampoline_kernelINS0_14default_configENS1_35adjacent_difference_config_selectorILb1ExEEZNS1_24adjacent_difference_implIS3_Lb1ELb0EPxS7_N6thrust23THRUST_200600_302600_NS4plusIxEEEE10hipError_tPvRmT2_T3_mT4_P12ihipStream_tbEUlT_E_NS1_11comp_targetILNS1_3genE9ELNS1_11target_archE1100ELNS1_3gpuE3ELNS1_3repE0EEENS1_30default_config_static_selectorELNS0_4arch9wavefront6targetE0EEEvT1_,"axG",@progbits,_ZN7rocprim17ROCPRIM_400000_NS6detail17trampoline_kernelINS0_14default_configENS1_35adjacent_difference_config_selectorILb1ExEEZNS1_24adjacent_difference_implIS3_Lb1ELb0EPxS7_N6thrust23THRUST_200600_302600_NS4plusIxEEEE10hipError_tPvRmT2_T3_mT4_P12ihipStream_tbEUlT_E_NS1_11comp_targetILNS1_3genE9ELNS1_11target_archE1100ELNS1_3gpuE3ELNS1_3repE0EEENS1_30default_config_static_selectorELNS0_4arch9wavefront6targetE0EEEvT1_,comdat
	.protected	_ZN7rocprim17ROCPRIM_400000_NS6detail17trampoline_kernelINS0_14default_configENS1_35adjacent_difference_config_selectorILb1ExEEZNS1_24adjacent_difference_implIS3_Lb1ELb0EPxS7_N6thrust23THRUST_200600_302600_NS4plusIxEEEE10hipError_tPvRmT2_T3_mT4_P12ihipStream_tbEUlT_E_NS1_11comp_targetILNS1_3genE9ELNS1_11target_archE1100ELNS1_3gpuE3ELNS1_3repE0EEENS1_30default_config_static_selectorELNS0_4arch9wavefront6targetE0EEEvT1_ ; -- Begin function _ZN7rocprim17ROCPRIM_400000_NS6detail17trampoline_kernelINS0_14default_configENS1_35adjacent_difference_config_selectorILb1ExEEZNS1_24adjacent_difference_implIS3_Lb1ELb0EPxS7_N6thrust23THRUST_200600_302600_NS4plusIxEEEE10hipError_tPvRmT2_T3_mT4_P12ihipStream_tbEUlT_E_NS1_11comp_targetILNS1_3genE9ELNS1_11target_archE1100ELNS1_3gpuE3ELNS1_3repE0EEENS1_30default_config_static_selectorELNS0_4arch9wavefront6targetE0EEEvT1_
	.globl	_ZN7rocprim17ROCPRIM_400000_NS6detail17trampoline_kernelINS0_14default_configENS1_35adjacent_difference_config_selectorILb1ExEEZNS1_24adjacent_difference_implIS3_Lb1ELb0EPxS7_N6thrust23THRUST_200600_302600_NS4plusIxEEEE10hipError_tPvRmT2_T3_mT4_P12ihipStream_tbEUlT_E_NS1_11comp_targetILNS1_3genE9ELNS1_11target_archE1100ELNS1_3gpuE3ELNS1_3repE0EEENS1_30default_config_static_selectorELNS0_4arch9wavefront6targetE0EEEvT1_
	.p2align	8
	.type	_ZN7rocprim17ROCPRIM_400000_NS6detail17trampoline_kernelINS0_14default_configENS1_35adjacent_difference_config_selectorILb1ExEEZNS1_24adjacent_difference_implIS3_Lb1ELb0EPxS7_N6thrust23THRUST_200600_302600_NS4plusIxEEEE10hipError_tPvRmT2_T3_mT4_P12ihipStream_tbEUlT_E_NS1_11comp_targetILNS1_3genE9ELNS1_11target_archE1100ELNS1_3gpuE3ELNS1_3repE0EEENS1_30default_config_static_selectorELNS0_4arch9wavefront6targetE0EEEvT1_,@function
_ZN7rocprim17ROCPRIM_400000_NS6detail17trampoline_kernelINS0_14default_configENS1_35adjacent_difference_config_selectorILb1ExEEZNS1_24adjacent_difference_implIS3_Lb1ELb0EPxS7_N6thrust23THRUST_200600_302600_NS4plusIxEEEE10hipError_tPvRmT2_T3_mT4_P12ihipStream_tbEUlT_E_NS1_11comp_targetILNS1_3genE9ELNS1_11target_archE1100ELNS1_3gpuE3ELNS1_3repE0EEENS1_30default_config_static_selectorELNS0_4arch9wavefront6targetE0EEEvT1_: ; @_ZN7rocprim17ROCPRIM_400000_NS6detail17trampoline_kernelINS0_14default_configENS1_35adjacent_difference_config_selectorILb1ExEEZNS1_24adjacent_difference_implIS3_Lb1ELb0EPxS7_N6thrust23THRUST_200600_302600_NS4plusIxEEEE10hipError_tPvRmT2_T3_mT4_P12ihipStream_tbEUlT_E_NS1_11comp_targetILNS1_3genE9ELNS1_11target_archE1100ELNS1_3gpuE3ELNS1_3repE0EEENS1_30default_config_static_selectorELNS0_4arch9wavefront6targetE0EEEvT1_
; %bb.0:
	s_load_b256 s[4:11], s[0:1], 0x0
	s_mov_b32 s2, 0x411a7a30
	s_mov_b32 s16, s15
	s_waitcnt lgkmcnt(0)
	s_lshl_b64 s[6:7], s[6:7], 3
	s_delay_alu instid0(SALU_CYCLE_1) | instskip(SKIP_4) | instid1(VALU_DEP_1)
	s_add_u32 s23, s4, s6
	s_addc_u32 s24, s5, s7
	s_add_u32 s2, 0x76, s2
	s_addc_u32 s3, 0, 0
	v_add_co_u32 v1, s2, 0x20000000, s2
	s_cmp_lg_u32 s2, 0
	s_addc_u32 s3, s3, 0x11a7b9
	s_delay_alu instid0(VALU_DEP_1) | instskip(SKIP_1) | instid1(VALU_DEP_1)
	v_readfirstlane_b32 s2, v1
	s_mul_i32 s4, s3, 0xfffff180
	s_mul_hi_u32 s5, s2, 0xfffff180
	s_mul_i32 s12, s2, 0xfffff180
	s_sub_i32 s5, s5, s2
	s_mul_hi_u32 s13, s2, s12
	s_add_i32 s5, s5, s4
	s_mul_hi_u32 s14, s3, s12
	s_mul_i32 s4, s3, s12
	s_mul_hi_u32 s12, s2, s5
	s_mul_i32 s2, s2, s5
	s_mul_hi_u32 s15, s3, s5
	s_add_u32 s2, s13, s2
	s_addc_u32 s12, 0, s12
	s_add_u32 s2, s2, s4
	s_mul_i32 s5, s3, s5
	s_addc_u32 s2, s12, s14
	s_addc_u32 s4, s15, 0
	s_add_u32 s2, s2, s5
	s_addc_u32 s4, 0, s4
	v_add_co_u32 v1, s2, v1, s2
	s_delay_alu instid0(VALU_DEP_1) | instskip(SKIP_1) | instid1(VALU_DEP_1)
	s_cmp_lg_u32 s2, 0
	s_addc_u32 s2, s3, s4
	v_readfirstlane_b32 s3, v1
	s_mul_i32 s5, s10, s2
	s_mul_hi_u32 s4, s10, s2
	s_mul_hi_u32 s12, s11, s2
	s_mul_i32 s2, s11, s2
	s_mul_hi_u32 s13, s10, s3
	s_mul_hi_u32 s14, s11, s3
	s_mul_i32 s3, s11, s3
	s_add_u32 s5, s13, s5
	s_addc_u32 s4, 0, s4
	s_add_u32 s3, s5, s3
	s_addc_u32 s3, s4, s14
	s_addc_u32 s4, s12, 0
	s_add_u32 s5, s3, s2
	s_addc_u32 s4, 0, s4
	s_mul_i32 s3, s5, 0xe80
	s_add_u32 s2, s5, 1
	v_sub_co_u32 v1, s3, s10, s3
	s_mul_hi_u32 s12, s5, 0xe80
	s_addc_u32 s13, s4, 0
	s_mul_i32 s14, s4, 0xe80
	s_delay_alu instid0(VALU_DEP_1)
	v_subrev_co_u32 v2, s15, 0xe80, v1
	s_add_u32 s17, s5, 2
	s_addc_u32 s18, s4, 0
	s_add_i32 s12, s12, s14
	s_cmp_lg_u32 s3, 0
	v_readfirstlane_b32 s3, v2
	s_subb_u32 s12, s11, s12
	s_cmp_lg_u32 s15, 0
	s_subb_u32 s14, s12, 0
	s_delay_alu instid0(VALU_DEP_1) | instskip(SKIP_4) | instid1(SALU_CYCLE_1)
	s_cmpk_gt_u32 s3, 0xe7f
	s_cselect_b32 s3, -1, 0
	s_cmp_eq_u32 s14, 0
	v_readfirstlane_b32 s14, v1
	s_cselect_b32 s3, s3, -1
	s_cmp_lg_u32 s3, 0
	s_cselect_b32 s15, s17, s2
	s_cselect_b32 s13, s18, s13
	s_cmpk_gt_u32 s14, 0xe7f
	s_mov_b32 s17, 0
	s_cselect_b32 s2, -1, 0
	s_cmp_eq_u32 s12, 0
	s_cselect_b32 s2, s2, -1
	s_delay_alu instid0(SALU_CYCLE_1)
	s_cmp_lg_u32 s2, 0
	s_load_b128 s[0:3], s[0:1], 0x28
	s_cselect_b32 s13, s13, s4
	s_cselect_b32 s12, s15, s5
	s_mul_i32 s4, s13, 0xe80
	s_mul_hi_u32 s5, s12, 0xe80
	s_mul_i32 s14, s12, 0xe80
	s_add_i32 s5, s5, s4
	s_sub_u32 s4, s10, s14
	s_subb_u32 s5, s11, s5
	s_delay_alu instid0(SALU_CYCLE_1) | instskip(SKIP_2) | instid1(SALU_CYCLE_1)
	s_cmp_lg_u64 s[4:5], 0
	s_mov_b32 s5, -1
	s_cselect_b32 s4, -1, 0
	v_cndmask_b32_e64 v1, 0, 1, s4
	s_delay_alu instid0(VALU_DEP_1) | instskip(NEXT) | instid1(VALU_DEP_1)
	v_readfirstlane_b32 s4, v1
	s_add_u32 s12, s12, s4
	s_addc_u32 s13, s13, 0
	s_waitcnt lgkmcnt(0)
	s_add_u32 s14, s2, s16
	s_addc_u32 s15, s3, 0
	s_add_u32 s18, s12, -1
	s_addc_u32 s19, s13, -1
	s_mul_i32 s4, s16, 0xe80
	v_cmp_ge_u64_e64 s22, s[14:15], s[18:19]
	s_mul_i32 s11, s18, 0xfffff180
	s_delay_alu instid0(VALU_DEP_1)
	s_and_b32 vcc_lo, exec_lo, s22
	s_cbranch_vccz .LBB305_60
; %bb.1:
	s_mov_b32 s5, s17
	s_add_i32 s25, s11, s10
	s_lshl_b64 s[20:21], s[4:5], 3
	s_mov_b32 s5, exec_lo
	s_add_u32 s20, s23, s20
	s_addc_u32 s21, s24, s21
                                        ; implicit-def: $vgpr1_vgpr2
	v_cmpx_gt_u32_e64 s25, v0
	s_cbranch_execz .LBB305_3
; %bb.2:
	v_lshlrev_b32_e32 v1, 3, v0
	global_load_b64 v[1:2], v1, s[20:21]
.LBB305_3:
	s_or_b32 exec_lo, exec_lo, s5
	v_or_b32_e32 v3, 0x80, v0
	s_delay_alu instid0(VALU_DEP_1)
	v_cmp_gt_u32_e32 vcc_lo, s25, v3
                                        ; implicit-def: $vgpr3_vgpr4
	s_and_saveexec_b32 s5, vcc_lo
	s_cbranch_execz .LBB305_5
; %bb.4:
	v_lshlrev_b32_e32 v3, 3, v0
	global_load_b64 v[3:4], v3, s[20:21] offset:1024
.LBB305_5:
	s_or_b32 exec_lo, exec_lo, s5
	v_or_b32_e32 v5, 0x100, v0
	s_delay_alu instid0(VALU_DEP_1)
	v_cmp_gt_u32_e32 vcc_lo, s25, v5
                                        ; implicit-def: $vgpr5_vgpr6
	s_and_saveexec_b32 s5, vcc_lo
	s_cbranch_execz .LBB305_7
; %bb.6:
	v_lshlrev_b32_e32 v5, 3, v0
	global_load_b64 v[5:6], v5, s[20:21] offset:2048
.LBB305_7:
	s_or_b32 exec_lo, exec_lo, s5
	v_or_b32_e32 v7, 0x180, v0
	s_delay_alu instid0(VALU_DEP_1)
	v_cmp_gt_u32_e32 vcc_lo, s25, v7
                                        ; implicit-def: $vgpr7_vgpr8
	s_and_saveexec_b32 s5, vcc_lo
	s_cbranch_execz .LBB305_9
; %bb.8:
	v_lshlrev_b32_e32 v7, 3, v0
	global_load_b64 v[7:8], v7, s[20:21] offset:3072
.LBB305_9:
	s_or_b32 exec_lo, exec_lo, s5
	v_or_b32_e32 v11, 0x200, v0
	s_mov_b32 s5, exec_lo
                                        ; implicit-def: $vgpr9_vgpr10
	s_delay_alu instid0(VALU_DEP_1)
	v_cmpx_gt_u32_e64 s25, v11
	s_cbranch_execz .LBB305_11
; %bb.10:
	v_lshlrev_b32_e32 v9, 3, v11
	global_load_b64 v[9:10], v9, s[20:21]
.LBB305_11:
	s_or_b32 exec_lo, exec_lo, s5
	v_or_b32_e32 v13, 0x280, v0
	s_mov_b32 s5, exec_lo
                                        ; implicit-def: $vgpr11_vgpr12
	s_delay_alu instid0(VALU_DEP_1)
	v_cmpx_gt_u32_e64 s25, v13
	s_cbranch_execz .LBB305_13
; %bb.12:
	v_lshlrev_b32_e32 v11, 3, v13
	global_load_b64 v[11:12], v11, s[20:21]
.LBB305_13:
	s_or_b32 exec_lo, exec_lo, s5
	v_or_b32_e32 v15, 0x300, v0
	s_mov_b32 s5, exec_lo
                                        ; implicit-def: $vgpr13_vgpr14
	s_delay_alu instid0(VALU_DEP_1)
	v_cmpx_gt_u32_e64 s25, v15
	s_cbranch_execz .LBB305_15
; %bb.14:
	v_lshlrev_b32_e32 v13, 3, v15
	global_load_b64 v[13:14], v13, s[20:21]
.LBB305_15:
	s_or_b32 exec_lo, exec_lo, s5
	v_or_b32_e32 v17, 0x380, v0
	s_mov_b32 s5, exec_lo
                                        ; implicit-def: $vgpr15_vgpr16
	s_delay_alu instid0(VALU_DEP_1)
	v_cmpx_gt_u32_e64 s25, v17
	s_cbranch_execz .LBB305_17
; %bb.16:
	v_lshlrev_b32_e32 v15, 3, v17
	global_load_b64 v[15:16], v15, s[20:21]
.LBB305_17:
	s_or_b32 exec_lo, exec_lo, s5
	v_or_b32_e32 v19, 0x400, v0
	s_mov_b32 s5, exec_lo
                                        ; implicit-def: $vgpr17_vgpr18
	s_delay_alu instid0(VALU_DEP_1)
	v_cmpx_gt_u32_e64 s25, v19
	s_cbranch_execz .LBB305_19
; %bb.18:
	v_lshlrev_b32_e32 v17, 3, v19
	global_load_b64 v[17:18], v17, s[20:21]
.LBB305_19:
	s_or_b32 exec_lo, exec_lo, s5
	v_or_b32_e32 v21, 0x480, v0
	s_mov_b32 s5, exec_lo
                                        ; implicit-def: $vgpr19_vgpr20
	s_delay_alu instid0(VALU_DEP_1)
	v_cmpx_gt_u32_e64 s25, v21
	s_cbranch_execz .LBB305_21
; %bb.20:
	v_lshlrev_b32_e32 v19, 3, v21
	global_load_b64 v[19:20], v19, s[20:21]
.LBB305_21:
	s_or_b32 exec_lo, exec_lo, s5
	v_or_b32_e32 v23, 0x500, v0
	s_mov_b32 s5, exec_lo
                                        ; implicit-def: $vgpr21_vgpr22
	s_delay_alu instid0(VALU_DEP_1)
	v_cmpx_gt_u32_e64 s25, v23
	s_cbranch_execz .LBB305_23
; %bb.22:
	v_lshlrev_b32_e32 v21, 3, v23
	global_load_b64 v[21:22], v21, s[20:21]
.LBB305_23:
	s_or_b32 exec_lo, exec_lo, s5
	v_or_b32_e32 v25, 0x580, v0
	s_mov_b32 s5, exec_lo
                                        ; implicit-def: $vgpr23_vgpr24
	s_delay_alu instid0(VALU_DEP_1)
	v_cmpx_gt_u32_e64 s25, v25
	s_cbranch_execz .LBB305_25
; %bb.24:
	v_lshlrev_b32_e32 v23, 3, v25
	global_load_b64 v[23:24], v23, s[20:21]
.LBB305_25:
	s_or_b32 exec_lo, exec_lo, s5
	v_or_b32_e32 v27, 0x600, v0
	s_mov_b32 s5, exec_lo
                                        ; implicit-def: $vgpr25_vgpr26
	s_delay_alu instid0(VALU_DEP_1)
	v_cmpx_gt_u32_e64 s25, v27
	s_cbranch_execz .LBB305_27
; %bb.26:
	v_lshlrev_b32_e32 v25, 3, v27
	global_load_b64 v[25:26], v25, s[20:21]
.LBB305_27:
	s_or_b32 exec_lo, exec_lo, s5
	v_or_b32_e32 v29, 0x680, v0
	s_mov_b32 s5, exec_lo
                                        ; implicit-def: $vgpr27_vgpr28
	s_delay_alu instid0(VALU_DEP_1)
	v_cmpx_gt_u32_e64 s25, v29
	s_cbranch_execz .LBB305_29
; %bb.28:
	v_lshlrev_b32_e32 v27, 3, v29
	global_load_b64 v[27:28], v27, s[20:21]
.LBB305_29:
	s_or_b32 exec_lo, exec_lo, s5
	v_or_b32_e32 v31, 0x700, v0
	s_mov_b32 s5, exec_lo
                                        ; implicit-def: $vgpr29_vgpr30
	s_delay_alu instid0(VALU_DEP_1)
	v_cmpx_gt_u32_e64 s25, v31
	s_cbranch_execz .LBB305_31
; %bb.30:
	v_lshlrev_b32_e32 v29, 3, v31
	global_load_b64 v[29:30], v29, s[20:21]
.LBB305_31:
	s_or_b32 exec_lo, exec_lo, s5
	v_or_b32_e32 v33, 0x780, v0
	s_mov_b32 s5, exec_lo
                                        ; implicit-def: $vgpr31_vgpr32
	s_delay_alu instid0(VALU_DEP_1)
	v_cmpx_gt_u32_e64 s25, v33
	s_cbranch_execz .LBB305_33
; %bb.32:
	v_lshlrev_b32_e32 v31, 3, v33
	global_load_b64 v[31:32], v31, s[20:21]
.LBB305_33:
	s_or_b32 exec_lo, exec_lo, s5
	v_or_b32_e32 v35, 0x800, v0
	s_mov_b32 s5, exec_lo
                                        ; implicit-def: $vgpr33_vgpr34
	s_delay_alu instid0(VALU_DEP_1)
	v_cmpx_gt_u32_e64 s25, v35
	s_cbranch_execz .LBB305_35
; %bb.34:
	v_lshlrev_b32_e32 v33, 3, v35
	global_load_b64 v[33:34], v33, s[20:21]
.LBB305_35:
	s_or_b32 exec_lo, exec_lo, s5
	v_or_b32_e32 v37, 0x880, v0
	s_mov_b32 s5, exec_lo
                                        ; implicit-def: $vgpr35_vgpr36
	s_delay_alu instid0(VALU_DEP_1)
	v_cmpx_gt_u32_e64 s25, v37
	s_cbranch_execz .LBB305_37
; %bb.36:
	v_lshlrev_b32_e32 v35, 3, v37
	global_load_b64 v[35:36], v35, s[20:21]
.LBB305_37:
	s_or_b32 exec_lo, exec_lo, s5
	v_or_b32_e32 v39, 0x900, v0
	s_mov_b32 s5, exec_lo
                                        ; implicit-def: $vgpr37_vgpr38
	s_delay_alu instid0(VALU_DEP_1)
	v_cmpx_gt_u32_e64 s25, v39
	s_cbranch_execz .LBB305_39
; %bb.38:
	v_lshlrev_b32_e32 v37, 3, v39
	global_load_b64 v[37:38], v37, s[20:21]
.LBB305_39:
	s_or_b32 exec_lo, exec_lo, s5
	v_or_b32_e32 v41, 0x980, v0
	s_mov_b32 s5, exec_lo
                                        ; implicit-def: $vgpr39_vgpr40
	s_delay_alu instid0(VALU_DEP_1)
	v_cmpx_gt_u32_e64 s25, v41
	s_cbranch_execz .LBB305_41
; %bb.40:
	v_lshlrev_b32_e32 v39, 3, v41
	global_load_b64 v[39:40], v39, s[20:21]
.LBB305_41:
	s_or_b32 exec_lo, exec_lo, s5
	v_or_b32_e32 v43, 0xa00, v0
	s_mov_b32 s5, exec_lo
                                        ; implicit-def: $vgpr41_vgpr42
	s_delay_alu instid0(VALU_DEP_1)
	v_cmpx_gt_u32_e64 s25, v43
	s_cbranch_execz .LBB305_43
; %bb.42:
	v_lshlrev_b32_e32 v41, 3, v43
	global_load_b64 v[41:42], v41, s[20:21]
.LBB305_43:
	s_or_b32 exec_lo, exec_lo, s5
	v_or_b32_e32 v45, 0xa80, v0
	s_mov_b32 s5, exec_lo
                                        ; implicit-def: $vgpr43_vgpr44
	s_delay_alu instid0(VALU_DEP_1)
	v_cmpx_gt_u32_e64 s25, v45
	s_cbranch_execz .LBB305_45
; %bb.44:
	v_lshlrev_b32_e32 v43, 3, v45
	global_load_b64 v[43:44], v43, s[20:21]
.LBB305_45:
	s_or_b32 exec_lo, exec_lo, s5
	v_or_b32_e32 v47, 0xb00, v0
	s_mov_b32 s5, exec_lo
                                        ; implicit-def: $vgpr45_vgpr46
	s_delay_alu instid0(VALU_DEP_1)
	v_cmpx_gt_u32_e64 s25, v47
	s_cbranch_execz .LBB305_47
; %bb.46:
	v_lshlrev_b32_e32 v45, 3, v47
	global_load_b64 v[45:46], v45, s[20:21]
.LBB305_47:
	s_or_b32 exec_lo, exec_lo, s5
	v_or_b32_e32 v49, 0xb80, v0
	s_mov_b32 s5, exec_lo
                                        ; implicit-def: $vgpr47_vgpr48
	s_delay_alu instid0(VALU_DEP_1)
	v_cmpx_gt_u32_e64 s25, v49
	s_cbranch_execz .LBB305_49
; %bb.48:
	v_lshlrev_b32_e32 v47, 3, v49
	global_load_b64 v[47:48], v47, s[20:21]
.LBB305_49:
	s_or_b32 exec_lo, exec_lo, s5
	v_or_b32_e32 v51, 0xc00, v0
	s_mov_b32 s5, exec_lo
                                        ; implicit-def: $vgpr49_vgpr50
	s_delay_alu instid0(VALU_DEP_1)
	v_cmpx_gt_u32_e64 s25, v51
	s_cbranch_execz .LBB305_51
; %bb.50:
	v_lshlrev_b32_e32 v49, 3, v51
	global_load_b64 v[49:50], v49, s[20:21]
.LBB305_51:
	s_or_b32 exec_lo, exec_lo, s5
	v_or_b32_e32 v53, 0xc80, v0
	s_mov_b32 s5, exec_lo
                                        ; implicit-def: $vgpr51_vgpr52
	s_delay_alu instid0(VALU_DEP_1)
	v_cmpx_gt_u32_e64 s25, v53
	s_cbranch_execz .LBB305_53
; %bb.52:
	v_lshlrev_b32_e32 v51, 3, v53
	global_load_b64 v[51:52], v51, s[20:21]
.LBB305_53:
	s_or_b32 exec_lo, exec_lo, s5
	v_or_b32_e32 v55, 0xd00, v0
	s_mov_b32 s5, exec_lo
                                        ; implicit-def: $vgpr53_vgpr54
	s_delay_alu instid0(VALU_DEP_1)
	v_cmpx_gt_u32_e64 s25, v55
	s_cbranch_execz .LBB305_55
; %bb.54:
	v_lshlrev_b32_e32 v53, 3, v55
	global_load_b64 v[53:54], v53, s[20:21]
.LBB305_55:
	s_or_b32 exec_lo, exec_lo, s5
	v_or_b32_e32 v57, 0xd80, v0
	s_mov_b32 s5, exec_lo
                                        ; implicit-def: $vgpr55_vgpr56
	s_delay_alu instid0(VALU_DEP_1)
	v_cmpx_gt_u32_e64 s25, v57
	s_cbranch_execz .LBB305_57
; %bb.56:
	v_lshlrev_b32_e32 v55, 3, v57
	global_load_b64 v[55:56], v55, s[20:21]
.LBB305_57:
	s_or_b32 exec_lo, exec_lo, s5
	v_or_b32_e32 v59, 0xe00, v0
	s_mov_b32 s5, exec_lo
                                        ; implicit-def: $vgpr57_vgpr58
	s_delay_alu instid0(VALU_DEP_1)
	v_cmpx_gt_u32_e64 s25, v59
	s_cbranch_execz .LBB305_59
; %bb.58:
	v_lshlrev_b32_e32 v57, 3, v59
	global_load_b64 v[57:58], v57, s[20:21]
.LBB305_59:
	s_or_b32 exec_lo, exec_lo, s5
	v_lshlrev_b32_e32 v59, 3, v0
	s_mov_b32 s5, 0
	s_waitcnt vmcnt(0)
	ds_store_2addr_stride64_b64 v59, v[1:2], v[3:4] offset1:2
	ds_store_2addr_stride64_b64 v59, v[5:6], v[7:8] offset0:4 offset1:6
	ds_store_2addr_stride64_b64 v59, v[9:10], v[11:12] offset0:8 offset1:10
	;; [unrolled: 1-line block ×13, first 2 shown]
	ds_store_b64 v59, v[57:58] offset:28672
	s_waitcnt lgkmcnt(0)
	s_barrier
.LBB305_60:
	v_lshlrev_b32_e32 v117, 3, v0
	s_and_b32 vcc_lo, exec_lo, s5
	s_cbranch_vccz .LBB305_62
; %bb.61:
	s_mov_b32 s5, 0
	s_delay_alu instid0(SALU_CYCLE_1) | instskip(NEXT) | instid1(SALU_CYCLE_1)
	s_lshl_b64 s[20:21], s[4:5], 3
	s_add_u32 s20, s23, s20
	s_addc_u32 s21, s24, s21
	v_add_co_u32 v49, s5, s20, v117
	s_delay_alu instid0(VALU_DEP_1)
	v_add_co_ci_u32_e64 v50, null, s21, 0, s5
	s_clause 0x3
	global_load_b64 v[1:2], v117, s[20:21]
	global_load_b64 v[3:4], v117, s[20:21] offset:1024
	global_load_b64 v[5:6], v117, s[20:21] offset:2048
	;; [unrolled: 1-line block ×3, first 2 shown]
	v_add_co_u32 v9, vcc_lo, 0x1000, v49
	v_add_co_ci_u32_e32 v10, vcc_lo, 0, v50, vcc_lo
	v_add_co_u32 v11, vcc_lo, v49, 0x2000
	v_add_co_ci_u32_e32 v12, vcc_lo, 0, v50, vcc_lo
	;; [unrolled: 2-line block ×10, first 2 shown]
	s_clause 0x18
	global_load_b64 v[15:16], v[11:12], off offset:-4096
	global_load_b64 v[17:18], v[9:10], off offset:1024
	global_load_b64 v[19:20], v[9:10], off offset:2048
	;; [unrolled: 1-line block ×12, first 2 shown]
	global_load_b64 v[11:12], v[11:12], off
	global_load_b64 v[43:44], v[25:26], off offset:-4096
	global_load_b64 v[25:26], v[25:26], off
	global_load_b64 v[45:46], v[39:40], off offset:-4096
	global_load_b64 v[39:40], v[39:40], off
	global_load_b64 v[51:52], v[41:42], off offset:1024
	global_load_b64 v[53:54], v[41:42], off offset:2048
	global_load_b64 v[41:42], v[41:42], off offset:3072
	global_load_b64 v[55:56], v[47:48], off offset:1024
	global_load_b64 v[57:58], v[47:48], off offset:2048
	global_load_b64 v[47:48], v[47:48], off offset:3072
	global_load_b64 v[49:50], v[49:50], off
	s_waitcnt vmcnt(27)
	ds_store_2addr_stride64_b64 v117, v[1:2], v[3:4] offset1:2
	s_waitcnt vmcnt(25)
	ds_store_2addr_stride64_b64 v117, v[5:6], v[7:8] offset0:4 offset1:6
	s_waitcnt vmcnt(23)
	ds_store_2addr_stride64_b64 v117, v[15:16], v[17:18] offset0:8 offset1:10
	;; [unrolled: 2-line block ×4, first 2 shown]
	ds_store_2addr_stride64_b64 v117, v[29:30], v[13:14] offset0:20 offset1:22
	s_waitcnt vmcnt(10)
	ds_store_2addr_stride64_b64 v117, v[43:44], v[31:32] offset0:24 offset1:26
	ds_store_2addr_stride64_b64 v117, v[33:34], v[23:24] offset0:28 offset1:30
	s_waitcnt vmcnt(9)
	ds_store_2addr_stride64_b64 v117, v[25:26], v[35:36] offset0:32 offset1:34
	;; [unrolled: 3-line block ×3, first 2 shown]
	s_waitcnt vmcnt(4)
	ds_store_2addr_stride64_b64 v117, v[53:54], v[41:42] offset0:44 offset1:46
	s_waitcnt vmcnt(3)
	ds_store_2addr_stride64_b64 v117, v[39:40], v[55:56] offset0:48 offset1:50
	;; [unrolled: 2-line block ×3, first 2 shown]
	s_waitcnt vmcnt(0)
	ds_store_b64 v117, v[49:50] offset:28672
	s_waitcnt lgkmcnt(0)
	s_barrier
.LBB305_62:
	v_mul_u32_u24_e32 v1, 29, v0
	buffer_gl0_inv
	s_cmp_eq_u64 s[14:15], 0
	v_lshlrev_b32_e32 v53, 3, v1
	ds_load_b64 v[57:58], v53 offset:224
	ds_load_2addr_b64 v[1:4], v53 offset0:26 offset1:27
	ds_load_2addr_b64 v[5:8], v53 offset0:24 offset1:25
	ds_load_2addr_b64 v[9:12], v53 offset1:1
	ds_load_2addr_b64 v[13:16], v53 offset0:2 offset1:3
	ds_load_2addr_b64 v[17:20], v53 offset0:4 offset1:5
	;; [unrolled: 1-line block ×11, first 2 shown]
	s_waitcnt lgkmcnt(0)
	s_barrier
	buffer_gl0_inv
	s_cbranch_scc1 .LBB305_67
; %bb.63:
	s_lshl_b64 s[2:3], s[2:3], 3
	s_delay_alu instid0(SALU_CYCLE_1) | instskip(SKIP_2) | instid1(SALU_CYCLE_1)
	s_add_u32 s2, s0, s2
	s_addc_u32 s3, s1, s3
	s_lshl_b64 s[0:1], s[16:17], 3
	s_add_u32 s0, s2, s0
	s_addc_u32 s1, s3, s1
	s_add_u32 s0, s0, -8
	s_addc_u32 s1, s1, -1
	s_cmp_eq_u64 s[14:15], s[18:19]
	s_load_b64 s[0:1], s[0:1], 0x0
	s_cbranch_scc1 .LBB305_68
; %bb.64:
	s_waitcnt lgkmcnt(0)
	v_dual_mov_b32 v60, s1 :: v_dual_mov_b32 v59, s0
	s_mov_b32 s2, 0
	s_mov_b32 s3, exec_lo
	ds_store_b64 v117, v[57:58]
	s_waitcnt lgkmcnt(0)
	s_barrier
	buffer_gl0_inv
	v_cmpx_ne_u32_e32 0, v0
	s_cbranch_execz .LBB305_66
; %bb.65:
	v_add_nc_u32_e32 v59, -8, v117
	ds_load_b64 v[59:60], v59
.LBB305_66:
	s_or_b32 exec_lo, exec_lo, s3
	s_waitcnt lgkmcnt(0)
	v_add_co_u32 v59, vcc_lo, v59, v9
	v_add_co_ci_u32_e32 v60, vcc_lo, v60, v10, vcc_lo
	s_branch .LBB305_69
.LBB305_67:
                                        ; implicit-def: $vgpr59_vgpr60
                                        ; implicit-def: $vgpr115_vgpr116
                                        ; implicit-def: $vgpr109_vgpr110
                                        ; implicit-def: $vgpr113_vgpr114
                                        ; implicit-def: $vgpr103_vgpr104
                                        ; implicit-def: $vgpr111_vgpr112
                                        ; implicit-def: $vgpr99_vgpr100
                                        ; implicit-def: $vgpr107_vgpr108
                                        ; implicit-def: $vgpr97_vgpr98
                                        ; implicit-def: $vgpr105_vgpr106
                                        ; implicit-def: $vgpr95_vgpr96
                                        ; implicit-def: $vgpr101_vgpr102
                                        ; implicit-def: $vgpr93_vgpr94
                                        ; implicit-def: $vgpr91_vgpr92
                                        ; implicit-def: $vgpr89_vgpr90
                                        ; implicit-def: $vgpr87_vgpr88
                                        ; implicit-def: $vgpr85_vgpr86
                                        ; implicit-def: $vgpr83_vgpr84
                                        ; implicit-def: $vgpr81_vgpr82
                                        ; implicit-def: $vgpr79_vgpr80
                                        ; implicit-def: $vgpr77_vgpr78
                                        ; implicit-def: $vgpr75_vgpr76
                                        ; implicit-def: $vgpr73_vgpr74
                                        ; implicit-def: $vgpr69_vgpr70
                                        ; implicit-def: $vgpr67_vgpr68
                                        ; implicit-def: $vgpr65_vgpr66
                                        ; implicit-def: $vgpr63_vgpr64
                                        ; implicit-def: $vgpr61_vgpr62
                                        ; implicit-def: $vgpr71_vgpr72
	s_branch .LBB305_74
.LBB305_68:
	s_mov_b32 s2, -1
                                        ; implicit-def: $vgpr59_vgpr60
.LBB305_69:
	v_dual_mov_b32 v116, v10 :: v_dual_mov_b32 v115, v9
	v_dual_mov_b32 v110, v12 :: v_dual_mov_b32 v109, v11
	;; [unrolled: 1-line block ×28, first 2 shown]
	s_and_b32 vcc_lo, exec_lo, s2
	s_cbranch_vccz .LBB305_73
; %bb.70:
	v_mul_u32_u24_e32 v109, 29, v0
	s_waitcnt lgkmcnt(0)
	v_dual_mov_b32 v60, s1 :: v_dual_mov_b32 v59, s0
	s_mov_b32 s0, exec_lo
	ds_store_b64 v117, v[57:58]
	s_waitcnt lgkmcnt(0)
	s_barrier
	buffer_gl0_inv
	v_cmpx_ne_u32_e32 0, v0
	s_cbranch_execz .LBB305_72
; %bb.71:
	v_add_nc_u32_e32 v59, -8, v117
	ds_load_b64 v[59:60], v59
.LBB305_72:
	s_or_b32 exec_lo, exec_lo, s0
	v_add_nc_u32_e32 v61, 28, v109
	s_mul_i32 s1, s14, 0xfffff180
	v_add_nc_u32_e32 v63, 26, v109
	s_add_i32 s1, s1, s10
	v_add_nc_u32_e32 v67, 24, v109
	v_cmp_gt_u32_e32 vcc_lo, s1, v61
	v_add_nc_u32_e32 v62, 27, v109
	v_add_nc_u32_e32 v73, 22, v109
	;; [unrolled: 1-line block ×3, first 2 shown]
	v_dual_cndmask_b32 v72, 0, v4 :: v_dual_add_nc_u32 v81, 18, v109
	v_cndmask_b32_e32 v71, 0, v3, vcc_lo
	v_cmp_gt_u32_e32 vcc_lo, s1, v63
	v_add_nc_u32_e32 v85, 16, v109
	v_cmp_gt_u32_e64 s0, s1, v62
	v_add_nc_u32_e32 v89, 14, v109
	v_dual_cndmask_b32 v64, 0, v8 :: v_dual_add_nc_u32 v93, 12, v109
	v_cndmask_b32_e32 v63, 0, v7, vcc_lo
	v_cmp_gt_u32_e32 vcc_lo, s1, v67
	v_add_nc_u32_e32 v65, 25, v109
	v_cndmask_b32_e64 v62, 0, v2, s0
	v_cndmask_b32_e64 v61, 0, v1, s0
	v_dual_cndmask_b32 v68, 0, v56 :: v_dual_add_nc_u32 v79, 19, v109
	v_cndmask_b32_e32 v67, 0, v55, vcc_lo
	v_cmp_gt_u32_e32 vcc_lo, s1, v73
	v_cmp_gt_u32_e64 s0, s1, v65
	v_add_nc_u32_e32 v83, 17, v109
	v_add_nc_u32_e32 v87, 15, v109
	v_dual_cndmask_b32 v74, 0, v52 :: v_dual_add_nc_u32 v91, 13, v109
	v_dual_cndmask_b32 v73, 0, v51 :: v_dual_add_nc_u32 v96, 10, v109
	v_cmp_gt_u32_e32 vcc_lo, s1, v77
	v_cndmask_b32_e64 v66, 0, v6, s0
	v_cndmask_b32_e64 v65, 0, v5, s0
	v_add_nc_u32_e32 v95, 11, v109
	v_dual_cndmask_b32 v78, 0, v48 :: v_dual_add_nc_u32 v97, 8, v109
	v_dual_cndmask_b32 v77, 0, v47 :: v_dual_add_nc_u32 v100, 6, v109
	v_cmp_gt_u32_e32 vcc_lo, s1, v81
	v_add_nc_u32_e32 v69, 23, v109
	v_add_nc_u32_e32 v99, 7, v109
	v_add_nc_u32_e32 v103, 4, v109
	v_add_nc_u32_e32 v110, 3, v109
	v_dual_cndmask_b32 v82, 0, v44 :: v_dual_cndmask_b32 v81, 0, v43
	v_cmp_gt_u32_e32 vcc_lo, s1, v85
	v_cmp_gt_u32_e64 s0, s1, v69
	v_dual_cndmask_b32 v86, 0, v40 :: v_dual_add_nc_u32 v115, 1, v109
	v_cndmask_b32_e32 v85, 0, v39, vcc_lo
	v_cmp_gt_u32_e32 vcc_lo, s1, v89
	s_delay_alu instid0(VALU_DEP_4) | instskip(SKIP_4) | instid1(VALU_DEP_1)
	v_cndmask_b32_e64 v70, 0, v54, s0
	v_cndmask_b32_e64 v69, 0, v53, s0
	v_dual_cndmask_b32 v90, 0, v36 :: v_dual_cndmask_b32 v89, 0, v35
	v_cmp_gt_u32_e32 vcc_lo, s1, v93
	v_dual_cndmask_b32 v94, 0, v32 :: v_dual_add_nc_u32 v75, 21, v109
	v_cmp_gt_u32_e64 s0, s1, v75
	v_cndmask_b32_e32 v93, 0, v31, vcc_lo
	v_cmp_gt_u32_e32 vcc_lo, s1, v96
	s_delay_alu instid0(VALU_DEP_3) | instskip(SKIP_3) | instid1(VALU_DEP_2)
	v_cndmask_b32_e64 v76, 0, v50, s0
	v_cndmask_b32_e64 v75, 0, v49, s0
	v_cmp_gt_u32_e64 s0, s1, v79
	v_cndmask_b32_e32 v96, 0, v28, vcc_lo
	v_cndmask_b32_e64 v80, 0, v46, s0
	v_cndmask_b32_e64 v79, 0, v45, s0
	v_cmp_gt_u32_e64 s0, s1, v83
	s_delay_alu instid0(VALU_DEP_1) | instskip(SKIP_2) | instid1(VALU_DEP_1)
	v_cndmask_b32_e64 v84, 0, v42, s0
	v_cndmask_b32_e64 v83, 0, v41, s0
	v_cmp_gt_u32_e64 s0, s1, v87
	v_cndmask_b32_e64 v88, 0, v38, s0
	v_cndmask_b32_e64 v87, 0, v37, s0
	v_cmp_gt_u32_e64 s0, s1, v91
	s_delay_alu instid0(VALU_DEP_1) | instskip(SKIP_3) | instid1(VALU_DEP_2)
	v_cndmask_b32_e64 v92, 0, v34, s0
	v_cndmask_b32_e64 v91, 0, v33, s0
	v_cmp_gt_u32_e64 s0, s1, v95
	v_add_nc_u32_e32 v95, 9, v109
	v_cndmask_b32_e64 v102, 0, v30, s0
	v_cndmask_b32_e64 v101, 0, v29, s0
	s_delay_alu instid0(VALU_DEP_3) | instskip(SKIP_2) | instid1(VALU_DEP_3)
	v_cmp_gt_u32_e64 s0, s1, v95
	v_cndmask_b32_e32 v95, 0, v27, vcc_lo
	v_cmp_gt_u32_e32 vcc_lo, s1, v97
	v_cndmask_b32_e64 v106, 0, v26, s0
	v_cndmask_b32_e64 v105, 0, v25, s0
	v_cndmask_b32_e32 v98, 0, v24, vcc_lo
	v_cmp_gt_u32_e64 s0, s1, v99
	v_cndmask_b32_e32 v97, 0, v23, vcc_lo
	v_add_nc_u32_e32 v99, 5, v109
	v_cmp_gt_u32_e32 vcc_lo, s1, v100
	s_delay_alu instid0(VALU_DEP_4) | instskip(SKIP_1) | instid1(VALU_DEP_4)
	v_cndmask_b32_e64 v108, 0, v22, s0
	v_cndmask_b32_e64 v107, 0, v21, s0
	v_cmp_gt_u32_e64 s0, s1, v99
	v_dual_cndmask_b32 v100, 0, v20 :: v_dual_cndmask_b32 v99, 0, v19
	v_cmp_gt_u32_e32 vcc_lo, s1, v103
	s_delay_alu instid0(VALU_DEP_3)
	v_cndmask_b32_e64 v112, 0, v18, s0
	v_cndmask_b32_e64 v111, 0, v17, s0
	v_cmp_gt_u32_e64 s0, s1, v110
	v_dual_cndmask_b32 v104, 0, v16 :: v_dual_cndmask_b32 v103, 0, v15
	v_cmp_gt_u32_e32 vcc_lo, s1, v109
	v_add_nc_u32_e32 v110, 2, v109
	s_delay_alu instid0(VALU_DEP_4)
	v_cndmask_b32_e64 v114, 0, v14, s0
	v_cndmask_b32_e64 v113, 0, v13, s0
	s_waitcnt lgkmcnt(0)
	v_cndmask_b32_e32 v59, 0, v59, vcc_lo
	v_cmp_gt_u32_e64 s0, s1, v110
	v_cmp_gt_u32_e64 s1, s1, v115
	v_cndmask_b32_e32 v60, 0, v60, vcc_lo
	s_delay_alu instid0(VALU_DEP_4) | instskip(NEXT) | instid1(VALU_DEP_4)
	v_add_co_u32 v59, vcc_lo, v59, v9
	v_cndmask_b32_e64 v110, 0, v12, s0
	v_cndmask_b32_e64 v109, 0, v11, s0
	;; [unrolled: 1-line block ×4, first 2 shown]
	v_add_co_ci_u32_e32 v60, vcc_lo, v60, v10, vcc_lo
.LBB305_73:
	s_waitcnt lgkmcnt(0)
	s_cbranch_execnz .LBB305_84
.LBB305_74:
	v_cmp_ne_u32_e32 vcc_lo, 0, v0
	s_cmp_eq_u64 s[12:13], 1
	s_cbranch_scc1 .LBB305_78
; %bb.75:
	v_dual_mov_b32 v60, v10 :: v_dual_mov_b32 v59, v9
	s_mov_b32 s0, 0
	ds_store_b64 v117, v[57:58]
	s_waitcnt lgkmcnt(0)
	s_barrier
	buffer_gl0_inv
	s_and_saveexec_b32 s1, vcc_lo
	s_cbranch_execz .LBB305_77
; %bb.76:
	v_add_nc_u32_e32 v59, -8, v117
	ds_load_b64 v[59:60], v59
	s_waitcnt lgkmcnt(0)
	v_add_co_u32 v59, vcc_lo, v59, v9
	v_add_co_ci_u32_e32 v60, vcc_lo, v60, v10, vcc_lo
.LBB305_77:
	s_or_b32 exec_lo, exec_lo, s1
	s_branch .LBB305_79
.LBB305_78:
	s_mov_b32 s0, -1
                                        ; implicit-def: $vgpr59_vgpr60
.LBB305_79:
	v_dual_mov_b32 v110, v12 :: v_dual_mov_b32 v109, v11
	v_dual_mov_b32 v114, v14 :: v_dual_mov_b32 v113, v13
	;; [unrolled: 1-line block ×27, first 2 shown]
	s_and_not1_b32 vcc_lo, exec_lo, s0
	s_cbranch_vccnz .LBB305_83
; %bb.80:
	v_mad_u32_u24 v59, v0, 29, 28
	v_mad_u32_u24 v60, v0, 29, 27
	;; [unrolled: 1-line block ×3, first 2 shown]
	v_mul_u32_u24_e32 v115, 29, v0
	ds_store_b64 v117, v[57:58]
	v_cmp_gt_u32_e32 vcc_lo, s10, v59
	v_mad_u32_u24 v59, v0, 29, 25
	v_cmp_gt_u32_e64 s0, s10, v60
	v_mad_u32_u24 v60, v0, 29, 24
	v_cmp_gt_u32_e64 s1, s10, v115
	v_dual_cndmask_b32 v72, 0, v4 :: v_dual_cndmask_b32 v71, 0, v3
	v_cmp_gt_u32_e32 vcc_lo, s10, v61
	v_cndmask_b32_e64 v62, 0, v2, s0
	v_cndmask_b32_e64 v61, 0, v1, s0
	v_cmp_gt_u32_e64 s0, s10, v59
	v_mad_u32_u24 v59, v0, 29, 23
	v_dual_cndmask_b32 v64, 0, v8 :: v_dual_cndmask_b32 v63, 0, v7
	v_cmp_gt_u32_e32 vcc_lo, s10, v60
	v_mad_u32_u24 v60, v0, 29, 22
	v_cndmask_b32_e64 v66, 0, v6, s0
	v_cndmask_b32_e64 v65, 0, v5, s0
	v_cmp_gt_u32_e64 s0, s10, v59
	v_mad_u32_u24 v59, v0, 29, 21
	v_dual_cndmask_b32 v68, 0, v56 :: v_dual_cndmask_b32 v67, 0, v55
	v_cmp_gt_u32_e32 vcc_lo, s10, v60
	v_mad_u32_u24 v60, v0, 29, 20
	;; [unrolled: 7-line block ×11, first 2 shown]
	v_cndmask_b32_e64 v112, 0, v18, s0
	v_cndmask_b32_e64 v111, 0, v17, s0
	v_cmp_gt_u32_e64 s0, s10, v59
	v_mad_u32_u24 v59, v0, 29, 1
	v_dual_cndmask_b32 v104, 0, v16 :: v_dual_cndmask_b32 v103, 0, v15
	v_cmp_gt_u32_e32 vcc_lo, s10, v60
	s_delay_alu instid0(VALU_DEP_4)
	v_cndmask_b32_e64 v114, 0, v14, s0
	v_cndmask_b32_e64 v113, 0, v13, s0
	v_cmp_gt_u32_e64 s0, s10, v59
	s_waitcnt lgkmcnt(0)
	v_dual_cndmask_b32 v110, 0, v12 :: v_dual_cndmask_b32 v109, 0, v11
	v_cmp_ne_u32_e32 vcc_lo, 0, v0
	s_delay_alu instid0(VALU_DEP_3) | instskip(SKIP_4) | instid1(SALU_CYCLE_1)
	v_cndmask_b32_e64 v116, 0, v10, s0
	v_cndmask_b32_e64 v115, 0, v9, s0
	s_barrier
	buffer_gl0_inv
	s_and_b32 s1, vcc_lo, s1
	s_and_saveexec_b32 s0, s1
	s_cbranch_execz .LBB305_82
; %bb.81:
	v_add_nc_u32_e32 v59, -8, v117
	ds_load_b64 v[59:60], v59
	s_waitcnt lgkmcnt(0)
	v_add_co_u32 v9, vcc_lo, v59, v9
	v_add_co_ci_u32_e32 v10, vcc_lo, v60, v10, vcc_lo
.LBB305_82:
	s_or_b32 exec_lo, exec_lo, s0
	s_delay_alu instid0(VALU_DEP_1)
	v_dual_mov_b32 v60, v10 :: v_dual_mov_b32 v59, v9
	v_dual_mov_b32 v9, v115 :: v_dual_mov_b32 v10, v116
.LBB305_83:
	s_delay_alu instid0(VALU_DEP_1)
	v_dual_mov_b32 v116, v10 :: v_dual_mov_b32 v115, v9
.LBB305_84:
	s_delay_alu instid0(VALU_DEP_2) | instskip(SKIP_1) | instid1(VALU_DEP_3)
	v_add_co_u32 v57, vcc_lo, v71, v57
	v_add_co_ci_u32_e32 v58, vcc_lo, v72, v58, vcc_lo
	v_add_co_u32 v115, vcc_lo, v115, v11
	s_delay_alu instid0(VALU_DEP_4)
	v_add_co_ci_u32_e32 v116, vcc_lo, v116, v12, vcc_lo
	v_add_co_u32 v109, vcc_lo, v109, v13
	v_add_co_ci_u32_e32 v110, vcc_lo, v110, v14, vcc_lo
	v_add_co_u32 v113, vcc_lo, v113, v15
	;; [unrolled: 2-line block ×26, first 2 shown]
	v_add_co_ci_u32_e32 v62, vcc_lo, v62, v4, vcc_lo
	v_mul_u32_u24_e32 v118, 0xe8, v0
	v_mul_i32_i24_e32 v119, 0xffffff20, v0
	s_add_u32 s1, s8, s6
	s_addc_u32 s0, s9, s7
	s_and_b32 vcc_lo, exec_lo, s22
	s_barrier
	buffer_gl0_inv
	s_cbranch_vccz .LBB305_142
; %bb.85:
	v_mad_u32_u24 v1, 0xe8, v0, v119
	ds_store_2addr_b64 v118, v[59:60], v[115:116] offset1:1
	ds_store_2addr_b64 v118, v[109:110], v[113:114] offset0:2 offset1:3
	ds_store_2addr_b64 v118, v[103:104], v[111:112] offset0:4 offset1:5
	;; [unrolled: 1-line block ×13, first 2 shown]
	ds_store_b64 v118, v[57:58] offset:224
	s_waitcnt lgkmcnt(0)
	s_barrier
	buffer_gl0_inv
	ds_load_2addr_stride64_b64 v[53:56], v1 offset0:2 offset1:4
	ds_load_2addr_stride64_b64 v[49:52], v1 offset0:6 offset1:8
	;; [unrolled: 1-line block ×14, first 2 shown]
	s_mov_b32 s5, 0
	s_add_i32 s11, s11, s10
	s_lshl_b64 s[2:3], s[4:5], 3
	s_delay_alu instid0(SALU_CYCLE_1) | instskip(SKIP_2) | instid1(VALU_DEP_1)
	s_add_u32 s2, s1, s2
	s_addc_u32 s3, s0, s3
	v_add_co_u32 v73, s2, s2, v117
	v_add_co_ci_u32_e64 v74, null, s3, 0, s2
	s_mov_b32 s2, exec_lo
	v_cmpx_gt_u32_e64 s11, v0
	s_cbranch_execz .LBB305_87
; %bb.86:
	v_add_nc_u32_e32 v120, v118, v119
	ds_load_b64 v[120:121], v120
	s_waitcnt lgkmcnt(0)
	global_store_b64 v[73:74], v[120:121], off
.LBB305_87:
	s_or_b32 exec_lo, exec_lo, s2
	v_or_b32_e32 v120, 0x80, v0
	s_mov_b32 s2, exec_lo
	s_delay_alu instid0(VALU_DEP_1)
	v_cmpx_gt_u32_e64 s11, v120
	s_cbranch_execz .LBB305_89
; %bb.88:
	s_waitcnt lgkmcnt(13)
	global_store_b64 v[73:74], v[53:54], off offset:1024
.LBB305_89:
	s_or_b32 exec_lo, exec_lo, s2
	s_waitcnt lgkmcnt(13)
	v_or_b32_e32 v53, 0x100, v0
	s_mov_b32 s2, exec_lo
	s_delay_alu instid0(VALU_DEP_1)
	v_cmpx_gt_u32_e64 s11, v53
	s_cbranch_execz .LBB305_91
; %bb.90:
	global_store_b64 v[73:74], v[55:56], off offset:2048
.LBB305_91:
	s_or_b32 exec_lo, exec_lo, s2
	v_or_b32_e32 v53, 0x180, v0
	s_mov_b32 s2, exec_lo
	s_delay_alu instid0(VALU_DEP_1)
	v_cmpx_gt_u32_e64 s11, v53
	s_cbranch_execz .LBB305_93
; %bb.92:
	s_waitcnt lgkmcnt(12)
	global_store_b64 v[73:74], v[49:50], off offset:3072
.LBB305_93:
	s_or_b32 exec_lo, exec_lo, s2
	s_waitcnt lgkmcnt(12)
	v_or_b32_e32 v49, 0x200, v0
	s_mov_b32 s2, exec_lo
	s_delay_alu instid0(VALU_DEP_1)
	v_cmpx_gt_u32_e64 s11, v49
	s_cbranch_execz .LBB305_95
; %bb.94:
	v_add_co_u32 v49, vcc_lo, 0x1000, v73
	v_add_co_ci_u32_e32 v50, vcc_lo, 0, v74, vcc_lo
	global_store_b64 v[49:50], v[51:52], off
.LBB305_95:
	s_or_b32 exec_lo, exec_lo, s2
	v_or_b32_e32 v49, 0x280, v0
	s_mov_b32 s2, exec_lo
	s_delay_alu instid0(VALU_DEP_1)
	v_cmpx_gt_u32_e64 s11, v49
	s_cbranch_execz .LBB305_97
; %bb.96:
	v_add_co_u32 v49, vcc_lo, 0x1000, v73
	v_add_co_ci_u32_e32 v50, vcc_lo, 0, v74, vcc_lo
	s_waitcnt lgkmcnt(11)
	global_store_b64 v[49:50], v[45:46], off offset:1024
.LBB305_97:
	s_or_b32 exec_lo, exec_lo, s2
	s_waitcnt lgkmcnt(11)
	v_or_b32_e32 v45, 0x300, v0
	s_mov_b32 s2, exec_lo
	s_delay_alu instid0(VALU_DEP_1)
	v_cmpx_gt_u32_e64 s11, v45
	s_cbranch_execz .LBB305_99
; %bb.98:
	v_add_co_u32 v45, vcc_lo, 0x1000, v73
	v_add_co_ci_u32_e32 v46, vcc_lo, 0, v74, vcc_lo
	global_store_b64 v[45:46], v[47:48], off offset:2048
.LBB305_99:
	s_or_b32 exec_lo, exec_lo, s2
	v_or_b32_e32 v45, 0x380, v0
	s_mov_b32 s2, exec_lo
	s_delay_alu instid0(VALU_DEP_1)
	v_cmpx_gt_u32_e64 s11, v45
	s_cbranch_execz .LBB305_101
; %bb.100:
	v_add_co_u32 v45, vcc_lo, 0x1000, v73
	v_add_co_ci_u32_e32 v46, vcc_lo, 0, v74, vcc_lo
	s_waitcnt lgkmcnt(10)
	global_store_b64 v[45:46], v[41:42], off offset:3072
.LBB305_101:
	s_or_b32 exec_lo, exec_lo, s2
	s_waitcnt lgkmcnt(10)
	v_or_b32_e32 v41, 0x400, v0
	s_mov_b32 s2, exec_lo
	s_delay_alu instid0(VALU_DEP_1)
	v_cmpx_gt_u32_e64 s11, v41
	s_cbranch_execz .LBB305_103
; %bb.102:
	v_add_co_u32 v41, vcc_lo, 0x2000, v73
	v_add_co_ci_u32_e32 v42, vcc_lo, 0, v74, vcc_lo
	global_store_b64 v[41:42], v[43:44], off
.LBB305_103:
	s_or_b32 exec_lo, exec_lo, s2
	v_or_b32_e32 v41, 0x480, v0
	s_mov_b32 s2, exec_lo
	s_delay_alu instid0(VALU_DEP_1)
	v_cmpx_gt_u32_e64 s11, v41
	s_cbranch_execz .LBB305_105
; %bb.104:
	v_add_co_u32 v41, vcc_lo, 0x2000, v73
	v_add_co_ci_u32_e32 v42, vcc_lo, 0, v74, vcc_lo
	s_waitcnt lgkmcnt(9)
	global_store_b64 v[41:42], v[37:38], off offset:1024
.LBB305_105:
	s_or_b32 exec_lo, exec_lo, s2
	s_waitcnt lgkmcnt(9)
	v_or_b32_e32 v37, 0x500, v0
	s_mov_b32 s2, exec_lo
	s_delay_alu instid0(VALU_DEP_1)
	v_cmpx_gt_u32_e64 s11, v37
	s_cbranch_execz .LBB305_107
; %bb.106:
	v_add_co_u32 v37, vcc_lo, 0x2000, v73
	v_add_co_ci_u32_e32 v38, vcc_lo, 0, v74, vcc_lo
	global_store_b64 v[37:38], v[39:40], off offset:2048
.LBB305_107:
	s_or_b32 exec_lo, exec_lo, s2
	v_or_b32_e32 v37, 0x580, v0
	s_mov_b32 s2, exec_lo
	s_delay_alu instid0(VALU_DEP_1)
	v_cmpx_gt_u32_e64 s11, v37
	s_cbranch_execz .LBB305_109
; %bb.108:
	v_add_co_u32 v37, vcc_lo, 0x2000, v73
	v_add_co_ci_u32_e32 v38, vcc_lo, 0, v74, vcc_lo
	s_waitcnt lgkmcnt(8)
	global_store_b64 v[37:38], v[33:34], off offset:3072
.LBB305_109:
	;; [unrolled: 48-line block ×6, first 2 shown]
	s_or_b32 exec_lo, exec_lo, s2
	s_waitcnt lgkmcnt(0)
	v_or_b32_e32 v1, 0xe00, v0
	s_delay_alu instid0(VALU_DEP_1)
	v_cmp_gt_u32_e64 s2, s11, v1
	s_branch .LBB305_144
.LBB305_142:
	s_mov_b32 s2, 0
                                        ; implicit-def: $vgpr3_vgpr4
                                        ; implicit-def: $vgpr73_vgpr74
	s_cbranch_execz .LBB305_144
; %bb.143:
	v_mad_u32_u24 v0, 0xe8, v0, v119
	ds_store_2addr_b64 v118, v[59:60], v[115:116] offset1:1
	ds_store_2addr_b64 v118, v[109:110], v[113:114] offset0:2 offset1:3
	ds_store_2addr_b64 v118, v[103:104], v[111:112] offset0:4 offset1:5
	;; [unrolled: 1-line block ×13, first 2 shown]
	ds_store_b64 v118, v[57:58] offset:224
	s_waitcnt lgkmcnt(0)
	s_waitcnt_vscnt null, 0x0
	s_barrier
	buffer_gl0_inv
	ds_load_2addr_stride64_b64 v[5:8], v0 offset1:2
	s_mov_b32 s5, 0
	ds_load_2addr_stride64_b64 v[9:12], v0 offset0:4 offset1:6
	ds_load_2addr_stride64_b64 v[13:16], v0 offset0:8 offset1:10
	;; [unrolled: 1-line block ×13, first 2 shown]
	ds_load_b64 v[3:4], v0 offset:28672
	s_lshl_b64 s[4:5], s[4:5], 3
	s_delay_alu instid0(SALU_CYCLE_1) | instskip(SKIP_2) | instid1(VALU_DEP_1)
	s_add_u32 s4, s1, s4
	s_addc_u32 s5, s0, s5
	v_add_co_u32 v73, s0, s4, v117
	v_add_co_ci_u32_e64 v74, null, s5, 0, s0
	s_or_b32 s2, s2, exec_lo
	s_delay_alu instid0(VALU_DEP_2) | instskip(NEXT) | instid1(VALU_DEP_2)
	v_add_co_u32 v0, vcc_lo, 0x1000, v73
	v_add_co_ci_u32_e32 v1, vcc_lo, 0, v74, vcc_lo
	s_waitcnt lgkmcnt(14)
	s_clause 0x1
	global_store_b64 v117, v[5:6], s[4:5]
	global_store_b64 v117, v[7:8], s[4:5] offset:1024
	s_waitcnt lgkmcnt(13)
	s_clause 0x1
	global_store_b64 v117, v[9:10], s[4:5] offset:2048
	global_store_b64 v117, v[11:12], s[4:5] offset:3072
	v_add_co_u32 v5, vcc_lo, v73, 0x2000
	v_add_co_ci_u32_e32 v6, vcc_lo, 0, v74, vcc_lo
	v_add_co_u32 v7, vcc_lo, 0x2000, v73
	v_add_co_ci_u32_e32 v8, vcc_lo, 0, v74, vcc_lo
	s_waitcnt lgkmcnt(10)
	s_clause 0x4
	global_store_b64 v[5:6], v[21:22], off
	global_store_b64 v[0:1], v[15:16], off offset:1024
	global_store_b64 v[0:1], v[17:18], off offset:2048
	;; [unrolled: 1-line block ×4, first 2 shown]
	v_add_co_u32 v0, vcc_lo, 0x3000, v73
	v_add_co_ci_u32_e32 v1, vcc_lo, 0, v74, vcc_lo
	v_add_co_u32 v9, vcc_lo, v73, 0x4000
	v_add_co_ci_u32_e32 v10, vcc_lo, 0, v74, vcc_lo
	v_add_co_u32 v11, vcc_lo, 0x4000, v73
	v_add_co_ci_u32_e32 v12, vcc_lo, 0, v74, vcc_lo
	s_waitcnt lgkmcnt(9)
	s_clause 0x1
	global_store_b64 v[7:8], v[25:26], off offset:2048
	global_store_b64 v[7:8], v[27:28], off offset:3072
	s_waitcnt lgkmcnt(8)
	global_store_b64 v[0:1], v[31:32], off offset:1024
	s_waitcnt lgkmcnt(7)
	s_clause 0x1
	global_store_b64 v[0:1], v[33:34], off offset:2048
	global_store_b64 v[0:1], v[35:36], off offset:3072
	s_waitcnt lgkmcnt(6)
	global_store_b64 v[11:12], v[39:40], off offset:1024
	s_waitcnt lgkmcnt(5)
	s_clause 0x1
	global_store_b64 v[11:12], v[41:42], off offset:2048
	global_store_b64 v[11:12], v[43:44], off offset:3072
	v_add_co_u32 v0, vcc_lo, 0x5000, v73
	v_add_co_ci_u32_e32 v1, vcc_lo, 0, v74, vcc_lo
	v_add_co_u32 v7, vcc_lo, v73, 0x6000
	v_add_co_ci_u32_e32 v8, vcc_lo, 0, v74, vcc_lo
	;; [unrolled: 2-line block ×3, first 2 shown]
	s_clause 0x1
	global_store_b64 v[9:10], v[29:30], off offset:-4096
	global_store_b64 v[9:10], v[37:38], off
	s_waitcnt lgkmcnt(4)
	global_store_b64 v[7:8], v[45:46], off offset:-4096
	s_waitcnt lgkmcnt(2)
	s_clause 0x4
	global_store_b64 v[7:8], v[53:54], off
	global_store_b64 v[0:1], v[47:48], off offset:1024
	global_store_b64 v[0:1], v[49:50], off offset:2048
	;; [unrolled: 1-line block ×4, first 2 shown]
	s_waitcnt lgkmcnt(1)
	s_clause 0x2
	global_store_b64 v[11:12], v[57:58], off offset:2048
	global_store_b64 v[5:6], v[13:14], off offset:-4096
	global_store_b64 v[11:12], v[59:60], off offset:3072
.LBB305_144:
	s_delay_alu instid0(VALU_DEP_1)
	s_and_saveexec_b32 s0, s2
	s_cbranch_execnz .LBB305_146
; %bb.145:
	s_nop 0
	s_sendmsg sendmsg(MSG_DEALLOC_VGPRS)
	s_endpgm
.LBB305_146:
	v_add_co_u32 v0, vcc_lo, 0x7000, v73
	v_add_co_ci_u32_e32 v1, vcc_lo, 0, v74, vcc_lo
	s_waitcnt lgkmcnt(0)
	global_store_b64 v[0:1], v[3:4], off
	s_nop 0
	s_sendmsg sendmsg(MSG_DEALLOC_VGPRS)
	s_endpgm
	.section	.rodata,"a",@progbits
	.p2align	6, 0x0
	.amdhsa_kernel _ZN7rocprim17ROCPRIM_400000_NS6detail17trampoline_kernelINS0_14default_configENS1_35adjacent_difference_config_selectorILb1ExEEZNS1_24adjacent_difference_implIS3_Lb1ELb0EPxS7_N6thrust23THRUST_200600_302600_NS4plusIxEEEE10hipError_tPvRmT2_T3_mT4_P12ihipStream_tbEUlT_E_NS1_11comp_targetILNS1_3genE9ELNS1_11target_archE1100ELNS1_3gpuE3ELNS1_3repE0EEENS1_30default_config_static_selectorELNS0_4arch9wavefront6targetE0EEEvT1_
		.amdhsa_group_segment_fixed_size 29696
		.amdhsa_private_segment_fixed_size 0
		.amdhsa_kernarg_size 56
		.amdhsa_user_sgpr_count 15
		.amdhsa_user_sgpr_dispatch_ptr 0
		.amdhsa_user_sgpr_queue_ptr 0
		.amdhsa_user_sgpr_kernarg_segment_ptr 1
		.amdhsa_user_sgpr_dispatch_id 0
		.amdhsa_user_sgpr_private_segment_size 0
		.amdhsa_wavefront_size32 1
		.amdhsa_uses_dynamic_stack 0
		.amdhsa_enable_private_segment 0
		.amdhsa_system_sgpr_workgroup_id_x 1
		.amdhsa_system_sgpr_workgroup_id_y 0
		.amdhsa_system_sgpr_workgroup_id_z 0
		.amdhsa_system_sgpr_workgroup_info 0
		.amdhsa_system_vgpr_workitem_id 0
		.amdhsa_next_free_vgpr 122
		.amdhsa_next_free_sgpr 26
		.amdhsa_reserve_vcc 1
		.amdhsa_float_round_mode_32 0
		.amdhsa_float_round_mode_16_64 0
		.amdhsa_float_denorm_mode_32 3
		.amdhsa_float_denorm_mode_16_64 3
		.amdhsa_dx10_clamp 1
		.amdhsa_ieee_mode 1
		.amdhsa_fp16_overflow 0
		.amdhsa_workgroup_processor_mode 1
		.amdhsa_memory_ordered 1
		.amdhsa_forward_progress 0
		.amdhsa_shared_vgpr_count 0
		.amdhsa_exception_fp_ieee_invalid_op 0
		.amdhsa_exception_fp_denorm_src 0
		.amdhsa_exception_fp_ieee_div_zero 0
		.amdhsa_exception_fp_ieee_overflow 0
		.amdhsa_exception_fp_ieee_underflow 0
		.amdhsa_exception_fp_ieee_inexact 0
		.amdhsa_exception_int_div_zero 0
	.end_amdhsa_kernel
	.section	.text._ZN7rocprim17ROCPRIM_400000_NS6detail17trampoline_kernelINS0_14default_configENS1_35adjacent_difference_config_selectorILb1ExEEZNS1_24adjacent_difference_implIS3_Lb1ELb0EPxS7_N6thrust23THRUST_200600_302600_NS4plusIxEEEE10hipError_tPvRmT2_T3_mT4_P12ihipStream_tbEUlT_E_NS1_11comp_targetILNS1_3genE9ELNS1_11target_archE1100ELNS1_3gpuE3ELNS1_3repE0EEENS1_30default_config_static_selectorELNS0_4arch9wavefront6targetE0EEEvT1_,"axG",@progbits,_ZN7rocprim17ROCPRIM_400000_NS6detail17trampoline_kernelINS0_14default_configENS1_35adjacent_difference_config_selectorILb1ExEEZNS1_24adjacent_difference_implIS3_Lb1ELb0EPxS7_N6thrust23THRUST_200600_302600_NS4plusIxEEEE10hipError_tPvRmT2_T3_mT4_P12ihipStream_tbEUlT_E_NS1_11comp_targetILNS1_3genE9ELNS1_11target_archE1100ELNS1_3gpuE3ELNS1_3repE0EEENS1_30default_config_static_selectorELNS0_4arch9wavefront6targetE0EEEvT1_,comdat
.Lfunc_end305:
	.size	_ZN7rocprim17ROCPRIM_400000_NS6detail17trampoline_kernelINS0_14default_configENS1_35adjacent_difference_config_selectorILb1ExEEZNS1_24adjacent_difference_implIS3_Lb1ELb0EPxS7_N6thrust23THRUST_200600_302600_NS4plusIxEEEE10hipError_tPvRmT2_T3_mT4_P12ihipStream_tbEUlT_E_NS1_11comp_targetILNS1_3genE9ELNS1_11target_archE1100ELNS1_3gpuE3ELNS1_3repE0EEENS1_30default_config_static_selectorELNS0_4arch9wavefront6targetE0EEEvT1_, .Lfunc_end305-_ZN7rocprim17ROCPRIM_400000_NS6detail17trampoline_kernelINS0_14default_configENS1_35adjacent_difference_config_selectorILb1ExEEZNS1_24adjacent_difference_implIS3_Lb1ELb0EPxS7_N6thrust23THRUST_200600_302600_NS4plusIxEEEE10hipError_tPvRmT2_T3_mT4_P12ihipStream_tbEUlT_E_NS1_11comp_targetILNS1_3genE9ELNS1_11target_archE1100ELNS1_3gpuE3ELNS1_3repE0EEENS1_30default_config_static_selectorELNS0_4arch9wavefront6targetE0EEEvT1_
                                        ; -- End function
	.section	.AMDGPU.csdata,"",@progbits
; Kernel info:
; codeLenInByte = 8252
; NumSgprs: 28
; NumVgprs: 122
; ScratchSize: 0
; MemoryBound: 0
; FloatMode: 240
; IeeeMode: 1
; LDSByteSize: 29696 bytes/workgroup (compile time only)
; SGPRBlocks: 3
; VGPRBlocks: 15
; NumSGPRsForWavesPerEU: 28
; NumVGPRsForWavesPerEU: 122
; Occupancy: 4
; WaveLimiterHint : 1
; COMPUTE_PGM_RSRC2:SCRATCH_EN: 0
; COMPUTE_PGM_RSRC2:USER_SGPR: 15
; COMPUTE_PGM_RSRC2:TRAP_HANDLER: 0
; COMPUTE_PGM_RSRC2:TGID_X_EN: 1
; COMPUTE_PGM_RSRC2:TGID_Y_EN: 0
; COMPUTE_PGM_RSRC2:TGID_Z_EN: 0
; COMPUTE_PGM_RSRC2:TIDIG_COMP_CNT: 0
	.section	.text._ZN7rocprim17ROCPRIM_400000_NS6detail17trampoline_kernelINS0_14default_configENS1_35adjacent_difference_config_selectorILb1ExEEZNS1_24adjacent_difference_implIS3_Lb1ELb0EPxS7_N6thrust23THRUST_200600_302600_NS4plusIxEEEE10hipError_tPvRmT2_T3_mT4_P12ihipStream_tbEUlT_E_NS1_11comp_targetILNS1_3genE8ELNS1_11target_archE1030ELNS1_3gpuE2ELNS1_3repE0EEENS1_30default_config_static_selectorELNS0_4arch9wavefront6targetE0EEEvT1_,"axG",@progbits,_ZN7rocprim17ROCPRIM_400000_NS6detail17trampoline_kernelINS0_14default_configENS1_35adjacent_difference_config_selectorILb1ExEEZNS1_24adjacent_difference_implIS3_Lb1ELb0EPxS7_N6thrust23THRUST_200600_302600_NS4plusIxEEEE10hipError_tPvRmT2_T3_mT4_P12ihipStream_tbEUlT_E_NS1_11comp_targetILNS1_3genE8ELNS1_11target_archE1030ELNS1_3gpuE2ELNS1_3repE0EEENS1_30default_config_static_selectorELNS0_4arch9wavefront6targetE0EEEvT1_,comdat
	.protected	_ZN7rocprim17ROCPRIM_400000_NS6detail17trampoline_kernelINS0_14default_configENS1_35adjacent_difference_config_selectorILb1ExEEZNS1_24adjacent_difference_implIS3_Lb1ELb0EPxS7_N6thrust23THRUST_200600_302600_NS4plusIxEEEE10hipError_tPvRmT2_T3_mT4_P12ihipStream_tbEUlT_E_NS1_11comp_targetILNS1_3genE8ELNS1_11target_archE1030ELNS1_3gpuE2ELNS1_3repE0EEENS1_30default_config_static_selectorELNS0_4arch9wavefront6targetE0EEEvT1_ ; -- Begin function _ZN7rocprim17ROCPRIM_400000_NS6detail17trampoline_kernelINS0_14default_configENS1_35adjacent_difference_config_selectorILb1ExEEZNS1_24adjacent_difference_implIS3_Lb1ELb0EPxS7_N6thrust23THRUST_200600_302600_NS4plusIxEEEE10hipError_tPvRmT2_T3_mT4_P12ihipStream_tbEUlT_E_NS1_11comp_targetILNS1_3genE8ELNS1_11target_archE1030ELNS1_3gpuE2ELNS1_3repE0EEENS1_30default_config_static_selectorELNS0_4arch9wavefront6targetE0EEEvT1_
	.globl	_ZN7rocprim17ROCPRIM_400000_NS6detail17trampoline_kernelINS0_14default_configENS1_35adjacent_difference_config_selectorILb1ExEEZNS1_24adjacent_difference_implIS3_Lb1ELb0EPxS7_N6thrust23THRUST_200600_302600_NS4plusIxEEEE10hipError_tPvRmT2_T3_mT4_P12ihipStream_tbEUlT_E_NS1_11comp_targetILNS1_3genE8ELNS1_11target_archE1030ELNS1_3gpuE2ELNS1_3repE0EEENS1_30default_config_static_selectorELNS0_4arch9wavefront6targetE0EEEvT1_
	.p2align	8
	.type	_ZN7rocprim17ROCPRIM_400000_NS6detail17trampoline_kernelINS0_14default_configENS1_35adjacent_difference_config_selectorILb1ExEEZNS1_24adjacent_difference_implIS3_Lb1ELb0EPxS7_N6thrust23THRUST_200600_302600_NS4plusIxEEEE10hipError_tPvRmT2_T3_mT4_P12ihipStream_tbEUlT_E_NS1_11comp_targetILNS1_3genE8ELNS1_11target_archE1030ELNS1_3gpuE2ELNS1_3repE0EEENS1_30default_config_static_selectorELNS0_4arch9wavefront6targetE0EEEvT1_,@function
_ZN7rocprim17ROCPRIM_400000_NS6detail17trampoline_kernelINS0_14default_configENS1_35adjacent_difference_config_selectorILb1ExEEZNS1_24adjacent_difference_implIS3_Lb1ELb0EPxS7_N6thrust23THRUST_200600_302600_NS4plusIxEEEE10hipError_tPvRmT2_T3_mT4_P12ihipStream_tbEUlT_E_NS1_11comp_targetILNS1_3genE8ELNS1_11target_archE1030ELNS1_3gpuE2ELNS1_3repE0EEENS1_30default_config_static_selectorELNS0_4arch9wavefront6targetE0EEEvT1_: ; @_ZN7rocprim17ROCPRIM_400000_NS6detail17trampoline_kernelINS0_14default_configENS1_35adjacent_difference_config_selectorILb1ExEEZNS1_24adjacent_difference_implIS3_Lb1ELb0EPxS7_N6thrust23THRUST_200600_302600_NS4plusIxEEEE10hipError_tPvRmT2_T3_mT4_P12ihipStream_tbEUlT_E_NS1_11comp_targetILNS1_3genE8ELNS1_11target_archE1030ELNS1_3gpuE2ELNS1_3repE0EEENS1_30default_config_static_selectorELNS0_4arch9wavefront6targetE0EEEvT1_
; %bb.0:
	.section	.rodata,"a",@progbits
	.p2align	6, 0x0
	.amdhsa_kernel _ZN7rocprim17ROCPRIM_400000_NS6detail17trampoline_kernelINS0_14default_configENS1_35adjacent_difference_config_selectorILb1ExEEZNS1_24adjacent_difference_implIS3_Lb1ELb0EPxS7_N6thrust23THRUST_200600_302600_NS4plusIxEEEE10hipError_tPvRmT2_T3_mT4_P12ihipStream_tbEUlT_E_NS1_11comp_targetILNS1_3genE8ELNS1_11target_archE1030ELNS1_3gpuE2ELNS1_3repE0EEENS1_30default_config_static_selectorELNS0_4arch9wavefront6targetE0EEEvT1_
		.amdhsa_group_segment_fixed_size 0
		.amdhsa_private_segment_fixed_size 0
		.amdhsa_kernarg_size 56
		.amdhsa_user_sgpr_count 15
		.amdhsa_user_sgpr_dispatch_ptr 0
		.amdhsa_user_sgpr_queue_ptr 0
		.amdhsa_user_sgpr_kernarg_segment_ptr 1
		.amdhsa_user_sgpr_dispatch_id 0
		.amdhsa_user_sgpr_private_segment_size 0
		.amdhsa_wavefront_size32 1
		.amdhsa_uses_dynamic_stack 0
		.amdhsa_enable_private_segment 0
		.amdhsa_system_sgpr_workgroup_id_x 1
		.amdhsa_system_sgpr_workgroup_id_y 0
		.amdhsa_system_sgpr_workgroup_id_z 0
		.amdhsa_system_sgpr_workgroup_info 0
		.amdhsa_system_vgpr_workitem_id 0
		.amdhsa_next_free_vgpr 1
		.amdhsa_next_free_sgpr 1
		.amdhsa_reserve_vcc 0
		.amdhsa_float_round_mode_32 0
		.amdhsa_float_round_mode_16_64 0
		.amdhsa_float_denorm_mode_32 3
		.amdhsa_float_denorm_mode_16_64 3
		.amdhsa_dx10_clamp 1
		.amdhsa_ieee_mode 1
		.amdhsa_fp16_overflow 0
		.amdhsa_workgroup_processor_mode 1
		.amdhsa_memory_ordered 1
		.amdhsa_forward_progress 0
		.amdhsa_shared_vgpr_count 0
		.amdhsa_exception_fp_ieee_invalid_op 0
		.amdhsa_exception_fp_denorm_src 0
		.amdhsa_exception_fp_ieee_div_zero 0
		.amdhsa_exception_fp_ieee_overflow 0
		.amdhsa_exception_fp_ieee_underflow 0
		.amdhsa_exception_fp_ieee_inexact 0
		.amdhsa_exception_int_div_zero 0
	.end_amdhsa_kernel
	.section	.text._ZN7rocprim17ROCPRIM_400000_NS6detail17trampoline_kernelINS0_14default_configENS1_35adjacent_difference_config_selectorILb1ExEEZNS1_24adjacent_difference_implIS3_Lb1ELb0EPxS7_N6thrust23THRUST_200600_302600_NS4plusIxEEEE10hipError_tPvRmT2_T3_mT4_P12ihipStream_tbEUlT_E_NS1_11comp_targetILNS1_3genE8ELNS1_11target_archE1030ELNS1_3gpuE2ELNS1_3repE0EEENS1_30default_config_static_selectorELNS0_4arch9wavefront6targetE0EEEvT1_,"axG",@progbits,_ZN7rocprim17ROCPRIM_400000_NS6detail17trampoline_kernelINS0_14default_configENS1_35adjacent_difference_config_selectorILb1ExEEZNS1_24adjacent_difference_implIS3_Lb1ELb0EPxS7_N6thrust23THRUST_200600_302600_NS4plusIxEEEE10hipError_tPvRmT2_T3_mT4_P12ihipStream_tbEUlT_E_NS1_11comp_targetILNS1_3genE8ELNS1_11target_archE1030ELNS1_3gpuE2ELNS1_3repE0EEENS1_30default_config_static_selectorELNS0_4arch9wavefront6targetE0EEEvT1_,comdat
.Lfunc_end306:
	.size	_ZN7rocprim17ROCPRIM_400000_NS6detail17trampoline_kernelINS0_14default_configENS1_35adjacent_difference_config_selectorILb1ExEEZNS1_24adjacent_difference_implIS3_Lb1ELb0EPxS7_N6thrust23THRUST_200600_302600_NS4plusIxEEEE10hipError_tPvRmT2_T3_mT4_P12ihipStream_tbEUlT_E_NS1_11comp_targetILNS1_3genE8ELNS1_11target_archE1030ELNS1_3gpuE2ELNS1_3repE0EEENS1_30default_config_static_selectorELNS0_4arch9wavefront6targetE0EEEvT1_, .Lfunc_end306-_ZN7rocprim17ROCPRIM_400000_NS6detail17trampoline_kernelINS0_14default_configENS1_35adjacent_difference_config_selectorILb1ExEEZNS1_24adjacent_difference_implIS3_Lb1ELb0EPxS7_N6thrust23THRUST_200600_302600_NS4plusIxEEEE10hipError_tPvRmT2_T3_mT4_P12ihipStream_tbEUlT_E_NS1_11comp_targetILNS1_3genE8ELNS1_11target_archE1030ELNS1_3gpuE2ELNS1_3repE0EEENS1_30default_config_static_selectorELNS0_4arch9wavefront6targetE0EEEvT1_
                                        ; -- End function
	.section	.AMDGPU.csdata,"",@progbits
; Kernel info:
; codeLenInByte = 0
; NumSgprs: 0
; NumVgprs: 0
; ScratchSize: 0
; MemoryBound: 0
; FloatMode: 240
; IeeeMode: 1
; LDSByteSize: 0 bytes/workgroup (compile time only)
; SGPRBlocks: 0
; VGPRBlocks: 0
; NumSGPRsForWavesPerEU: 1
; NumVGPRsForWavesPerEU: 1
; Occupancy: 16
; WaveLimiterHint : 0
; COMPUTE_PGM_RSRC2:SCRATCH_EN: 0
; COMPUTE_PGM_RSRC2:USER_SGPR: 15
; COMPUTE_PGM_RSRC2:TRAP_HANDLER: 0
; COMPUTE_PGM_RSRC2:TGID_X_EN: 1
; COMPUTE_PGM_RSRC2:TGID_Y_EN: 0
; COMPUTE_PGM_RSRC2:TGID_Z_EN: 0
; COMPUTE_PGM_RSRC2:TIDIG_COMP_CNT: 0
	.section	.text._ZN7rocprim17ROCPRIM_400000_NS6detail17trampoline_kernelINS0_14default_configENS1_35adjacent_difference_config_selectorILb0EiEEZNS1_24adjacent_difference_implIS3_Lb0ELb0EPiS7_N6thrust23THRUST_200600_302600_NS5minusIiEEEE10hipError_tPvRmT2_T3_mT4_P12ihipStream_tbEUlT_E_NS1_11comp_targetILNS1_3genE0ELNS1_11target_archE4294967295ELNS1_3gpuE0ELNS1_3repE0EEENS1_30default_config_static_selectorELNS0_4arch9wavefront6targetE0EEEvT1_,"axG",@progbits,_ZN7rocprim17ROCPRIM_400000_NS6detail17trampoline_kernelINS0_14default_configENS1_35adjacent_difference_config_selectorILb0EiEEZNS1_24adjacent_difference_implIS3_Lb0ELb0EPiS7_N6thrust23THRUST_200600_302600_NS5minusIiEEEE10hipError_tPvRmT2_T3_mT4_P12ihipStream_tbEUlT_E_NS1_11comp_targetILNS1_3genE0ELNS1_11target_archE4294967295ELNS1_3gpuE0ELNS1_3repE0EEENS1_30default_config_static_selectorELNS0_4arch9wavefront6targetE0EEEvT1_,comdat
	.protected	_ZN7rocprim17ROCPRIM_400000_NS6detail17trampoline_kernelINS0_14default_configENS1_35adjacent_difference_config_selectorILb0EiEEZNS1_24adjacent_difference_implIS3_Lb0ELb0EPiS7_N6thrust23THRUST_200600_302600_NS5minusIiEEEE10hipError_tPvRmT2_T3_mT4_P12ihipStream_tbEUlT_E_NS1_11comp_targetILNS1_3genE0ELNS1_11target_archE4294967295ELNS1_3gpuE0ELNS1_3repE0EEENS1_30default_config_static_selectorELNS0_4arch9wavefront6targetE0EEEvT1_ ; -- Begin function _ZN7rocprim17ROCPRIM_400000_NS6detail17trampoline_kernelINS0_14default_configENS1_35adjacent_difference_config_selectorILb0EiEEZNS1_24adjacent_difference_implIS3_Lb0ELb0EPiS7_N6thrust23THRUST_200600_302600_NS5minusIiEEEE10hipError_tPvRmT2_T3_mT4_P12ihipStream_tbEUlT_E_NS1_11comp_targetILNS1_3genE0ELNS1_11target_archE4294967295ELNS1_3gpuE0ELNS1_3repE0EEENS1_30default_config_static_selectorELNS0_4arch9wavefront6targetE0EEEvT1_
	.globl	_ZN7rocprim17ROCPRIM_400000_NS6detail17trampoline_kernelINS0_14default_configENS1_35adjacent_difference_config_selectorILb0EiEEZNS1_24adjacent_difference_implIS3_Lb0ELb0EPiS7_N6thrust23THRUST_200600_302600_NS5minusIiEEEE10hipError_tPvRmT2_T3_mT4_P12ihipStream_tbEUlT_E_NS1_11comp_targetILNS1_3genE0ELNS1_11target_archE4294967295ELNS1_3gpuE0ELNS1_3repE0EEENS1_30default_config_static_selectorELNS0_4arch9wavefront6targetE0EEEvT1_
	.p2align	8
	.type	_ZN7rocprim17ROCPRIM_400000_NS6detail17trampoline_kernelINS0_14default_configENS1_35adjacent_difference_config_selectorILb0EiEEZNS1_24adjacent_difference_implIS3_Lb0ELb0EPiS7_N6thrust23THRUST_200600_302600_NS5minusIiEEEE10hipError_tPvRmT2_T3_mT4_P12ihipStream_tbEUlT_E_NS1_11comp_targetILNS1_3genE0ELNS1_11target_archE4294967295ELNS1_3gpuE0ELNS1_3repE0EEENS1_30default_config_static_selectorELNS0_4arch9wavefront6targetE0EEEvT1_,@function
_ZN7rocprim17ROCPRIM_400000_NS6detail17trampoline_kernelINS0_14default_configENS1_35adjacent_difference_config_selectorILb0EiEEZNS1_24adjacent_difference_implIS3_Lb0ELb0EPiS7_N6thrust23THRUST_200600_302600_NS5minusIiEEEE10hipError_tPvRmT2_T3_mT4_P12ihipStream_tbEUlT_E_NS1_11comp_targetILNS1_3genE0ELNS1_11target_archE4294967295ELNS1_3gpuE0ELNS1_3repE0EEENS1_30default_config_static_selectorELNS0_4arch9wavefront6targetE0EEEvT1_: ; @_ZN7rocprim17ROCPRIM_400000_NS6detail17trampoline_kernelINS0_14default_configENS1_35adjacent_difference_config_selectorILb0EiEEZNS1_24adjacent_difference_implIS3_Lb0ELb0EPiS7_N6thrust23THRUST_200600_302600_NS5minusIiEEEE10hipError_tPvRmT2_T3_mT4_P12ihipStream_tbEUlT_E_NS1_11comp_targetILNS1_3genE0ELNS1_11target_archE4294967295ELNS1_3gpuE0ELNS1_3repE0EEENS1_30default_config_static_selectorELNS0_4arch9wavefront6targetE0EEEvT1_
; %bb.0:
	.section	.rodata,"a",@progbits
	.p2align	6, 0x0
	.amdhsa_kernel _ZN7rocprim17ROCPRIM_400000_NS6detail17trampoline_kernelINS0_14default_configENS1_35adjacent_difference_config_selectorILb0EiEEZNS1_24adjacent_difference_implIS3_Lb0ELb0EPiS7_N6thrust23THRUST_200600_302600_NS5minusIiEEEE10hipError_tPvRmT2_T3_mT4_P12ihipStream_tbEUlT_E_NS1_11comp_targetILNS1_3genE0ELNS1_11target_archE4294967295ELNS1_3gpuE0ELNS1_3repE0EEENS1_30default_config_static_selectorELNS0_4arch9wavefront6targetE0EEEvT1_
		.amdhsa_group_segment_fixed_size 0
		.amdhsa_private_segment_fixed_size 0
		.amdhsa_kernarg_size 56
		.amdhsa_user_sgpr_count 15
		.amdhsa_user_sgpr_dispatch_ptr 0
		.amdhsa_user_sgpr_queue_ptr 0
		.amdhsa_user_sgpr_kernarg_segment_ptr 1
		.amdhsa_user_sgpr_dispatch_id 0
		.amdhsa_user_sgpr_private_segment_size 0
		.amdhsa_wavefront_size32 1
		.amdhsa_uses_dynamic_stack 0
		.amdhsa_enable_private_segment 0
		.amdhsa_system_sgpr_workgroup_id_x 1
		.amdhsa_system_sgpr_workgroup_id_y 0
		.amdhsa_system_sgpr_workgroup_id_z 0
		.amdhsa_system_sgpr_workgroup_info 0
		.amdhsa_system_vgpr_workitem_id 0
		.amdhsa_next_free_vgpr 1
		.amdhsa_next_free_sgpr 1
		.amdhsa_reserve_vcc 0
		.amdhsa_float_round_mode_32 0
		.amdhsa_float_round_mode_16_64 0
		.amdhsa_float_denorm_mode_32 3
		.amdhsa_float_denorm_mode_16_64 3
		.amdhsa_dx10_clamp 1
		.amdhsa_ieee_mode 1
		.amdhsa_fp16_overflow 0
		.amdhsa_workgroup_processor_mode 1
		.amdhsa_memory_ordered 1
		.amdhsa_forward_progress 0
		.amdhsa_shared_vgpr_count 0
		.amdhsa_exception_fp_ieee_invalid_op 0
		.amdhsa_exception_fp_denorm_src 0
		.amdhsa_exception_fp_ieee_div_zero 0
		.amdhsa_exception_fp_ieee_overflow 0
		.amdhsa_exception_fp_ieee_underflow 0
		.amdhsa_exception_fp_ieee_inexact 0
		.amdhsa_exception_int_div_zero 0
	.end_amdhsa_kernel
	.section	.text._ZN7rocprim17ROCPRIM_400000_NS6detail17trampoline_kernelINS0_14default_configENS1_35adjacent_difference_config_selectorILb0EiEEZNS1_24adjacent_difference_implIS3_Lb0ELb0EPiS7_N6thrust23THRUST_200600_302600_NS5minusIiEEEE10hipError_tPvRmT2_T3_mT4_P12ihipStream_tbEUlT_E_NS1_11comp_targetILNS1_3genE0ELNS1_11target_archE4294967295ELNS1_3gpuE0ELNS1_3repE0EEENS1_30default_config_static_selectorELNS0_4arch9wavefront6targetE0EEEvT1_,"axG",@progbits,_ZN7rocprim17ROCPRIM_400000_NS6detail17trampoline_kernelINS0_14default_configENS1_35adjacent_difference_config_selectorILb0EiEEZNS1_24adjacent_difference_implIS3_Lb0ELb0EPiS7_N6thrust23THRUST_200600_302600_NS5minusIiEEEE10hipError_tPvRmT2_T3_mT4_P12ihipStream_tbEUlT_E_NS1_11comp_targetILNS1_3genE0ELNS1_11target_archE4294967295ELNS1_3gpuE0ELNS1_3repE0EEENS1_30default_config_static_selectorELNS0_4arch9wavefront6targetE0EEEvT1_,comdat
.Lfunc_end307:
	.size	_ZN7rocprim17ROCPRIM_400000_NS6detail17trampoline_kernelINS0_14default_configENS1_35adjacent_difference_config_selectorILb0EiEEZNS1_24adjacent_difference_implIS3_Lb0ELb0EPiS7_N6thrust23THRUST_200600_302600_NS5minusIiEEEE10hipError_tPvRmT2_T3_mT4_P12ihipStream_tbEUlT_E_NS1_11comp_targetILNS1_3genE0ELNS1_11target_archE4294967295ELNS1_3gpuE0ELNS1_3repE0EEENS1_30default_config_static_selectorELNS0_4arch9wavefront6targetE0EEEvT1_, .Lfunc_end307-_ZN7rocprim17ROCPRIM_400000_NS6detail17trampoline_kernelINS0_14default_configENS1_35adjacent_difference_config_selectorILb0EiEEZNS1_24adjacent_difference_implIS3_Lb0ELb0EPiS7_N6thrust23THRUST_200600_302600_NS5minusIiEEEE10hipError_tPvRmT2_T3_mT4_P12ihipStream_tbEUlT_E_NS1_11comp_targetILNS1_3genE0ELNS1_11target_archE4294967295ELNS1_3gpuE0ELNS1_3repE0EEENS1_30default_config_static_selectorELNS0_4arch9wavefront6targetE0EEEvT1_
                                        ; -- End function
	.section	.AMDGPU.csdata,"",@progbits
; Kernel info:
; codeLenInByte = 0
; NumSgprs: 0
; NumVgprs: 0
; ScratchSize: 0
; MemoryBound: 0
; FloatMode: 240
; IeeeMode: 1
; LDSByteSize: 0 bytes/workgroup (compile time only)
; SGPRBlocks: 0
; VGPRBlocks: 0
; NumSGPRsForWavesPerEU: 1
; NumVGPRsForWavesPerEU: 1
; Occupancy: 16
; WaveLimiterHint : 0
; COMPUTE_PGM_RSRC2:SCRATCH_EN: 0
; COMPUTE_PGM_RSRC2:USER_SGPR: 15
; COMPUTE_PGM_RSRC2:TRAP_HANDLER: 0
; COMPUTE_PGM_RSRC2:TGID_X_EN: 1
; COMPUTE_PGM_RSRC2:TGID_Y_EN: 0
; COMPUTE_PGM_RSRC2:TGID_Z_EN: 0
; COMPUTE_PGM_RSRC2:TIDIG_COMP_CNT: 0
	.section	.text._ZN7rocprim17ROCPRIM_400000_NS6detail17trampoline_kernelINS0_14default_configENS1_35adjacent_difference_config_selectorILb0EiEEZNS1_24adjacent_difference_implIS3_Lb0ELb0EPiS7_N6thrust23THRUST_200600_302600_NS5minusIiEEEE10hipError_tPvRmT2_T3_mT4_P12ihipStream_tbEUlT_E_NS1_11comp_targetILNS1_3genE10ELNS1_11target_archE1201ELNS1_3gpuE5ELNS1_3repE0EEENS1_30default_config_static_selectorELNS0_4arch9wavefront6targetE0EEEvT1_,"axG",@progbits,_ZN7rocprim17ROCPRIM_400000_NS6detail17trampoline_kernelINS0_14default_configENS1_35adjacent_difference_config_selectorILb0EiEEZNS1_24adjacent_difference_implIS3_Lb0ELb0EPiS7_N6thrust23THRUST_200600_302600_NS5minusIiEEEE10hipError_tPvRmT2_T3_mT4_P12ihipStream_tbEUlT_E_NS1_11comp_targetILNS1_3genE10ELNS1_11target_archE1201ELNS1_3gpuE5ELNS1_3repE0EEENS1_30default_config_static_selectorELNS0_4arch9wavefront6targetE0EEEvT1_,comdat
	.protected	_ZN7rocprim17ROCPRIM_400000_NS6detail17trampoline_kernelINS0_14default_configENS1_35adjacent_difference_config_selectorILb0EiEEZNS1_24adjacent_difference_implIS3_Lb0ELb0EPiS7_N6thrust23THRUST_200600_302600_NS5minusIiEEEE10hipError_tPvRmT2_T3_mT4_P12ihipStream_tbEUlT_E_NS1_11comp_targetILNS1_3genE10ELNS1_11target_archE1201ELNS1_3gpuE5ELNS1_3repE0EEENS1_30default_config_static_selectorELNS0_4arch9wavefront6targetE0EEEvT1_ ; -- Begin function _ZN7rocprim17ROCPRIM_400000_NS6detail17trampoline_kernelINS0_14default_configENS1_35adjacent_difference_config_selectorILb0EiEEZNS1_24adjacent_difference_implIS3_Lb0ELb0EPiS7_N6thrust23THRUST_200600_302600_NS5minusIiEEEE10hipError_tPvRmT2_T3_mT4_P12ihipStream_tbEUlT_E_NS1_11comp_targetILNS1_3genE10ELNS1_11target_archE1201ELNS1_3gpuE5ELNS1_3repE0EEENS1_30default_config_static_selectorELNS0_4arch9wavefront6targetE0EEEvT1_
	.globl	_ZN7rocprim17ROCPRIM_400000_NS6detail17trampoline_kernelINS0_14default_configENS1_35adjacent_difference_config_selectorILb0EiEEZNS1_24adjacent_difference_implIS3_Lb0ELb0EPiS7_N6thrust23THRUST_200600_302600_NS5minusIiEEEE10hipError_tPvRmT2_T3_mT4_P12ihipStream_tbEUlT_E_NS1_11comp_targetILNS1_3genE10ELNS1_11target_archE1201ELNS1_3gpuE5ELNS1_3repE0EEENS1_30default_config_static_selectorELNS0_4arch9wavefront6targetE0EEEvT1_
	.p2align	8
	.type	_ZN7rocprim17ROCPRIM_400000_NS6detail17trampoline_kernelINS0_14default_configENS1_35adjacent_difference_config_selectorILb0EiEEZNS1_24adjacent_difference_implIS3_Lb0ELb0EPiS7_N6thrust23THRUST_200600_302600_NS5minusIiEEEE10hipError_tPvRmT2_T3_mT4_P12ihipStream_tbEUlT_E_NS1_11comp_targetILNS1_3genE10ELNS1_11target_archE1201ELNS1_3gpuE5ELNS1_3repE0EEENS1_30default_config_static_selectorELNS0_4arch9wavefront6targetE0EEEvT1_,@function
_ZN7rocprim17ROCPRIM_400000_NS6detail17trampoline_kernelINS0_14default_configENS1_35adjacent_difference_config_selectorILb0EiEEZNS1_24adjacent_difference_implIS3_Lb0ELb0EPiS7_N6thrust23THRUST_200600_302600_NS5minusIiEEEE10hipError_tPvRmT2_T3_mT4_P12ihipStream_tbEUlT_E_NS1_11comp_targetILNS1_3genE10ELNS1_11target_archE1201ELNS1_3gpuE5ELNS1_3repE0EEENS1_30default_config_static_selectorELNS0_4arch9wavefront6targetE0EEEvT1_: ; @_ZN7rocprim17ROCPRIM_400000_NS6detail17trampoline_kernelINS0_14default_configENS1_35adjacent_difference_config_selectorILb0EiEEZNS1_24adjacent_difference_implIS3_Lb0ELb0EPiS7_N6thrust23THRUST_200600_302600_NS5minusIiEEEE10hipError_tPvRmT2_T3_mT4_P12ihipStream_tbEUlT_E_NS1_11comp_targetILNS1_3genE10ELNS1_11target_archE1201ELNS1_3gpuE5ELNS1_3repE0EEENS1_30default_config_static_selectorELNS0_4arch9wavefront6targetE0EEEvT1_
; %bb.0:
	.section	.rodata,"a",@progbits
	.p2align	6, 0x0
	.amdhsa_kernel _ZN7rocprim17ROCPRIM_400000_NS6detail17trampoline_kernelINS0_14default_configENS1_35adjacent_difference_config_selectorILb0EiEEZNS1_24adjacent_difference_implIS3_Lb0ELb0EPiS7_N6thrust23THRUST_200600_302600_NS5minusIiEEEE10hipError_tPvRmT2_T3_mT4_P12ihipStream_tbEUlT_E_NS1_11comp_targetILNS1_3genE10ELNS1_11target_archE1201ELNS1_3gpuE5ELNS1_3repE0EEENS1_30default_config_static_selectorELNS0_4arch9wavefront6targetE0EEEvT1_
		.amdhsa_group_segment_fixed_size 0
		.amdhsa_private_segment_fixed_size 0
		.amdhsa_kernarg_size 56
		.amdhsa_user_sgpr_count 15
		.amdhsa_user_sgpr_dispatch_ptr 0
		.amdhsa_user_sgpr_queue_ptr 0
		.amdhsa_user_sgpr_kernarg_segment_ptr 1
		.amdhsa_user_sgpr_dispatch_id 0
		.amdhsa_user_sgpr_private_segment_size 0
		.amdhsa_wavefront_size32 1
		.amdhsa_uses_dynamic_stack 0
		.amdhsa_enable_private_segment 0
		.amdhsa_system_sgpr_workgroup_id_x 1
		.amdhsa_system_sgpr_workgroup_id_y 0
		.amdhsa_system_sgpr_workgroup_id_z 0
		.amdhsa_system_sgpr_workgroup_info 0
		.amdhsa_system_vgpr_workitem_id 0
		.amdhsa_next_free_vgpr 1
		.amdhsa_next_free_sgpr 1
		.amdhsa_reserve_vcc 0
		.amdhsa_float_round_mode_32 0
		.amdhsa_float_round_mode_16_64 0
		.amdhsa_float_denorm_mode_32 3
		.amdhsa_float_denorm_mode_16_64 3
		.amdhsa_dx10_clamp 1
		.amdhsa_ieee_mode 1
		.amdhsa_fp16_overflow 0
		.amdhsa_workgroup_processor_mode 1
		.amdhsa_memory_ordered 1
		.amdhsa_forward_progress 0
		.amdhsa_shared_vgpr_count 0
		.amdhsa_exception_fp_ieee_invalid_op 0
		.amdhsa_exception_fp_denorm_src 0
		.amdhsa_exception_fp_ieee_div_zero 0
		.amdhsa_exception_fp_ieee_overflow 0
		.amdhsa_exception_fp_ieee_underflow 0
		.amdhsa_exception_fp_ieee_inexact 0
		.amdhsa_exception_int_div_zero 0
	.end_amdhsa_kernel
	.section	.text._ZN7rocprim17ROCPRIM_400000_NS6detail17trampoline_kernelINS0_14default_configENS1_35adjacent_difference_config_selectorILb0EiEEZNS1_24adjacent_difference_implIS3_Lb0ELb0EPiS7_N6thrust23THRUST_200600_302600_NS5minusIiEEEE10hipError_tPvRmT2_T3_mT4_P12ihipStream_tbEUlT_E_NS1_11comp_targetILNS1_3genE10ELNS1_11target_archE1201ELNS1_3gpuE5ELNS1_3repE0EEENS1_30default_config_static_selectorELNS0_4arch9wavefront6targetE0EEEvT1_,"axG",@progbits,_ZN7rocprim17ROCPRIM_400000_NS6detail17trampoline_kernelINS0_14default_configENS1_35adjacent_difference_config_selectorILb0EiEEZNS1_24adjacent_difference_implIS3_Lb0ELb0EPiS7_N6thrust23THRUST_200600_302600_NS5minusIiEEEE10hipError_tPvRmT2_T3_mT4_P12ihipStream_tbEUlT_E_NS1_11comp_targetILNS1_3genE10ELNS1_11target_archE1201ELNS1_3gpuE5ELNS1_3repE0EEENS1_30default_config_static_selectorELNS0_4arch9wavefront6targetE0EEEvT1_,comdat
.Lfunc_end308:
	.size	_ZN7rocprim17ROCPRIM_400000_NS6detail17trampoline_kernelINS0_14default_configENS1_35adjacent_difference_config_selectorILb0EiEEZNS1_24adjacent_difference_implIS3_Lb0ELb0EPiS7_N6thrust23THRUST_200600_302600_NS5minusIiEEEE10hipError_tPvRmT2_T3_mT4_P12ihipStream_tbEUlT_E_NS1_11comp_targetILNS1_3genE10ELNS1_11target_archE1201ELNS1_3gpuE5ELNS1_3repE0EEENS1_30default_config_static_selectorELNS0_4arch9wavefront6targetE0EEEvT1_, .Lfunc_end308-_ZN7rocprim17ROCPRIM_400000_NS6detail17trampoline_kernelINS0_14default_configENS1_35adjacent_difference_config_selectorILb0EiEEZNS1_24adjacent_difference_implIS3_Lb0ELb0EPiS7_N6thrust23THRUST_200600_302600_NS5minusIiEEEE10hipError_tPvRmT2_T3_mT4_P12ihipStream_tbEUlT_E_NS1_11comp_targetILNS1_3genE10ELNS1_11target_archE1201ELNS1_3gpuE5ELNS1_3repE0EEENS1_30default_config_static_selectorELNS0_4arch9wavefront6targetE0EEEvT1_
                                        ; -- End function
	.section	.AMDGPU.csdata,"",@progbits
; Kernel info:
; codeLenInByte = 0
; NumSgprs: 0
; NumVgprs: 0
; ScratchSize: 0
; MemoryBound: 0
; FloatMode: 240
; IeeeMode: 1
; LDSByteSize: 0 bytes/workgroup (compile time only)
; SGPRBlocks: 0
; VGPRBlocks: 0
; NumSGPRsForWavesPerEU: 1
; NumVGPRsForWavesPerEU: 1
; Occupancy: 16
; WaveLimiterHint : 0
; COMPUTE_PGM_RSRC2:SCRATCH_EN: 0
; COMPUTE_PGM_RSRC2:USER_SGPR: 15
; COMPUTE_PGM_RSRC2:TRAP_HANDLER: 0
; COMPUTE_PGM_RSRC2:TGID_X_EN: 1
; COMPUTE_PGM_RSRC2:TGID_Y_EN: 0
; COMPUTE_PGM_RSRC2:TGID_Z_EN: 0
; COMPUTE_PGM_RSRC2:TIDIG_COMP_CNT: 0
	.section	.text._ZN7rocprim17ROCPRIM_400000_NS6detail17trampoline_kernelINS0_14default_configENS1_35adjacent_difference_config_selectorILb0EiEEZNS1_24adjacent_difference_implIS3_Lb0ELb0EPiS7_N6thrust23THRUST_200600_302600_NS5minusIiEEEE10hipError_tPvRmT2_T3_mT4_P12ihipStream_tbEUlT_E_NS1_11comp_targetILNS1_3genE5ELNS1_11target_archE942ELNS1_3gpuE9ELNS1_3repE0EEENS1_30default_config_static_selectorELNS0_4arch9wavefront6targetE0EEEvT1_,"axG",@progbits,_ZN7rocprim17ROCPRIM_400000_NS6detail17trampoline_kernelINS0_14default_configENS1_35adjacent_difference_config_selectorILb0EiEEZNS1_24adjacent_difference_implIS3_Lb0ELb0EPiS7_N6thrust23THRUST_200600_302600_NS5minusIiEEEE10hipError_tPvRmT2_T3_mT4_P12ihipStream_tbEUlT_E_NS1_11comp_targetILNS1_3genE5ELNS1_11target_archE942ELNS1_3gpuE9ELNS1_3repE0EEENS1_30default_config_static_selectorELNS0_4arch9wavefront6targetE0EEEvT1_,comdat
	.protected	_ZN7rocprim17ROCPRIM_400000_NS6detail17trampoline_kernelINS0_14default_configENS1_35adjacent_difference_config_selectorILb0EiEEZNS1_24adjacent_difference_implIS3_Lb0ELb0EPiS7_N6thrust23THRUST_200600_302600_NS5minusIiEEEE10hipError_tPvRmT2_T3_mT4_P12ihipStream_tbEUlT_E_NS1_11comp_targetILNS1_3genE5ELNS1_11target_archE942ELNS1_3gpuE9ELNS1_3repE0EEENS1_30default_config_static_selectorELNS0_4arch9wavefront6targetE0EEEvT1_ ; -- Begin function _ZN7rocprim17ROCPRIM_400000_NS6detail17trampoline_kernelINS0_14default_configENS1_35adjacent_difference_config_selectorILb0EiEEZNS1_24adjacent_difference_implIS3_Lb0ELb0EPiS7_N6thrust23THRUST_200600_302600_NS5minusIiEEEE10hipError_tPvRmT2_T3_mT4_P12ihipStream_tbEUlT_E_NS1_11comp_targetILNS1_3genE5ELNS1_11target_archE942ELNS1_3gpuE9ELNS1_3repE0EEENS1_30default_config_static_selectorELNS0_4arch9wavefront6targetE0EEEvT1_
	.globl	_ZN7rocprim17ROCPRIM_400000_NS6detail17trampoline_kernelINS0_14default_configENS1_35adjacent_difference_config_selectorILb0EiEEZNS1_24adjacent_difference_implIS3_Lb0ELb0EPiS7_N6thrust23THRUST_200600_302600_NS5minusIiEEEE10hipError_tPvRmT2_T3_mT4_P12ihipStream_tbEUlT_E_NS1_11comp_targetILNS1_3genE5ELNS1_11target_archE942ELNS1_3gpuE9ELNS1_3repE0EEENS1_30default_config_static_selectorELNS0_4arch9wavefront6targetE0EEEvT1_
	.p2align	8
	.type	_ZN7rocprim17ROCPRIM_400000_NS6detail17trampoline_kernelINS0_14default_configENS1_35adjacent_difference_config_selectorILb0EiEEZNS1_24adjacent_difference_implIS3_Lb0ELb0EPiS7_N6thrust23THRUST_200600_302600_NS5minusIiEEEE10hipError_tPvRmT2_T3_mT4_P12ihipStream_tbEUlT_E_NS1_11comp_targetILNS1_3genE5ELNS1_11target_archE942ELNS1_3gpuE9ELNS1_3repE0EEENS1_30default_config_static_selectorELNS0_4arch9wavefront6targetE0EEEvT1_,@function
_ZN7rocprim17ROCPRIM_400000_NS6detail17trampoline_kernelINS0_14default_configENS1_35adjacent_difference_config_selectorILb0EiEEZNS1_24adjacent_difference_implIS3_Lb0ELb0EPiS7_N6thrust23THRUST_200600_302600_NS5minusIiEEEE10hipError_tPvRmT2_T3_mT4_P12ihipStream_tbEUlT_E_NS1_11comp_targetILNS1_3genE5ELNS1_11target_archE942ELNS1_3gpuE9ELNS1_3repE0EEENS1_30default_config_static_selectorELNS0_4arch9wavefront6targetE0EEEvT1_: ; @_ZN7rocprim17ROCPRIM_400000_NS6detail17trampoline_kernelINS0_14default_configENS1_35adjacent_difference_config_selectorILb0EiEEZNS1_24adjacent_difference_implIS3_Lb0ELb0EPiS7_N6thrust23THRUST_200600_302600_NS5minusIiEEEE10hipError_tPvRmT2_T3_mT4_P12ihipStream_tbEUlT_E_NS1_11comp_targetILNS1_3genE5ELNS1_11target_archE942ELNS1_3gpuE9ELNS1_3repE0EEENS1_30default_config_static_selectorELNS0_4arch9wavefront6targetE0EEEvT1_
; %bb.0:
	.section	.rodata,"a",@progbits
	.p2align	6, 0x0
	.amdhsa_kernel _ZN7rocprim17ROCPRIM_400000_NS6detail17trampoline_kernelINS0_14default_configENS1_35adjacent_difference_config_selectorILb0EiEEZNS1_24adjacent_difference_implIS3_Lb0ELb0EPiS7_N6thrust23THRUST_200600_302600_NS5minusIiEEEE10hipError_tPvRmT2_T3_mT4_P12ihipStream_tbEUlT_E_NS1_11comp_targetILNS1_3genE5ELNS1_11target_archE942ELNS1_3gpuE9ELNS1_3repE0EEENS1_30default_config_static_selectorELNS0_4arch9wavefront6targetE0EEEvT1_
		.amdhsa_group_segment_fixed_size 0
		.amdhsa_private_segment_fixed_size 0
		.amdhsa_kernarg_size 56
		.amdhsa_user_sgpr_count 15
		.amdhsa_user_sgpr_dispatch_ptr 0
		.amdhsa_user_sgpr_queue_ptr 0
		.amdhsa_user_sgpr_kernarg_segment_ptr 1
		.amdhsa_user_sgpr_dispatch_id 0
		.amdhsa_user_sgpr_private_segment_size 0
		.amdhsa_wavefront_size32 1
		.amdhsa_uses_dynamic_stack 0
		.amdhsa_enable_private_segment 0
		.amdhsa_system_sgpr_workgroup_id_x 1
		.amdhsa_system_sgpr_workgroup_id_y 0
		.amdhsa_system_sgpr_workgroup_id_z 0
		.amdhsa_system_sgpr_workgroup_info 0
		.amdhsa_system_vgpr_workitem_id 0
		.amdhsa_next_free_vgpr 1
		.amdhsa_next_free_sgpr 1
		.amdhsa_reserve_vcc 0
		.amdhsa_float_round_mode_32 0
		.amdhsa_float_round_mode_16_64 0
		.amdhsa_float_denorm_mode_32 3
		.amdhsa_float_denorm_mode_16_64 3
		.amdhsa_dx10_clamp 1
		.amdhsa_ieee_mode 1
		.amdhsa_fp16_overflow 0
		.amdhsa_workgroup_processor_mode 1
		.amdhsa_memory_ordered 1
		.amdhsa_forward_progress 0
		.amdhsa_shared_vgpr_count 0
		.amdhsa_exception_fp_ieee_invalid_op 0
		.amdhsa_exception_fp_denorm_src 0
		.amdhsa_exception_fp_ieee_div_zero 0
		.amdhsa_exception_fp_ieee_overflow 0
		.amdhsa_exception_fp_ieee_underflow 0
		.amdhsa_exception_fp_ieee_inexact 0
		.amdhsa_exception_int_div_zero 0
	.end_amdhsa_kernel
	.section	.text._ZN7rocprim17ROCPRIM_400000_NS6detail17trampoline_kernelINS0_14default_configENS1_35adjacent_difference_config_selectorILb0EiEEZNS1_24adjacent_difference_implIS3_Lb0ELb0EPiS7_N6thrust23THRUST_200600_302600_NS5minusIiEEEE10hipError_tPvRmT2_T3_mT4_P12ihipStream_tbEUlT_E_NS1_11comp_targetILNS1_3genE5ELNS1_11target_archE942ELNS1_3gpuE9ELNS1_3repE0EEENS1_30default_config_static_selectorELNS0_4arch9wavefront6targetE0EEEvT1_,"axG",@progbits,_ZN7rocprim17ROCPRIM_400000_NS6detail17trampoline_kernelINS0_14default_configENS1_35adjacent_difference_config_selectorILb0EiEEZNS1_24adjacent_difference_implIS3_Lb0ELb0EPiS7_N6thrust23THRUST_200600_302600_NS5minusIiEEEE10hipError_tPvRmT2_T3_mT4_P12ihipStream_tbEUlT_E_NS1_11comp_targetILNS1_3genE5ELNS1_11target_archE942ELNS1_3gpuE9ELNS1_3repE0EEENS1_30default_config_static_selectorELNS0_4arch9wavefront6targetE0EEEvT1_,comdat
.Lfunc_end309:
	.size	_ZN7rocprim17ROCPRIM_400000_NS6detail17trampoline_kernelINS0_14default_configENS1_35adjacent_difference_config_selectorILb0EiEEZNS1_24adjacent_difference_implIS3_Lb0ELb0EPiS7_N6thrust23THRUST_200600_302600_NS5minusIiEEEE10hipError_tPvRmT2_T3_mT4_P12ihipStream_tbEUlT_E_NS1_11comp_targetILNS1_3genE5ELNS1_11target_archE942ELNS1_3gpuE9ELNS1_3repE0EEENS1_30default_config_static_selectorELNS0_4arch9wavefront6targetE0EEEvT1_, .Lfunc_end309-_ZN7rocprim17ROCPRIM_400000_NS6detail17trampoline_kernelINS0_14default_configENS1_35adjacent_difference_config_selectorILb0EiEEZNS1_24adjacent_difference_implIS3_Lb0ELb0EPiS7_N6thrust23THRUST_200600_302600_NS5minusIiEEEE10hipError_tPvRmT2_T3_mT4_P12ihipStream_tbEUlT_E_NS1_11comp_targetILNS1_3genE5ELNS1_11target_archE942ELNS1_3gpuE9ELNS1_3repE0EEENS1_30default_config_static_selectorELNS0_4arch9wavefront6targetE0EEEvT1_
                                        ; -- End function
	.section	.AMDGPU.csdata,"",@progbits
; Kernel info:
; codeLenInByte = 0
; NumSgprs: 0
; NumVgprs: 0
; ScratchSize: 0
; MemoryBound: 0
; FloatMode: 240
; IeeeMode: 1
; LDSByteSize: 0 bytes/workgroup (compile time only)
; SGPRBlocks: 0
; VGPRBlocks: 0
; NumSGPRsForWavesPerEU: 1
; NumVGPRsForWavesPerEU: 1
; Occupancy: 16
; WaveLimiterHint : 0
; COMPUTE_PGM_RSRC2:SCRATCH_EN: 0
; COMPUTE_PGM_RSRC2:USER_SGPR: 15
; COMPUTE_PGM_RSRC2:TRAP_HANDLER: 0
; COMPUTE_PGM_RSRC2:TGID_X_EN: 1
; COMPUTE_PGM_RSRC2:TGID_Y_EN: 0
; COMPUTE_PGM_RSRC2:TGID_Z_EN: 0
; COMPUTE_PGM_RSRC2:TIDIG_COMP_CNT: 0
	.section	.text._ZN7rocprim17ROCPRIM_400000_NS6detail17trampoline_kernelINS0_14default_configENS1_35adjacent_difference_config_selectorILb0EiEEZNS1_24adjacent_difference_implIS3_Lb0ELb0EPiS7_N6thrust23THRUST_200600_302600_NS5minusIiEEEE10hipError_tPvRmT2_T3_mT4_P12ihipStream_tbEUlT_E_NS1_11comp_targetILNS1_3genE4ELNS1_11target_archE910ELNS1_3gpuE8ELNS1_3repE0EEENS1_30default_config_static_selectorELNS0_4arch9wavefront6targetE0EEEvT1_,"axG",@progbits,_ZN7rocprim17ROCPRIM_400000_NS6detail17trampoline_kernelINS0_14default_configENS1_35adjacent_difference_config_selectorILb0EiEEZNS1_24adjacent_difference_implIS3_Lb0ELb0EPiS7_N6thrust23THRUST_200600_302600_NS5minusIiEEEE10hipError_tPvRmT2_T3_mT4_P12ihipStream_tbEUlT_E_NS1_11comp_targetILNS1_3genE4ELNS1_11target_archE910ELNS1_3gpuE8ELNS1_3repE0EEENS1_30default_config_static_selectorELNS0_4arch9wavefront6targetE0EEEvT1_,comdat
	.protected	_ZN7rocprim17ROCPRIM_400000_NS6detail17trampoline_kernelINS0_14default_configENS1_35adjacent_difference_config_selectorILb0EiEEZNS1_24adjacent_difference_implIS3_Lb0ELb0EPiS7_N6thrust23THRUST_200600_302600_NS5minusIiEEEE10hipError_tPvRmT2_T3_mT4_P12ihipStream_tbEUlT_E_NS1_11comp_targetILNS1_3genE4ELNS1_11target_archE910ELNS1_3gpuE8ELNS1_3repE0EEENS1_30default_config_static_selectorELNS0_4arch9wavefront6targetE0EEEvT1_ ; -- Begin function _ZN7rocprim17ROCPRIM_400000_NS6detail17trampoline_kernelINS0_14default_configENS1_35adjacent_difference_config_selectorILb0EiEEZNS1_24adjacent_difference_implIS3_Lb0ELb0EPiS7_N6thrust23THRUST_200600_302600_NS5minusIiEEEE10hipError_tPvRmT2_T3_mT4_P12ihipStream_tbEUlT_E_NS1_11comp_targetILNS1_3genE4ELNS1_11target_archE910ELNS1_3gpuE8ELNS1_3repE0EEENS1_30default_config_static_selectorELNS0_4arch9wavefront6targetE0EEEvT1_
	.globl	_ZN7rocprim17ROCPRIM_400000_NS6detail17trampoline_kernelINS0_14default_configENS1_35adjacent_difference_config_selectorILb0EiEEZNS1_24adjacent_difference_implIS3_Lb0ELb0EPiS7_N6thrust23THRUST_200600_302600_NS5minusIiEEEE10hipError_tPvRmT2_T3_mT4_P12ihipStream_tbEUlT_E_NS1_11comp_targetILNS1_3genE4ELNS1_11target_archE910ELNS1_3gpuE8ELNS1_3repE0EEENS1_30default_config_static_selectorELNS0_4arch9wavefront6targetE0EEEvT1_
	.p2align	8
	.type	_ZN7rocprim17ROCPRIM_400000_NS6detail17trampoline_kernelINS0_14default_configENS1_35adjacent_difference_config_selectorILb0EiEEZNS1_24adjacent_difference_implIS3_Lb0ELb0EPiS7_N6thrust23THRUST_200600_302600_NS5minusIiEEEE10hipError_tPvRmT2_T3_mT4_P12ihipStream_tbEUlT_E_NS1_11comp_targetILNS1_3genE4ELNS1_11target_archE910ELNS1_3gpuE8ELNS1_3repE0EEENS1_30default_config_static_selectorELNS0_4arch9wavefront6targetE0EEEvT1_,@function
_ZN7rocprim17ROCPRIM_400000_NS6detail17trampoline_kernelINS0_14default_configENS1_35adjacent_difference_config_selectorILb0EiEEZNS1_24adjacent_difference_implIS3_Lb0ELb0EPiS7_N6thrust23THRUST_200600_302600_NS5minusIiEEEE10hipError_tPvRmT2_T3_mT4_P12ihipStream_tbEUlT_E_NS1_11comp_targetILNS1_3genE4ELNS1_11target_archE910ELNS1_3gpuE8ELNS1_3repE0EEENS1_30default_config_static_selectorELNS0_4arch9wavefront6targetE0EEEvT1_: ; @_ZN7rocprim17ROCPRIM_400000_NS6detail17trampoline_kernelINS0_14default_configENS1_35adjacent_difference_config_selectorILb0EiEEZNS1_24adjacent_difference_implIS3_Lb0ELb0EPiS7_N6thrust23THRUST_200600_302600_NS5minusIiEEEE10hipError_tPvRmT2_T3_mT4_P12ihipStream_tbEUlT_E_NS1_11comp_targetILNS1_3genE4ELNS1_11target_archE910ELNS1_3gpuE8ELNS1_3repE0EEENS1_30default_config_static_selectorELNS0_4arch9wavefront6targetE0EEEvT1_
; %bb.0:
	.section	.rodata,"a",@progbits
	.p2align	6, 0x0
	.amdhsa_kernel _ZN7rocprim17ROCPRIM_400000_NS6detail17trampoline_kernelINS0_14default_configENS1_35adjacent_difference_config_selectorILb0EiEEZNS1_24adjacent_difference_implIS3_Lb0ELb0EPiS7_N6thrust23THRUST_200600_302600_NS5minusIiEEEE10hipError_tPvRmT2_T3_mT4_P12ihipStream_tbEUlT_E_NS1_11comp_targetILNS1_3genE4ELNS1_11target_archE910ELNS1_3gpuE8ELNS1_3repE0EEENS1_30default_config_static_selectorELNS0_4arch9wavefront6targetE0EEEvT1_
		.amdhsa_group_segment_fixed_size 0
		.amdhsa_private_segment_fixed_size 0
		.amdhsa_kernarg_size 56
		.amdhsa_user_sgpr_count 15
		.amdhsa_user_sgpr_dispatch_ptr 0
		.amdhsa_user_sgpr_queue_ptr 0
		.amdhsa_user_sgpr_kernarg_segment_ptr 1
		.amdhsa_user_sgpr_dispatch_id 0
		.amdhsa_user_sgpr_private_segment_size 0
		.amdhsa_wavefront_size32 1
		.amdhsa_uses_dynamic_stack 0
		.amdhsa_enable_private_segment 0
		.amdhsa_system_sgpr_workgroup_id_x 1
		.amdhsa_system_sgpr_workgroup_id_y 0
		.amdhsa_system_sgpr_workgroup_id_z 0
		.amdhsa_system_sgpr_workgroup_info 0
		.amdhsa_system_vgpr_workitem_id 0
		.amdhsa_next_free_vgpr 1
		.amdhsa_next_free_sgpr 1
		.amdhsa_reserve_vcc 0
		.amdhsa_float_round_mode_32 0
		.amdhsa_float_round_mode_16_64 0
		.amdhsa_float_denorm_mode_32 3
		.amdhsa_float_denorm_mode_16_64 3
		.amdhsa_dx10_clamp 1
		.amdhsa_ieee_mode 1
		.amdhsa_fp16_overflow 0
		.amdhsa_workgroup_processor_mode 1
		.amdhsa_memory_ordered 1
		.amdhsa_forward_progress 0
		.amdhsa_shared_vgpr_count 0
		.amdhsa_exception_fp_ieee_invalid_op 0
		.amdhsa_exception_fp_denorm_src 0
		.amdhsa_exception_fp_ieee_div_zero 0
		.amdhsa_exception_fp_ieee_overflow 0
		.amdhsa_exception_fp_ieee_underflow 0
		.amdhsa_exception_fp_ieee_inexact 0
		.amdhsa_exception_int_div_zero 0
	.end_amdhsa_kernel
	.section	.text._ZN7rocprim17ROCPRIM_400000_NS6detail17trampoline_kernelINS0_14default_configENS1_35adjacent_difference_config_selectorILb0EiEEZNS1_24adjacent_difference_implIS3_Lb0ELb0EPiS7_N6thrust23THRUST_200600_302600_NS5minusIiEEEE10hipError_tPvRmT2_T3_mT4_P12ihipStream_tbEUlT_E_NS1_11comp_targetILNS1_3genE4ELNS1_11target_archE910ELNS1_3gpuE8ELNS1_3repE0EEENS1_30default_config_static_selectorELNS0_4arch9wavefront6targetE0EEEvT1_,"axG",@progbits,_ZN7rocprim17ROCPRIM_400000_NS6detail17trampoline_kernelINS0_14default_configENS1_35adjacent_difference_config_selectorILb0EiEEZNS1_24adjacent_difference_implIS3_Lb0ELb0EPiS7_N6thrust23THRUST_200600_302600_NS5minusIiEEEE10hipError_tPvRmT2_T3_mT4_P12ihipStream_tbEUlT_E_NS1_11comp_targetILNS1_3genE4ELNS1_11target_archE910ELNS1_3gpuE8ELNS1_3repE0EEENS1_30default_config_static_selectorELNS0_4arch9wavefront6targetE0EEEvT1_,comdat
.Lfunc_end310:
	.size	_ZN7rocprim17ROCPRIM_400000_NS6detail17trampoline_kernelINS0_14default_configENS1_35adjacent_difference_config_selectorILb0EiEEZNS1_24adjacent_difference_implIS3_Lb0ELb0EPiS7_N6thrust23THRUST_200600_302600_NS5minusIiEEEE10hipError_tPvRmT2_T3_mT4_P12ihipStream_tbEUlT_E_NS1_11comp_targetILNS1_3genE4ELNS1_11target_archE910ELNS1_3gpuE8ELNS1_3repE0EEENS1_30default_config_static_selectorELNS0_4arch9wavefront6targetE0EEEvT1_, .Lfunc_end310-_ZN7rocprim17ROCPRIM_400000_NS6detail17trampoline_kernelINS0_14default_configENS1_35adjacent_difference_config_selectorILb0EiEEZNS1_24adjacent_difference_implIS3_Lb0ELb0EPiS7_N6thrust23THRUST_200600_302600_NS5minusIiEEEE10hipError_tPvRmT2_T3_mT4_P12ihipStream_tbEUlT_E_NS1_11comp_targetILNS1_3genE4ELNS1_11target_archE910ELNS1_3gpuE8ELNS1_3repE0EEENS1_30default_config_static_selectorELNS0_4arch9wavefront6targetE0EEEvT1_
                                        ; -- End function
	.section	.AMDGPU.csdata,"",@progbits
; Kernel info:
; codeLenInByte = 0
; NumSgprs: 0
; NumVgprs: 0
; ScratchSize: 0
; MemoryBound: 0
; FloatMode: 240
; IeeeMode: 1
; LDSByteSize: 0 bytes/workgroup (compile time only)
; SGPRBlocks: 0
; VGPRBlocks: 0
; NumSGPRsForWavesPerEU: 1
; NumVGPRsForWavesPerEU: 1
; Occupancy: 16
; WaveLimiterHint : 0
; COMPUTE_PGM_RSRC2:SCRATCH_EN: 0
; COMPUTE_PGM_RSRC2:USER_SGPR: 15
; COMPUTE_PGM_RSRC2:TRAP_HANDLER: 0
; COMPUTE_PGM_RSRC2:TGID_X_EN: 1
; COMPUTE_PGM_RSRC2:TGID_Y_EN: 0
; COMPUTE_PGM_RSRC2:TGID_Z_EN: 0
; COMPUTE_PGM_RSRC2:TIDIG_COMP_CNT: 0
	.section	.text._ZN7rocprim17ROCPRIM_400000_NS6detail17trampoline_kernelINS0_14default_configENS1_35adjacent_difference_config_selectorILb0EiEEZNS1_24adjacent_difference_implIS3_Lb0ELb0EPiS7_N6thrust23THRUST_200600_302600_NS5minusIiEEEE10hipError_tPvRmT2_T3_mT4_P12ihipStream_tbEUlT_E_NS1_11comp_targetILNS1_3genE3ELNS1_11target_archE908ELNS1_3gpuE7ELNS1_3repE0EEENS1_30default_config_static_selectorELNS0_4arch9wavefront6targetE0EEEvT1_,"axG",@progbits,_ZN7rocprim17ROCPRIM_400000_NS6detail17trampoline_kernelINS0_14default_configENS1_35adjacent_difference_config_selectorILb0EiEEZNS1_24adjacent_difference_implIS3_Lb0ELb0EPiS7_N6thrust23THRUST_200600_302600_NS5minusIiEEEE10hipError_tPvRmT2_T3_mT4_P12ihipStream_tbEUlT_E_NS1_11comp_targetILNS1_3genE3ELNS1_11target_archE908ELNS1_3gpuE7ELNS1_3repE0EEENS1_30default_config_static_selectorELNS0_4arch9wavefront6targetE0EEEvT1_,comdat
	.protected	_ZN7rocprim17ROCPRIM_400000_NS6detail17trampoline_kernelINS0_14default_configENS1_35adjacent_difference_config_selectorILb0EiEEZNS1_24adjacent_difference_implIS3_Lb0ELb0EPiS7_N6thrust23THRUST_200600_302600_NS5minusIiEEEE10hipError_tPvRmT2_T3_mT4_P12ihipStream_tbEUlT_E_NS1_11comp_targetILNS1_3genE3ELNS1_11target_archE908ELNS1_3gpuE7ELNS1_3repE0EEENS1_30default_config_static_selectorELNS0_4arch9wavefront6targetE0EEEvT1_ ; -- Begin function _ZN7rocprim17ROCPRIM_400000_NS6detail17trampoline_kernelINS0_14default_configENS1_35adjacent_difference_config_selectorILb0EiEEZNS1_24adjacent_difference_implIS3_Lb0ELb0EPiS7_N6thrust23THRUST_200600_302600_NS5minusIiEEEE10hipError_tPvRmT2_T3_mT4_P12ihipStream_tbEUlT_E_NS1_11comp_targetILNS1_3genE3ELNS1_11target_archE908ELNS1_3gpuE7ELNS1_3repE0EEENS1_30default_config_static_selectorELNS0_4arch9wavefront6targetE0EEEvT1_
	.globl	_ZN7rocprim17ROCPRIM_400000_NS6detail17trampoline_kernelINS0_14default_configENS1_35adjacent_difference_config_selectorILb0EiEEZNS1_24adjacent_difference_implIS3_Lb0ELb0EPiS7_N6thrust23THRUST_200600_302600_NS5minusIiEEEE10hipError_tPvRmT2_T3_mT4_P12ihipStream_tbEUlT_E_NS1_11comp_targetILNS1_3genE3ELNS1_11target_archE908ELNS1_3gpuE7ELNS1_3repE0EEENS1_30default_config_static_selectorELNS0_4arch9wavefront6targetE0EEEvT1_
	.p2align	8
	.type	_ZN7rocprim17ROCPRIM_400000_NS6detail17trampoline_kernelINS0_14default_configENS1_35adjacent_difference_config_selectorILb0EiEEZNS1_24adjacent_difference_implIS3_Lb0ELb0EPiS7_N6thrust23THRUST_200600_302600_NS5minusIiEEEE10hipError_tPvRmT2_T3_mT4_P12ihipStream_tbEUlT_E_NS1_11comp_targetILNS1_3genE3ELNS1_11target_archE908ELNS1_3gpuE7ELNS1_3repE0EEENS1_30default_config_static_selectorELNS0_4arch9wavefront6targetE0EEEvT1_,@function
_ZN7rocprim17ROCPRIM_400000_NS6detail17trampoline_kernelINS0_14default_configENS1_35adjacent_difference_config_selectorILb0EiEEZNS1_24adjacent_difference_implIS3_Lb0ELb0EPiS7_N6thrust23THRUST_200600_302600_NS5minusIiEEEE10hipError_tPvRmT2_T3_mT4_P12ihipStream_tbEUlT_E_NS1_11comp_targetILNS1_3genE3ELNS1_11target_archE908ELNS1_3gpuE7ELNS1_3repE0EEENS1_30default_config_static_selectorELNS0_4arch9wavefront6targetE0EEEvT1_: ; @_ZN7rocprim17ROCPRIM_400000_NS6detail17trampoline_kernelINS0_14default_configENS1_35adjacent_difference_config_selectorILb0EiEEZNS1_24adjacent_difference_implIS3_Lb0ELb0EPiS7_N6thrust23THRUST_200600_302600_NS5minusIiEEEE10hipError_tPvRmT2_T3_mT4_P12ihipStream_tbEUlT_E_NS1_11comp_targetILNS1_3genE3ELNS1_11target_archE908ELNS1_3gpuE7ELNS1_3repE0EEENS1_30default_config_static_selectorELNS0_4arch9wavefront6targetE0EEEvT1_
; %bb.0:
	.section	.rodata,"a",@progbits
	.p2align	6, 0x0
	.amdhsa_kernel _ZN7rocprim17ROCPRIM_400000_NS6detail17trampoline_kernelINS0_14default_configENS1_35adjacent_difference_config_selectorILb0EiEEZNS1_24adjacent_difference_implIS3_Lb0ELb0EPiS7_N6thrust23THRUST_200600_302600_NS5minusIiEEEE10hipError_tPvRmT2_T3_mT4_P12ihipStream_tbEUlT_E_NS1_11comp_targetILNS1_3genE3ELNS1_11target_archE908ELNS1_3gpuE7ELNS1_3repE0EEENS1_30default_config_static_selectorELNS0_4arch9wavefront6targetE0EEEvT1_
		.amdhsa_group_segment_fixed_size 0
		.amdhsa_private_segment_fixed_size 0
		.amdhsa_kernarg_size 56
		.amdhsa_user_sgpr_count 15
		.amdhsa_user_sgpr_dispatch_ptr 0
		.amdhsa_user_sgpr_queue_ptr 0
		.amdhsa_user_sgpr_kernarg_segment_ptr 1
		.amdhsa_user_sgpr_dispatch_id 0
		.amdhsa_user_sgpr_private_segment_size 0
		.amdhsa_wavefront_size32 1
		.amdhsa_uses_dynamic_stack 0
		.amdhsa_enable_private_segment 0
		.amdhsa_system_sgpr_workgroup_id_x 1
		.amdhsa_system_sgpr_workgroup_id_y 0
		.amdhsa_system_sgpr_workgroup_id_z 0
		.amdhsa_system_sgpr_workgroup_info 0
		.amdhsa_system_vgpr_workitem_id 0
		.amdhsa_next_free_vgpr 1
		.amdhsa_next_free_sgpr 1
		.amdhsa_reserve_vcc 0
		.amdhsa_float_round_mode_32 0
		.amdhsa_float_round_mode_16_64 0
		.amdhsa_float_denorm_mode_32 3
		.amdhsa_float_denorm_mode_16_64 3
		.amdhsa_dx10_clamp 1
		.amdhsa_ieee_mode 1
		.amdhsa_fp16_overflow 0
		.amdhsa_workgroup_processor_mode 1
		.amdhsa_memory_ordered 1
		.amdhsa_forward_progress 0
		.amdhsa_shared_vgpr_count 0
		.amdhsa_exception_fp_ieee_invalid_op 0
		.amdhsa_exception_fp_denorm_src 0
		.amdhsa_exception_fp_ieee_div_zero 0
		.amdhsa_exception_fp_ieee_overflow 0
		.amdhsa_exception_fp_ieee_underflow 0
		.amdhsa_exception_fp_ieee_inexact 0
		.amdhsa_exception_int_div_zero 0
	.end_amdhsa_kernel
	.section	.text._ZN7rocprim17ROCPRIM_400000_NS6detail17trampoline_kernelINS0_14default_configENS1_35adjacent_difference_config_selectorILb0EiEEZNS1_24adjacent_difference_implIS3_Lb0ELb0EPiS7_N6thrust23THRUST_200600_302600_NS5minusIiEEEE10hipError_tPvRmT2_T3_mT4_P12ihipStream_tbEUlT_E_NS1_11comp_targetILNS1_3genE3ELNS1_11target_archE908ELNS1_3gpuE7ELNS1_3repE0EEENS1_30default_config_static_selectorELNS0_4arch9wavefront6targetE0EEEvT1_,"axG",@progbits,_ZN7rocprim17ROCPRIM_400000_NS6detail17trampoline_kernelINS0_14default_configENS1_35adjacent_difference_config_selectorILb0EiEEZNS1_24adjacent_difference_implIS3_Lb0ELb0EPiS7_N6thrust23THRUST_200600_302600_NS5minusIiEEEE10hipError_tPvRmT2_T3_mT4_P12ihipStream_tbEUlT_E_NS1_11comp_targetILNS1_3genE3ELNS1_11target_archE908ELNS1_3gpuE7ELNS1_3repE0EEENS1_30default_config_static_selectorELNS0_4arch9wavefront6targetE0EEEvT1_,comdat
.Lfunc_end311:
	.size	_ZN7rocprim17ROCPRIM_400000_NS6detail17trampoline_kernelINS0_14default_configENS1_35adjacent_difference_config_selectorILb0EiEEZNS1_24adjacent_difference_implIS3_Lb0ELb0EPiS7_N6thrust23THRUST_200600_302600_NS5minusIiEEEE10hipError_tPvRmT2_T3_mT4_P12ihipStream_tbEUlT_E_NS1_11comp_targetILNS1_3genE3ELNS1_11target_archE908ELNS1_3gpuE7ELNS1_3repE0EEENS1_30default_config_static_selectorELNS0_4arch9wavefront6targetE0EEEvT1_, .Lfunc_end311-_ZN7rocprim17ROCPRIM_400000_NS6detail17trampoline_kernelINS0_14default_configENS1_35adjacent_difference_config_selectorILb0EiEEZNS1_24adjacent_difference_implIS3_Lb0ELb0EPiS7_N6thrust23THRUST_200600_302600_NS5minusIiEEEE10hipError_tPvRmT2_T3_mT4_P12ihipStream_tbEUlT_E_NS1_11comp_targetILNS1_3genE3ELNS1_11target_archE908ELNS1_3gpuE7ELNS1_3repE0EEENS1_30default_config_static_selectorELNS0_4arch9wavefront6targetE0EEEvT1_
                                        ; -- End function
	.section	.AMDGPU.csdata,"",@progbits
; Kernel info:
; codeLenInByte = 0
; NumSgprs: 0
; NumVgprs: 0
; ScratchSize: 0
; MemoryBound: 0
; FloatMode: 240
; IeeeMode: 1
; LDSByteSize: 0 bytes/workgroup (compile time only)
; SGPRBlocks: 0
; VGPRBlocks: 0
; NumSGPRsForWavesPerEU: 1
; NumVGPRsForWavesPerEU: 1
; Occupancy: 16
; WaveLimiterHint : 0
; COMPUTE_PGM_RSRC2:SCRATCH_EN: 0
; COMPUTE_PGM_RSRC2:USER_SGPR: 15
; COMPUTE_PGM_RSRC2:TRAP_HANDLER: 0
; COMPUTE_PGM_RSRC2:TGID_X_EN: 1
; COMPUTE_PGM_RSRC2:TGID_Y_EN: 0
; COMPUTE_PGM_RSRC2:TGID_Z_EN: 0
; COMPUTE_PGM_RSRC2:TIDIG_COMP_CNT: 0
	.section	.text._ZN7rocprim17ROCPRIM_400000_NS6detail17trampoline_kernelINS0_14default_configENS1_35adjacent_difference_config_selectorILb0EiEEZNS1_24adjacent_difference_implIS3_Lb0ELb0EPiS7_N6thrust23THRUST_200600_302600_NS5minusIiEEEE10hipError_tPvRmT2_T3_mT4_P12ihipStream_tbEUlT_E_NS1_11comp_targetILNS1_3genE2ELNS1_11target_archE906ELNS1_3gpuE6ELNS1_3repE0EEENS1_30default_config_static_selectorELNS0_4arch9wavefront6targetE0EEEvT1_,"axG",@progbits,_ZN7rocprim17ROCPRIM_400000_NS6detail17trampoline_kernelINS0_14default_configENS1_35adjacent_difference_config_selectorILb0EiEEZNS1_24adjacent_difference_implIS3_Lb0ELb0EPiS7_N6thrust23THRUST_200600_302600_NS5minusIiEEEE10hipError_tPvRmT2_T3_mT4_P12ihipStream_tbEUlT_E_NS1_11comp_targetILNS1_3genE2ELNS1_11target_archE906ELNS1_3gpuE6ELNS1_3repE0EEENS1_30default_config_static_selectorELNS0_4arch9wavefront6targetE0EEEvT1_,comdat
	.protected	_ZN7rocprim17ROCPRIM_400000_NS6detail17trampoline_kernelINS0_14default_configENS1_35adjacent_difference_config_selectorILb0EiEEZNS1_24adjacent_difference_implIS3_Lb0ELb0EPiS7_N6thrust23THRUST_200600_302600_NS5minusIiEEEE10hipError_tPvRmT2_T3_mT4_P12ihipStream_tbEUlT_E_NS1_11comp_targetILNS1_3genE2ELNS1_11target_archE906ELNS1_3gpuE6ELNS1_3repE0EEENS1_30default_config_static_selectorELNS0_4arch9wavefront6targetE0EEEvT1_ ; -- Begin function _ZN7rocprim17ROCPRIM_400000_NS6detail17trampoline_kernelINS0_14default_configENS1_35adjacent_difference_config_selectorILb0EiEEZNS1_24adjacent_difference_implIS3_Lb0ELb0EPiS7_N6thrust23THRUST_200600_302600_NS5minusIiEEEE10hipError_tPvRmT2_T3_mT4_P12ihipStream_tbEUlT_E_NS1_11comp_targetILNS1_3genE2ELNS1_11target_archE906ELNS1_3gpuE6ELNS1_3repE0EEENS1_30default_config_static_selectorELNS0_4arch9wavefront6targetE0EEEvT1_
	.globl	_ZN7rocprim17ROCPRIM_400000_NS6detail17trampoline_kernelINS0_14default_configENS1_35adjacent_difference_config_selectorILb0EiEEZNS1_24adjacent_difference_implIS3_Lb0ELb0EPiS7_N6thrust23THRUST_200600_302600_NS5minusIiEEEE10hipError_tPvRmT2_T3_mT4_P12ihipStream_tbEUlT_E_NS1_11comp_targetILNS1_3genE2ELNS1_11target_archE906ELNS1_3gpuE6ELNS1_3repE0EEENS1_30default_config_static_selectorELNS0_4arch9wavefront6targetE0EEEvT1_
	.p2align	8
	.type	_ZN7rocprim17ROCPRIM_400000_NS6detail17trampoline_kernelINS0_14default_configENS1_35adjacent_difference_config_selectorILb0EiEEZNS1_24adjacent_difference_implIS3_Lb0ELb0EPiS7_N6thrust23THRUST_200600_302600_NS5minusIiEEEE10hipError_tPvRmT2_T3_mT4_P12ihipStream_tbEUlT_E_NS1_11comp_targetILNS1_3genE2ELNS1_11target_archE906ELNS1_3gpuE6ELNS1_3repE0EEENS1_30default_config_static_selectorELNS0_4arch9wavefront6targetE0EEEvT1_,@function
_ZN7rocprim17ROCPRIM_400000_NS6detail17trampoline_kernelINS0_14default_configENS1_35adjacent_difference_config_selectorILb0EiEEZNS1_24adjacent_difference_implIS3_Lb0ELb0EPiS7_N6thrust23THRUST_200600_302600_NS5minusIiEEEE10hipError_tPvRmT2_T3_mT4_P12ihipStream_tbEUlT_E_NS1_11comp_targetILNS1_3genE2ELNS1_11target_archE906ELNS1_3gpuE6ELNS1_3repE0EEENS1_30default_config_static_selectorELNS0_4arch9wavefront6targetE0EEEvT1_: ; @_ZN7rocprim17ROCPRIM_400000_NS6detail17trampoline_kernelINS0_14default_configENS1_35adjacent_difference_config_selectorILb0EiEEZNS1_24adjacent_difference_implIS3_Lb0ELb0EPiS7_N6thrust23THRUST_200600_302600_NS5minusIiEEEE10hipError_tPvRmT2_T3_mT4_P12ihipStream_tbEUlT_E_NS1_11comp_targetILNS1_3genE2ELNS1_11target_archE906ELNS1_3gpuE6ELNS1_3repE0EEENS1_30default_config_static_selectorELNS0_4arch9wavefront6targetE0EEEvT1_
; %bb.0:
	.section	.rodata,"a",@progbits
	.p2align	6, 0x0
	.amdhsa_kernel _ZN7rocprim17ROCPRIM_400000_NS6detail17trampoline_kernelINS0_14default_configENS1_35adjacent_difference_config_selectorILb0EiEEZNS1_24adjacent_difference_implIS3_Lb0ELb0EPiS7_N6thrust23THRUST_200600_302600_NS5minusIiEEEE10hipError_tPvRmT2_T3_mT4_P12ihipStream_tbEUlT_E_NS1_11comp_targetILNS1_3genE2ELNS1_11target_archE906ELNS1_3gpuE6ELNS1_3repE0EEENS1_30default_config_static_selectorELNS0_4arch9wavefront6targetE0EEEvT1_
		.amdhsa_group_segment_fixed_size 0
		.amdhsa_private_segment_fixed_size 0
		.amdhsa_kernarg_size 56
		.amdhsa_user_sgpr_count 15
		.amdhsa_user_sgpr_dispatch_ptr 0
		.amdhsa_user_sgpr_queue_ptr 0
		.amdhsa_user_sgpr_kernarg_segment_ptr 1
		.amdhsa_user_sgpr_dispatch_id 0
		.amdhsa_user_sgpr_private_segment_size 0
		.amdhsa_wavefront_size32 1
		.amdhsa_uses_dynamic_stack 0
		.amdhsa_enable_private_segment 0
		.amdhsa_system_sgpr_workgroup_id_x 1
		.amdhsa_system_sgpr_workgroup_id_y 0
		.amdhsa_system_sgpr_workgroup_id_z 0
		.amdhsa_system_sgpr_workgroup_info 0
		.amdhsa_system_vgpr_workitem_id 0
		.amdhsa_next_free_vgpr 1
		.amdhsa_next_free_sgpr 1
		.amdhsa_reserve_vcc 0
		.amdhsa_float_round_mode_32 0
		.amdhsa_float_round_mode_16_64 0
		.amdhsa_float_denorm_mode_32 3
		.amdhsa_float_denorm_mode_16_64 3
		.amdhsa_dx10_clamp 1
		.amdhsa_ieee_mode 1
		.amdhsa_fp16_overflow 0
		.amdhsa_workgroup_processor_mode 1
		.amdhsa_memory_ordered 1
		.amdhsa_forward_progress 0
		.amdhsa_shared_vgpr_count 0
		.amdhsa_exception_fp_ieee_invalid_op 0
		.amdhsa_exception_fp_denorm_src 0
		.amdhsa_exception_fp_ieee_div_zero 0
		.amdhsa_exception_fp_ieee_overflow 0
		.amdhsa_exception_fp_ieee_underflow 0
		.amdhsa_exception_fp_ieee_inexact 0
		.amdhsa_exception_int_div_zero 0
	.end_amdhsa_kernel
	.section	.text._ZN7rocprim17ROCPRIM_400000_NS6detail17trampoline_kernelINS0_14default_configENS1_35adjacent_difference_config_selectorILb0EiEEZNS1_24adjacent_difference_implIS3_Lb0ELb0EPiS7_N6thrust23THRUST_200600_302600_NS5minusIiEEEE10hipError_tPvRmT2_T3_mT4_P12ihipStream_tbEUlT_E_NS1_11comp_targetILNS1_3genE2ELNS1_11target_archE906ELNS1_3gpuE6ELNS1_3repE0EEENS1_30default_config_static_selectorELNS0_4arch9wavefront6targetE0EEEvT1_,"axG",@progbits,_ZN7rocprim17ROCPRIM_400000_NS6detail17trampoline_kernelINS0_14default_configENS1_35adjacent_difference_config_selectorILb0EiEEZNS1_24adjacent_difference_implIS3_Lb0ELb0EPiS7_N6thrust23THRUST_200600_302600_NS5minusIiEEEE10hipError_tPvRmT2_T3_mT4_P12ihipStream_tbEUlT_E_NS1_11comp_targetILNS1_3genE2ELNS1_11target_archE906ELNS1_3gpuE6ELNS1_3repE0EEENS1_30default_config_static_selectorELNS0_4arch9wavefront6targetE0EEEvT1_,comdat
.Lfunc_end312:
	.size	_ZN7rocprim17ROCPRIM_400000_NS6detail17trampoline_kernelINS0_14default_configENS1_35adjacent_difference_config_selectorILb0EiEEZNS1_24adjacent_difference_implIS3_Lb0ELb0EPiS7_N6thrust23THRUST_200600_302600_NS5minusIiEEEE10hipError_tPvRmT2_T3_mT4_P12ihipStream_tbEUlT_E_NS1_11comp_targetILNS1_3genE2ELNS1_11target_archE906ELNS1_3gpuE6ELNS1_3repE0EEENS1_30default_config_static_selectorELNS0_4arch9wavefront6targetE0EEEvT1_, .Lfunc_end312-_ZN7rocprim17ROCPRIM_400000_NS6detail17trampoline_kernelINS0_14default_configENS1_35adjacent_difference_config_selectorILb0EiEEZNS1_24adjacent_difference_implIS3_Lb0ELb0EPiS7_N6thrust23THRUST_200600_302600_NS5minusIiEEEE10hipError_tPvRmT2_T3_mT4_P12ihipStream_tbEUlT_E_NS1_11comp_targetILNS1_3genE2ELNS1_11target_archE906ELNS1_3gpuE6ELNS1_3repE0EEENS1_30default_config_static_selectorELNS0_4arch9wavefront6targetE0EEEvT1_
                                        ; -- End function
	.section	.AMDGPU.csdata,"",@progbits
; Kernel info:
; codeLenInByte = 0
; NumSgprs: 0
; NumVgprs: 0
; ScratchSize: 0
; MemoryBound: 0
; FloatMode: 240
; IeeeMode: 1
; LDSByteSize: 0 bytes/workgroup (compile time only)
; SGPRBlocks: 0
; VGPRBlocks: 0
; NumSGPRsForWavesPerEU: 1
; NumVGPRsForWavesPerEU: 1
; Occupancy: 16
; WaveLimiterHint : 0
; COMPUTE_PGM_RSRC2:SCRATCH_EN: 0
; COMPUTE_PGM_RSRC2:USER_SGPR: 15
; COMPUTE_PGM_RSRC2:TRAP_HANDLER: 0
; COMPUTE_PGM_RSRC2:TGID_X_EN: 1
; COMPUTE_PGM_RSRC2:TGID_Y_EN: 0
; COMPUTE_PGM_RSRC2:TGID_Z_EN: 0
; COMPUTE_PGM_RSRC2:TIDIG_COMP_CNT: 0
	.section	.text._ZN7rocprim17ROCPRIM_400000_NS6detail17trampoline_kernelINS0_14default_configENS1_35adjacent_difference_config_selectorILb0EiEEZNS1_24adjacent_difference_implIS3_Lb0ELb0EPiS7_N6thrust23THRUST_200600_302600_NS5minusIiEEEE10hipError_tPvRmT2_T3_mT4_P12ihipStream_tbEUlT_E_NS1_11comp_targetILNS1_3genE9ELNS1_11target_archE1100ELNS1_3gpuE3ELNS1_3repE0EEENS1_30default_config_static_selectorELNS0_4arch9wavefront6targetE0EEEvT1_,"axG",@progbits,_ZN7rocprim17ROCPRIM_400000_NS6detail17trampoline_kernelINS0_14default_configENS1_35adjacent_difference_config_selectorILb0EiEEZNS1_24adjacent_difference_implIS3_Lb0ELb0EPiS7_N6thrust23THRUST_200600_302600_NS5minusIiEEEE10hipError_tPvRmT2_T3_mT4_P12ihipStream_tbEUlT_E_NS1_11comp_targetILNS1_3genE9ELNS1_11target_archE1100ELNS1_3gpuE3ELNS1_3repE0EEENS1_30default_config_static_selectorELNS0_4arch9wavefront6targetE0EEEvT1_,comdat
	.protected	_ZN7rocprim17ROCPRIM_400000_NS6detail17trampoline_kernelINS0_14default_configENS1_35adjacent_difference_config_selectorILb0EiEEZNS1_24adjacent_difference_implIS3_Lb0ELb0EPiS7_N6thrust23THRUST_200600_302600_NS5minusIiEEEE10hipError_tPvRmT2_T3_mT4_P12ihipStream_tbEUlT_E_NS1_11comp_targetILNS1_3genE9ELNS1_11target_archE1100ELNS1_3gpuE3ELNS1_3repE0EEENS1_30default_config_static_selectorELNS0_4arch9wavefront6targetE0EEEvT1_ ; -- Begin function _ZN7rocprim17ROCPRIM_400000_NS6detail17trampoline_kernelINS0_14default_configENS1_35adjacent_difference_config_selectorILb0EiEEZNS1_24adjacent_difference_implIS3_Lb0ELb0EPiS7_N6thrust23THRUST_200600_302600_NS5minusIiEEEE10hipError_tPvRmT2_T3_mT4_P12ihipStream_tbEUlT_E_NS1_11comp_targetILNS1_3genE9ELNS1_11target_archE1100ELNS1_3gpuE3ELNS1_3repE0EEENS1_30default_config_static_selectorELNS0_4arch9wavefront6targetE0EEEvT1_
	.globl	_ZN7rocprim17ROCPRIM_400000_NS6detail17trampoline_kernelINS0_14default_configENS1_35adjacent_difference_config_selectorILb0EiEEZNS1_24adjacent_difference_implIS3_Lb0ELb0EPiS7_N6thrust23THRUST_200600_302600_NS5minusIiEEEE10hipError_tPvRmT2_T3_mT4_P12ihipStream_tbEUlT_E_NS1_11comp_targetILNS1_3genE9ELNS1_11target_archE1100ELNS1_3gpuE3ELNS1_3repE0EEENS1_30default_config_static_selectorELNS0_4arch9wavefront6targetE0EEEvT1_
	.p2align	8
	.type	_ZN7rocprim17ROCPRIM_400000_NS6detail17trampoline_kernelINS0_14default_configENS1_35adjacent_difference_config_selectorILb0EiEEZNS1_24adjacent_difference_implIS3_Lb0ELb0EPiS7_N6thrust23THRUST_200600_302600_NS5minusIiEEEE10hipError_tPvRmT2_T3_mT4_P12ihipStream_tbEUlT_E_NS1_11comp_targetILNS1_3genE9ELNS1_11target_archE1100ELNS1_3gpuE3ELNS1_3repE0EEENS1_30default_config_static_selectorELNS0_4arch9wavefront6targetE0EEEvT1_,@function
_ZN7rocprim17ROCPRIM_400000_NS6detail17trampoline_kernelINS0_14default_configENS1_35adjacent_difference_config_selectorILb0EiEEZNS1_24adjacent_difference_implIS3_Lb0ELb0EPiS7_N6thrust23THRUST_200600_302600_NS5minusIiEEEE10hipError_tPvRmT2_T3_mT4_P12ihipStream_tbEUlT_E_NS1_11comp_targetILNS1_3genE9ELNS1_11target_archE1100ELNS1_3gpuE3ELNS1_3repE0EEENS1_30default_config_static_selectorELNS0_4arch9wavefront6targetE0EEEvT1_: ; @_ZN7rocprim17ROCPRIM_400000_NS6detail17trampoline_kernelINS0_14default_configENS1_35adjacent_difference_config_selectorILb0EiEEZNS1_24adjacent_difference_implIS3_Lb0ELb0EPiS7_N6thrust23THRUST_200600_302600_NS5minusIiEEEE10hipError_tPvRmT2_T3_mT4_P12ihipStream_tbEUlT_E_NS1_11comp_targetILNS1_3genE9ELNS1_11target_archE1100ELNS1_3gpuE3ELNS1_3repE0EEENS1_30default_config_static_selectorELNS0_4arch9wavefront6targetE0EEEvT1_
; %bb.0:
	s_load_b256 s[4:11], s[0:1], 0x0
	s_mov_b32 s2, 0x2cccca00
	s_waitcnt lgkmcnt(0)
	s_lshl_b64 s[6:7], s[6:7], 2
	s_delay_alu instid0(SALU_CYCLE_1) | instskip(SKIP_4) | instid1(VALU_DEP_1)
	s_add_u32 s17, s4, s6
	s_addc_u32 s18, s5, s7
	s_add_u32 s2, 0x230, s2
	s_addc_u32 s3, 0, 0
	v_add_co_u32 v1, s2, 0xa0000000, s2
	s_cmp_lg_u32 s2, 0
	s_addc_u32 s3, s3, 0xccccc
	s_delay_alu instid0(VALU_DEP_1) | instskip(SKIP_1) | instid1(VALU_DEP_1)
	v_readfirstlane_b32 s2, v1
	s_mul_i32 s4, s3, 0xffffec00
	s_mul_hi_u32 s5, s2, 0xffffec00
	s_mul_i32 s12, s2, 0xffffec00
	s_sub_i32 s5, s5, s2
	s_mul_hi_u32 s13, s2, s12
	s_add_i32 s5, s5, s4
	s_mul_hi_u32 s14, s3, s12
	s_mul_i32 s4, s3, s12
	s_mul_hi_u32 s12, s2, s5
	s_mul_i32 s2, s2, s5
	s_mul_hi_u32 s16, s3, s5
	s_add_u32 s2, s13, s2
	s_addc_u32 s12, 0, s12
	s_add_u32 s2, s2, s4
	s_mul_i32 s5, s3, s5
	s_addc_u32 s2, s12, s14
	s_addc_u32 s4, s16, 0
	s_add_u32 s2, s2, s5
	s_addc_u32 s4, 0, s4
	v_add_co_u32 v1, s2, v1, s2
	s_delay_alu instid0(VALU_DEP_1) | instskip(SKIP_1) | instid1(VALU_DEP_1)
	s_cmp_lg_u32 s2, 0
	s_addc_u32 s2, s3, s4
	v_readfirstlane_b32 s3, v1
	s_mul_i32 s5, s10, s2
	s_mul_hi_u32 s4, s10, s2
	s_mul_hi_u32 s12, s11, s2
	s_mul_i32 s2, s11, s2
	s_mul_hi_u32 s13, s10, s3
	s_mul_hi_u32 s14, s11, s3
	s_mul_i32 s3, s11, s3
	s_add_u32 s5, s13, s5
	s_addc_u32 s4, 0, s4
	s_add_u32 s3, s5, s3
	s_addc_u32 s3, s4, s14
	s_addc_u32 s4, s12, 0
	s_add_u32 s5, s3, s2
	s_addc_u32 s4, 0, s4
	s_mul_i32 s3, s5, 0x1400
	s_add_u32 s2, s5, 1
	v_sub_co_u32 v1, s3, s10, s3
	s_mul_hi_u32 s12, s5, 0x1400
	s_addc_u32 s13, s4, 0
	s_mul_i32 s14, s4, 0x1400
	s_delay_alu instid0(VALU_DEP_1)
	v_subrev_co_u32 v2, s16, 0x1400, v1
	s_add_u32 s19, s5, 2
	s_addc_u32 s20, s4, 0
	s_add_i32 s12, s12, s14
	s_cmp_lg_u32 s3, 0
	v_readfirstlane_b32 s3, v2
	s_subb_u32 s12, s11, s12
	s_cmp_lg_u32 s16, 0
	s_subb_u32 s14, s12, 0
	s_delay_alu instid0(VALU_DEP_1) | instskip(SKIP_4) | instid1(SALU_CYCLE_1)
	s_cmpk_gt_u32 s3, 0x13ff
	s_cselect_b32 s3, -1, 0
	s_cmp_eq_u32 s14, 0
	v_readfirstlane_b32 s14, v1
	s_cselect_b32 s3, s3, -1
	s_cmp_lg_u32 s3, 0
	s_cselect_b32 s16, s19, s2
	s_cselect_b32 s13, s20, s13
	s_cmpk_gt_u32 s14, 0x13ff
	s_mov_b32 s14, -1
	s_cselect_b32 s2, -1, 0
	s_cmp_eq_u32 s12, 0
	s_cselect_b32 s2, s2, -1
	s_delay_alu instid0(SALU_CYCLE_1)
	s_cmp_lg_u32 s2, 0
	s_load_b64 s[2:3], s[0:1], 0x30
	s_cselect_b32 s4, s13, s4
	s_cselect_b32 s5, s16, s5
	s_mul_i32 s0, s4, 0x1400
	s_mul_hi_u32 s1, s5, 0x1400
	s_mul_i32 s12, s5, 0x1400
	s_add_i32 s1, s1, s0
	s_sub_u32 s0, s10, s12
	s_subb_u32 s1, s11, s1
	s_delay_alu instid0(SALU_CYCLE_1) | instskip(SKIP_1) | instid1(SALU_CYCLE_1)
	s_cmp_lg_u64 s[0:1], 0
	s_cselect_b32 s0, -1, 0
	v_cndmask_b32_e64 v1, 0, 1, s0
	s_delay_alu instid0(VALU_DEP_1) | instskip(NEXT) | instid1(VALU_DEP_1)
	v_readfirstlane_b32 s0, v1
	s_add_u32 s0, s5, s0
	s_addc_u32 s1, s4, 0
	s_waitcnt lgkmcnt(0)
	s_add_u32 s4, s2, s15
	s_addc_u32 s5, s3, 0
	s_add_u32 s12, s0, -1
	s_addc_u32 s13, s1, -1
	s_mul_i32 s2, s15, 0x1400
	v_cmp_ge_u64_e64 s16, s[4:5], s[12:13]
	s_mov_b32 s3, 0
	s_mul_i32 s11, s12, 0xffffec00
	s_delay_alu instid0(VALU_DEP_1)
	s_and_b32 vcc_lo, exec_lo, s16
	s_cbranch_vccz .LBB313_12
; %bb.1:
	s_lshl_b64 s[14:15], s[2:3], 2
	s_add_i32 s19, s11, s10
	s_add_u32 s14, s17, s14
	s_addc_u32 s15, s18, s15
	s_mov_b32 s3, exec_lo
                                        ; implicit-def: $vgpr1_vgpr2_vgpr3_vgpr4_vgpr5
	v_cmpx_gt_u32_e64 s19, v0
	s_cbranch_execz .LBB313_3
; %bb.2:
	v_lshlrev_b32_e32 v1, 2, v0
	global_load_b32 v1, v1, s[14:15]
.LBB313_3:
	s_or_b32 exec_lo, exec_lo, s3
	v_or_b32_e32 v6, 0x400, v0
	s_mov_b32 s3, exec_lo
	s_delay_alu instid0(VALU_DEP_1)
	v_cmpx_gt_u32_e64 s19, v6
	s_cbranch_execz .LBB313_5
; %bb.4:
	v_lshlrev_b32_e32 v2, 2, v6
	global_load_b32 v2, v2, s[14:15]
.LBB313_5:
	s_or_b32 exec_lo, exec_lo, s3
	v_or_b32_e32 v6, 0x800, v0
	s_mov_b32 s3, exec_lo
	s_delay_alu instid0(VALU_DEP_1)
	;; [unrolled: 10-line block ×4, first 2 shown]
	v_cmpx_gt_u32_e64 s19, v6
	s_cbranch_execz .LBB313_11
; %bb.10:
	v_lshlrev_b32_e32 v5, 2, v6
	global_load_b32 v5, v5, s[14:15]
.LBB313_11:
	s_or_b32 exec_lo, exec_lo, s3
	v_lshlrev_b32_e32 v6, 2, v0
	s_mov_b32 s14, 0
	s_waitcnt vmcnt(0)
	ds_store_2addr_stride64_b32 v6, v1, v2 offset1:16
	ds_store_2addr_stride64_b32 v6, v3, v4 offset0:32 offset1:48
	ds_store_b32 v6, v5 offset:16384
	s_waitcnt lgkmcnt(0)
	s_barrier
.LBB313_12:
	v_lshlrev_b32_e32 v8, 2, v0
	s_and_b32 vcc_lo, exec_lo, s14
	s_cbranch_vccz .LBB313_14
; %bb.13:
	s_mov_b32 s3, 0
	s_delay_alu instid0(SALU_CYCLE_1) | instskip(NEXT) | instid1(SALU_CYCLE_1)
	s_lshl_b64 s[14:15], s[2:3], 2
	s_add_u32 s14, s17, s14
	s_addc_u32 s15, s18, s15
	v_add_co_u32 v3, s3, s14, v8
	s_delay_alu instid0(VALU_DEP_1) | instskip(NEXT) | instid1(VALU_DEP_2)
	v_add_co_ci_u32_e64 v4, null, s15, 0, s3
	v_add_co_u32 v1, vcc_lo, v3, 0x2000
	s_delay_alu instid0(VALU_DEP_2)
	v_add_co_ci_u32_e32 v2, vcc_lo, 0, v4, vcc_lo
	v_add_co_u32 v3, vcc_lo, v3, 0x4000
	v_add_co_ci_u32_e32 v4, vcc_lo, 0, v4, vcc_lo
	s_clause 0x4
	global_load_b32 v5, v8, s[14:15]
	global_load_b32 v6, v[1:2], off offset:-4096
	global_load_b32 v1, v[1:2], off
	global_load_b32 v2, v[3:4], off offset:-4096
	global_load_b32 v3, v[3:4], off
	s_waitcnt vmcnt(3)
	ds_store_2addr_stride64_b32 v8, v5, v6 offset1:16
	s_waitcnt vmcnt(1)
	ds_store_2addr_stride64_b32 v8, v1, v2 offset0:32 offset1:48
	s_waitcnt vmcnt(0)
	ds_store_b32 v8, v3 offset:16384
	s_waitcnt lgkmcnt(0)
	s_barrier
.LBB313_14:
	v_mul_u32_u24_e32 v1, 5, v0
	buffer_gl0_inv
	s_cmp_eq_u64 s[4:5], 0
	v_lshlrev_b32_e32 v5, 2, v1
	ds_load_2addr_b32 v[1:2], v5 offset1:1
	ds_load_2addr_b32 v[3:4], v5 offset0:2 offset1:3
	ds_load_b32 v5, v5 offset:16
	s_waitcnt lgkmcnt(0)
	s_barrier
	buffer_gl0_inv
	s_cbranch_scc1 .LBB313_19
; %bb.15:
	s_mov_b32 s3, 0
	s_delay_alu instid0(SALU_CYCLE_1) | instskip(NEXT) | instid1(SALU_CYCLE_1)
	s_lshl_b64 s[14:15], s[2:3], 2
	s_add_u32 s3, s17, s14
	s_addc_u32 s15, s18, s15
	s_add_u32 s14, s3, -4
	s_addc_u32 s15, s15, -1
	s_cmp_eq_u64 s[4:5], s[12:13]
	s_load_b32 s3, s[14:15], 0x0
	s_cbranch_scc1 .LBB313_20
; %bb.16:
	s_waitcnt lgkmcnt(0)
	v_mov_b32_e32 v6, s3
	s_mov_b32 s5, exec_lo
	ds_store_b32 v8, v5
	s_waitcnt lgkmcnt(0)
	s_barrier
	buffer_gl0_inv
	v_cmpx_ne_u32_e32 0, v0
	s_cbranch_execz .LBB313_18
; %bb.17:
	v_add_nc_u32_e32 v6, -4, v8
	ds_load_b32 v6, v6
.LBB313_18:
	s_or_b32 exec_lo, exec_lo, s5
	v_sub_nc_u32_e32 v9, v5, v4
	v_sub_nc_u32_e32 v10, v4, v3
	;; [unrolled: 1-line block ×4, first 2 shown]
	s_cbranch_execz .LBB313_21
	s_branch .LBB313_24
.LBB313_19:
	s_mov_b32 s3, 0
                                        ; implicit-def: $vgpr9
                                        ; implicit-def: $vgpr10
                                        ; implicit-def: $vgpr11
                                        ; implicit-def: $vgpr12
                                        ; implicit-def: $vgpr6
	s_branch .LBB313_25
.LBB313_20:
                                        ; implicit-def: $vgpr9
                                        ; implicit-def: $vgpr10
                                        ; implicit-def: $vgpr11
                                        ; implicit-def: $vgpr12
                                        ; implicit-def: $vgpr6
.LBB313_21:
	s_waitcnt lgkmcnt(0)
	v_mul_u32_u24_e32 v6, 5, v0
	v_mov_b32_e32 v7, s3
	s_mov_b32 s3, exec_lo
	ds_store_b32 v8, v5
	s_waitcnt lgkmcnt(0)
	s_barrier
	buffer_gl0_inv
	v_cmpx_ne_u32_e32 0, v0
	s_cbranch_execz .LBB313_23
; %bb.22:
	v_add_nc_u32_e32 v7, -4, v8
	ds_load_b32 v7, v7
.LBB313_23:
	s_or_b32 exec_lo, exec_lo, s3
	v_sub_nc_u32_e32 v11, v4, v3
	v_add_nc_u32_e32 v9, 4, v6
	s_mul_i32 s3, s4, 0xffffec00
	v_sub_nc_u32_e32 v10, v5, v4
	s_add_i32 s3, s3, s10
	v_sub_nc_u32_e32 v13, v3, v2
	v_cmp_gt_u32_e32 vcc_lo, s3, v9
	v_sub_nc_u32_e32 v15, v2, v1
	v_add_nc_u32_e32 v12, 2, v6
	v_add_nc_u32_e32 v14, 1, v6
	v_cndmask_b32_e32 v9, v5, v10, vcc_lo
	v_add_nc_u32_e32 v10, 3, v6
	s_delay_alu instid0(VALU_DEP_1)
	v_cmp_gt_u32_e32 vcc_lo, s3, v10
	v_cndmask_b32_e32 v10, v4, v11, vcc_lo
	v_cmp_gt_u32_e32 vcc_lo, s3, v12
	v_cndmask_b32_e32 v11, v3, v13, vcc_lo
	;; [unrolled: 2-line block ×3, first 2 shown]
	v_cmp_gt_u32_e32 vcc_lo, s3, v6
	s_waitcnt lgkmcnt(0)
	v_cndmask_b32_e32 v6, 0, v7, vcc_lo
.LBB313_24:
	s_waitcnt lgkmcnt(0)
	s_mov_b32 s3, -1
	s_cbranch_execnz .LBB313_33
.LBB313_25:
	v_sub_nc_u32_e32 v9, v5, v4
	v_sub_nc_u32_e32 v10, v4, v3
	;; [unrolled: 1-line block ×4, first 2 shown]
	v_cmp_ne_u32_e32 vcc_lo, 0, v0
	s_cmp_lg_u64 s[0:1], 1
	s_cbranch_scc0 .LBB313_29
; %bb.26:
	s_mov_b32 s0, 0
	ds_store_b32 v8, v5
	s_waitcnt lgkmcnt(0)
	s_barrier
	buffer_gl0_inv
                                        ; implicit-def: $vgpr6
	s_and_saveexec_b32 s1, vcc_lo
	s_cbranch_execz .LBB313_28
; %bb.27:
	v_add_nc_u32_e32 v6, -4, v8
	s_or_b32 s3, s3, exec_lo
	ds_load_b32 v6, v6
.LBB313_28:
	s_or_b32 exec_lo, exec_lo, s1
	s_delay_alu instid0(SALU_CYCLE_1)
	s_and_b32 vcc_lo, exec_lo, s0
	s_cbranch_vccnz .LBB313_30
	s_branch .LBB313_33
.LBB313_29:
                                        ; implicit-def: $vgpr6
	s_cbranch_execz .LBB313_33
.LBB313_30:
	s_waitcnt lgkmcnt(0)
	v_mad_u32_u24 v6, v0, 5, 4
	v_mad_u32_u24 v7, v0, 5, 3
	;; [unrolled: 1-line block ×3, first 2 shown]
	v_mul_u32_u24_e32 v13, 5, v0
	ds_store_b32 v8, v5
	v_cmp_gt_u32_e32 vcc_lo, s10, v6
	s_waitcnt lgkmcnt(0)
	s_barrier
	v_cmp_gt_u32_e64 s0, s10, v13
	buffer_gl0_inv
	v_cndmask_b32_e32 v9, v5, v9, vcc_lo
	v_cmp_gt_u32_e32 vcc_lo, s10, v7
                                        ; implicit-def: $vgpr6
	v_cndmask_b32_e32 v10, v4, v10, vcc_lo
	v_mad_u32_u24 v4, v0, 5, 1
	v_cmp_gt_u32_e32 vcc_lo, s10, v14
	s_delay_alu instid0(VALU_DEP_2) | instskip(SKIP_2) | instid1(VALU_DEP_3)
	v_cmp_gt_u32_e64 s1, s10, v4
	v_cndmask_b32_e32 v11, v3, v11, vcc_lo
	v_cmp_ne_u32_e32 vcc_lo, 0, v0
	v_cndmask_b32_e64 v12, v2, v12, s1
	s_and_b32 s1, vcc_lo, s0
	s_delay_alu instid0(SALU_CYCLE_1)
	s_and_saveexec_b32 s0, s1
	s_cbranch_execz .LBB313_32
; %bb.31:
	v_add_nc_u32_e32 v2, -4, v8
	s_or_b32 s3, s3, exec_lo
	ds_load_b32 v6, v2
.LBB313_32:
	s_or_b32 exec_lo, exec_lo, s0
.LBB313_33:
	s_and_saveexec_b32 s0, s3
	s_cbranch_execz .LBB313_35
; %bb.34:
	s_waitcnt lgkmcnt(0)
	v_sub_nc_u32_e32 v1, v1, v6
.LBB313_35:
	s_or_b32 exec_lo, exec_lo, s0
	v_mul_u32_u24_e32 v13, 20, v0
	v_lshlrev_b32_e32 v14, 4, v0
	s_add_u32 s1, s8, s6
	s_addc_u32 s0, s9, s7
	s_and_b32 vcc_lo, exec_lo, s16
	s_waitcnt lgkmcnt(0)
	s_barrier
	buffer_gl0_inv
	s_cbranch_vccz .LBB313_45
; %bb.36:
	v_sub_nc_u32_e32 v2, v13, v14
	ds_store_2addr_b32 v13, v1, v12 offset1:1
	ds_store_2addr_b32 v13, v11, v10 offset0:2 offset1:3
	ds_store_b32 v13, v9 offset:16
	s_waitcnt lgkmcnt(0)
	s_barrier
	buffer_gl0_inv
	ds_load_2addr_stride64_b32 v[6:7], v2 offset0:16 offset1:32
	ds_load_2addr_stride64_b32 v[2:3], v2 offset0:48 offset1:64
	s_mov_b32 s3, 0
	s_add_i32 s11, s11, s10
	s_lshl_b64 s[4:5], s[2:3], 2
	s_delay_alu instid0(SALU_CYCLE_1) | instskip(SKIP_2) | instid1(VALU_DEP_1)
	s_add_u32 s3, s1, s4
	s_addc_u32 s4, s0, s5
	v_add_co_u32 v4, s3, s3, v8
	v_add_co_ci_u32_e64 v5, null, s4, 0, s3
	s_mov_b32 s3, exec_lo
	v_cmpx_gt_u32_e64 s11, v0
	s_cbranch_execz .LBB313_38
; %bb.37:
	v_sub_nc_u32_e32 v15, 0, v14
	s_delay_alu instid0(VALU_DEP_1)
	v_add_nc_u32_e32 v15, v13, v15
	ds_load_b32 v15, v15
	s_waitcnt lgkmcnt(0)
	global_store_b32 v[4:5], v15, off
.LBB313_38:
	s_or_b32 exec_lo, exec_lo, s3
	v_or_b32_e32 v15, 0x400, v0
	s_mov_b32 s3, exec_lo
	s_delay_alu instid0(VALU_DEP_1)
	v_cmpx_gt_u32_e64 s11, v15
	s_cbranch_execz .LBB313_40
; %bb.39:
	v_add_co_u32 v15, vcc_lo, 0x1000, v4
	v_add_co_ci_u32_e32 v16, vcc_lo, 0, v5, vcc_lo
	s_waitcnt lgkmcnt(1)
	global_store_b32 v[15:16], v6, off
.LBB313_40:
	s_or_b32 exec_lo, exec_lo, s3
	s_waitcnt lgkmcnt(1)
	v_or_b32_e32 v6, 0x800, v0
	s_mov_b32 s3, exec_lo
	s_delay_alu instid0(VALU_DEP_1)
	v_cmpx_gt_u32_e64 s11, v6
	s_cbranch_execz .LBB313_42
; %bb.41:
	v_add_co_u32 v15, vcc_lo, 0x2000, v4
	v_add_co_ci_u32_e32 v16, vcc_lo, 0, v5, vcc_lo
	global_store_b32 v[15:16], v7, off
.LBB313_42:
	s_or_b32 exec_lo, exec_lo, s3
	v_or_b32_e32 v6, 0xc00, v0
	s_mov_b32 s3, exec_lo
	s_delay_alu instid0(VALU_DEP_1)
	v_cmpx_gt_u32_e64 s11, v6
	s_cbranch_execz .LBB313_44
; %bb.43:
	v_add_co_u32 v6, vcc_lo, 0x3000, v4
	v_add_co_ci_u32_e32 v7, vcc_lo, 0, v5, vcc_lo
	s_waitcnt lgkmcnt(0)
	global_store_b32 v[6:7], v2, off
.LBB313_44:
	s_or_b32 exec_lo, exec_lo, s3
	v_or_b32_e32 v0, 0x1000, v0
	s_delay_alu instid0(VALU_DEP_1)
	v_cmp_gt_u32_e64 s4, s11, v0
	s_branch .LBB313_47
.LBB313_45:
	s_mov_b32 s4, 0
                                        ; implicit-def: $vgpr3
                                        ; implicit-def: $vgpr4_vgpr5
	s_cbranch_execz .LBB313_47
; %bb.46:
	s_waitcnt lgkmcnt(0)
	v_sub_nc_u32_e32 v2, v13, v14
	s_mov_b32 s3, 0
	ds_store_2addr_b32 v13, v1, v12 offset1:1
	ds_store_2addr_b32 v13, v11, v10 offset0:2 offset1:3
	ds_store_b32 v13, v9 offset:16
	s_waitcnt lgkmcnt(0)
	s_waitcnt_vscnt null, 0x0
	s_barrier
	buffer_gl0_inv
	ds_load_2addr_stride64_b32 v[0:1], v2 offset1:16
	ds_load_2addr_stride64_b32 v[6:7], v2 offset0:32 offset1:48
	ds_load_b32 v3, v2 offset:16384
	s_lshl_b64 s[2:3], s[2:3], 2
	s_delay_alu instid0(SALU_CYCLE_1) | instskip(SKIP_2) | instid1(VALU_DEP_1)
	s_add_u32 s2, s1, s2
	s_addc_u32 s3, s0, s3
	v_add_co_u32 v4, s0, s2, v8
	v_add_co_ci_u32_e64 v5, null, s3, 0, s0
	s_or_b32 s4, s4, exec_lo
	s_delay_alu instid0(VALU_DEP_2) | instskip(NEXT) | instid1(VALU_DEP_2)
	v_add_co_u32 v9, vcc_lo, v4, 0x2000
	v_add_co_ci_u32_e32 v10, vcc_lo, 0, v5, vcc_lo
	v_add_co_u32 v11, vcc_lo, 0x3000, v4
	v_add_co_ci_u32_e32 v12, vcc_lo, 0, v5, vcc_lo
	s_waitcnt lgkmcnt(2)
	s_clause 0x1
	global_store_b32 v[9:10], v1, off offset:-4096
	global_store_b32 v8, v0, s[2:3]
	s_waitcnt lgkmcnt(1)
	s_clause 0x1
	global_store_b32 v[9:10], v6, off
	global_store_b32 v[11:12], v7, off
.LBB313_47:
	s_delay_alu instid0(VALU_DEP_1)
	s_and_saveexec_b32 s0, s4
	s_cbranch_execnz .LBB313_49
; %bb.48:
	s_nop 0
	s_sendmsg sendmsg(MSG_DEALLOC_VGPRS)
	s_endpgm
.LBB313_49:
	v_add_co_u32 v0, vcc_lo, 0x4000, v4
	v_add_co_ci_u32_e32 v1, vcc_lo, 0, v5, vcc_lo
	s_waitcnt lgkmcnt(0)
	global_store_b32 v[0:1], v3, off
	s_nop 0
	s_sendmsg sendmsg(MSG_DEALLOC_VGPRS)
	s_endpgm
	.section	.rodata,"a",@progbits
	.p2align	6, 0x0
	.amdhsa_kernel _ZN7rocprim17ROCPRIM_400000_NS6detail17trampoline_kernelINS0_14default_configENS1_35adjacent_difference_config_selectorILb0EiEEZNS1_24adjacent_difference_implIS3_Lb0ELb0EPiS7_N6thrust23THRUST_200600_302600_NS5minusIiEEEE10hipError_tPvRmT2_T3_mT4_P12ihipStream_tbEUlT_E_NS1_11comp_targetILNS1_3genE9ELNS1_11target_archE1100ELNS1_3gpuE3ELNS1_3repE0EEENS1_30default_config_static_selectorELNS0_4arch9wavefront6targetE0EEEvT1_
		.amdhsa_group_segment_fixed_size 20480
		.amdhsa_private_segment_fixed_size 0
		.amdhsa_kernarg_size 56
		.amdhsa_user_sgpr_count 15
		.amdhsa_user_sgpr_dispatch_ptr 0
		.amdhsa_user_sgpr_queue_ptr 0
		.amdhsa_user_sgpr_kernarg_segment_ptr 1
		.amdhsa_user_sgpr_dispatch_id 0
		.amdhsa_user_sgpr_private_segment_size 0
		.amdhsa_wavefront_size32 1
		.amdhsa_uses_dynamic_stack 0
		.amdhsa_enable_private_segment 0
		.amdhsa_system_sgpr_workgroup_id_x 1
		.amdhsa_system_sgpr_workgroup_id_y 0
		.amdhsa_system_sgpr_workgroup_id_z 0
		.amdhsa_system_sgpr_workgroup_info 0
		.amdhsa_system_vgpr_workitem_id 0
		.amdhsa_next_free_vgpr 17
		.amdhsa_next_free_sgpr 21
		.amdhsa_reserve_vcc 1
		.amdhsa_float_round_mode_32 0
		.amdhsa_float_round_mode_16_64 0
		.amdhsa_float_denorm_mode_32 3
		.amdhsa_float_denorm_mode_16_64 3
		.amdhsa_dx10_clamp 1
		.amdhsa_ieee_mode 1
		.amdhsa_fp16_overflow 0
		.amdhsa_workgroup_processor_mode 1
		.amdhsa_memory_ordered 1
		.amdhsa_forward_progress 0
		.amdhsa_shared_vgpr_count 0
		.amdhsa_exception_fp_ieee_invalid_op 0
		.amdhsa_exception_fp_denorm_src 0
		.amdhsa_exception_fp_ieee_div_zero 0
		.amdhsa_exception_fp_ieee_overflow 0
		.amdhsa_exception_fp_ieee_underflow 0
		.amdhsa_exception_fp_ieee_inexact 0
		.amdhsa_exception_int_div_zero 0
	.end_amdhsa_kernel
	.section	.text._ZN7rocprim17ROCPRIM_400000_NS6detail17trampoline_kernelINS0_14default_configENS1_35adjacent_difference_config_selectorILb0EiEEZNS1_24adjacent_difference_implIS3_Lb0ELb0EPiS7_N6thrust23THRUST_200600_302600_NS5minusIiEEEE10hipError_tPvRmT2_T3_mT4_P12ihipStream_tbEUlT_E_NS1_11comp_targetILNS1_3genE9ELNS1_11target_archE1100ELNS1_3gpuE3ELNS1_3repE0EEENS1_30default_config_static_selectorELNS0_4arch9wavefront6targetE0EEEvT1_,"axG",@progbits,_ZN7rocprim17ROCPRIM_400000_NS6detail17trampoline_kernelINS0_14default_configENS1_35adjacent_difference_config_selectorILb0EiEEZNS1_24adjacent_difference_implIS3_Lb0ELb0EPiS7_N6thrust23THRUST_200600_302600_NS5minusIiEEEE10hipError_tPvRmT2_T3_mT4_P12ihipStream_tbEUlT_E_NS1_11comp_targetILNS1_3genE9ELNS1_11target_archE1100ELNS1_3gpuE3ELNS1_3repE0EEENS1_30default_config_static_selectorELNS0_4arch9wavefront6targetE0EEEvT1_,comdat
.Lfunc_end313:
	.size	_ZN7rocprim17ROCPRIM_400000_NS6detail17trampoline_kernelINS0_14default_configENS1_35adjacent_difference_config_selectorILb0EiEEZNS1_24adjacent_difference_implIS3_Lb0ELb0EPiS7_N6thrust23THRUST_200600_302600_NS5minusIiEEEE10hipError_tPvRmT2_T3_mT4_P12ihipStream_tbEUlT_E_NS1_11comp_targetILNS1_3genE9ELNS1_11target_archE1100ELNS1_3gpuE3ELNS1_3repE0EEENS1_30default_config_static_selectorELNS0_4arch9wavefront6targetE0EEEvT1_, .Lfunc_end313-_ZN7rocprim17ROCPRIM_400000_NS6detail17trampoline_kernelINS0_14default_configENS1_35adjacent_difference_config_selectorILb0EiEEZNS1_24adjacent_difference_implIS3_Lb0ELb0EPiS7_N6thrust23THRUST_200600_302600_NS5minusIiEEEE10hipError_tPvRmT2_T3_mT4_P12ihipStream_tbEUlT_E_NS1_11comp_targetILNS1_3genE9ELNS1_11target_archE1100ELNS1_3gpuE3ELNS1_3repE0EEENS1_30default_config_static_selectorELNS0_4arch9wavefront6targetE0EEEvT1_
                                        ; -- End function
	.section	.AMDGPU.csdata,"",@progbits
; Kernel info:
; codeLenInByte = 2308
; NumSgprs: 23
; NumVgprs: 17
; ScratchSize: 0
; MemoryBound: 0
; FloatMode: 240
; IeeeMode: 1
; LDSByteSize: 20480 bytes/workgroup (compile time only)
; SGPRBlocks: 2
; VGPRBlocks: 2
; NumSGPRsForWavesPerEU: 23
; NumVGPRsForWavesPerEU: 17
; Occupancy: 16
; WaveLimiterHint : 1
; COMPUTE_PGM_RSRC2:SCRATCH_EN: 0
; COMPUTE_PGM_RSRC2:USER_SGPR: 15
; COMPUTE_PGM_RSRC2:TRAP_HANDLER: 0
; COMPUTE_PGM_RSRC2:TGID_X_EN: 1
; COMPUTE_PGM_RSRC2:TGID_Y_EN: 0
; COMPUTE_PGM_RSRC2:TGID_Z_EN: 0
; COMPUTE_PGM_RSRC2:TIDIG_COMP_CNT: 0
	.section	.text._ZN7rocprim17ROCPRIM_400000_NS6detail17trampoline_kernelINS0_14default_configENS1_35adjacent_difference_config_selectorILb0EiEEZNS1_24adjacent_difference_implIS3_Lb0ELb0EPiS7_N6thrust23THRUST_200600_302600_NS5minusIiEEEE10hipError_tPvRmT2_T3_mT4_P12ihipStream_tbEUlT_E_NS1_11comp_targetILNS1_3genE8ELNS1_11target_archE1030ELNS1_3gpuE2ELNS1_3repE0EEENS1_30default_config_static_selectorELNS0_4arch9wavefront6targetE0EEEvT1_,"axG",@progbits,_ZN7rocprim17ROCPRIM_400000_NS6detail17trampoline_kernelINS0_14default_configENS1_35adjacent_difference_config_selectorILb0EiEEZNS1_24adjacent_difference_implIS3_Lb0ELb0EPiS7_N6thrust23THRUST_200600_302600_NS5minusIiEEEE10hipError_tPvRmT2_T3_mT4_P12ihipStream_tbEUlT_E_NS1_11comp_targetILNS1_3genE8ELNS1_11target_archE1030ELNS1_3gpuE2ELNS1_3repE0EEENS1_30default_config_static_selectorELNS0_4arch9wavefront6targetE0EEEvT1_,comdat
	.protected	_ZN7rocprim17ROCPRIM_400000_NS6detail17trampoline_kernelINS0_14default_configENS1_35adjacent_difference_config_selectorILb0EiEEZNS1_24adjacent_difference_implIS3_Lb0ELb0EPiS7_N6thrust23THRUST_200600_302600_NS5minusIiEEEE10hipError_tPvRmT2_T3_mT4_P12ihipStream_tbEUlT_E_NS1_11comp_targetILNS1_3genE8ELNS1_11target_archE1030ELNS1_3gpuE2ELNS1_3repE0EEENS1_30default_config_static_selectorELNS0_4arch9wavefront6targetE0EEEvT1_ ; -- Begin function _ZN7rocprim17ROCPRIM_400000_NS6detail17trampoline_kernelINS0_14default_configENS1_35adjacent_difference_config_selectorILb0EiEEZNS1_24adjacent_difference_implIS3_Lb0ELb0EPiS7_N6thrust23THRUST_200600_302600_NS5minusIiEEEE10hipError_tPvRmT2_T3_mT4_P12ihipStream_tbEUlT_E_NS1_11comp_targetILNS1_3genE8ELNS1_11target_archE1030ELNS1_3gpuE2ELNS1_3repE0EEENS1_30default_config_static_selectorELNS0_4arch9wavefront6targetE0EEEvT1_
	.globl	_ZN7rocprim17ROCPRIM_400000_NS6detail17trampoline_kernelINS0_14default_configENS1_35adjacent_difference_config_selectorILb0EiEEZNS1_24adjacent_difference_implIS3_Lb0ELb0EPiS7_N6thrust23THRUST_200600_302600_NS5minusIiEEEE10hipError_tPvRmT2_T3_mT4_P12ihipStream_tbEUlT_E_NS1_11comp_targetILNS1_3genE8ELNS1_11target_archE1030ELNS1_3gpuE2ELNS1_3repE0EEENS1_30default_config_static_selectorELNS0_4arch9wavefront6targetE0EEEvT1_
	.p2align	8
	.type	_ZN7rocprim17ROCPRIM_400000_NS6detail17trampoline_kernelINS0_14default_configENS1_35adjacent_difference_config_selectorILb0EiEEZNS1_24adjacent_difference_implIS3_Lb0ELb0EPiS7_N6thrust23THRUST_200600_302600_NS5minusIiEEEE10hipError_tPvRmT2_T3_mT4_P12ihipStream_tbEUlT_E_NS1_11comp_targetILNS1_3genE8ELNS1_11target_archE1030ELNS1_3gpuE2ELNS1_3repE0EEENS1_30default_config_static_selectorELNS0_4arch9wavefront6targetE0EEEvT1_,@function
_ZN7rocprim17ROCPRIM_400000_NS6detail17trampoline_kernelINS0_14default_configENS1_35adjacent_difference_config_selectorILb0EiEEZNS1_24adjacent_difference_implIS3_Lb0ELb0EPiS7_N6thrust23THRUST_200600_302600_NS5minusIiEEEE10hipError_tPvRmT2_T3_mT4_P12ihipStream_tbEUlT_E_NS1_11comp_targetILNS1_3genE8ELNS1_11target_archE1030ELNS1_3gpuE2ELNS1_3repE0EEENS1_30default_config_static_selectorELNS0_4arch9wavefront6targetE0EEEvT1_: ; @_ZN7rocprim17ROCPRIM_400000_NS6detail17trampoline_kernelINS0_14default_configENS1_35adjacent_difference_config_selectorILb0EiEEZNS1_24adjacent_difference_implIS3_Lb0ELb0EPiS7_N6thrust23THRUST_200600_302600_NS5minusIiEEEE10hipError_tPvRmT2_T3_mT4_P12ihipStream_tbEUlT_E_NS1_11comp_targetILNS1_3genE8ELNS1_11target_archE1030ELNS1_3gpuE2ELNS1_3repE0EEENS1_30default_config_static_selectorELNS0_4arch9wavefront6targetE0EEEvT1_
; %bb.0:
	.section	.rodata,"a",@progbits
	.p2align	6, 0x0
	.amdhsa_kernel _ZN7rocprim17ROCPRIM_400000_NS6detail17trampoline_kernelINS0_14default_configENS1_35adjacent_difference_config_selectorILb0EiEEZNS1_24adjacent_difference_implIS3_Lb0ELb0EPiS7_N6thrust23THRUST_200600_302600_NS5minusIiEEEE10hipError_tPvRmT2_T3_mT4_P12ihipStream_tbEUlT_E_NS1_11comp_targetILNS1_3genE8ELNS1_11target_archE1030ELNS1_3gpuE2ELNS1_3repE0EEENS1_30default_config_static_selectorELNS0_4arch9wavefront6targetE0EEEvT1_
		.amdhsa_group_segment_fixed_size 0
		.amdhsa_private_segment_fixed_size 0
		.amdhsa_kernarg_size 56
		.amdhsa_user_sgpr_count 15
		.amdhsa_user_sgpr_dispatch_ptr 0
		.amdhsa_user_sgpr_queue_ptr 0
		.amdhsa_user_sgpr_kernarg_segment_ptr 1
		.amdhsa_user_sgpr_dispatch_id 0
		.amdhsa_user_sgpr_private_segment_size 0
		.amdhsa_wavefront_size32 1
		.amdhsa_uses_dynamic_stack 0
		.amdhsa_enable_private_segment 0
		.amdhsa_system_sgpr_workgroup_id_x 1
		.amdhsa_system_sgpr_workgroup_id_y 0
		.amdhsa_system_sgpr_workgroup_id_z 0
		.amdhsa_system_sgpr_workgroup_info 0
		.amdhsa_system_vgpr_workitem_id 0
		.amdhsa_next_free_vgpr 1
		.amdhsa_next_free_sgpr 1
		.amdhsa_reserve_vcc 0
		.amdhsa_float_round_mode_32 0
		.amdhsa_float_round_mode_16_64 0
		.amdhsa_float_denorm_mode_32 3
		.amdhsa_float_denorm_mode_16_64 3
		.amdhsa_dx10_clamp 1
		.amdhsa_ieee_mode 1
		.amdhsa_fp16_overflow 0
		.amdhsa_workgroup_processor_mode 1
		.amdhsa_memory_ordered 1
		.amdhsa_forward_progress 0
		.amdhsa_shared_vgpr_count 0
		.amdhsa_exception_fp_ieee_invalid_op 0
		.amdhsa_exception_fp_denorm_src 0
		.amdhsa_exception_fp_ieee_div_zero 0
		.amdhsa_exception_fp_ieee_overflow 0
		.amdhsa_exception_fp_ieee_underflow 0
		.amdhsa_exception_fp_ieee_inexact 0
		.amdhsa_exception_int_div_zero 0
	.end_amdhsa_kernel
	.section	.text._ZN7rocprim17ROCPRIM_400000_NS6detail17trampoline_kernelINS0_14default_configENS1_35adjacent_difference_config_selectorILb0EiEEZNS1_24adjacent_difference_implIS3_Lb0ELb0EPiS7_N6thrust23THRUST_200600_302600_NS5minusIiEEEE10hipError_tPvRmT2_T3_mT4_P12ihipStream_tbEUlT_E_NS1_11comp_targetILNS1_3genE8ELNS1_11target_archE1030ELNS1_3gpuE2ELNS1_3repE0EEENS1_30default_config_static_selectorELNS0_4arch9wavefront6targetE0EEEvT1_,"axG",@progbits,_ZN7rocprim17ROCPRIM_400000_NS6detail17trampoline_kernelINS0_14default_configENS1_35adjacent_difference_config_selectorILb0EiEEZNS1_24adjacent_difference_implIS3_Lb0ELb0EPiS7_N6thrust23THRUST_200600_302600_NS5minusIiEEEE10hipError_tPvRmT2_T3_mT4_P12ihipStream_tbEUlT_E_NS1_11comp_targetILNS1_3genE8ELNS1_11target_archE1030ELNS1_3gpuE2ELNS1_3repE0EEENS1_30default_config_static_selectorELNS0_4arch9wavefront6targetE0EEEvT1_,comdat
.Lfunc_end314:
	.size	_ZN7rocprim17ROCPRIM_400000_NS6detail17trampoline_kernelINS0_14default_configENS1_35adjacent_difference_config_selectorILb0EiEEZNS1_24adjacent_difference_implIS3_Lb0ELb0EPiS7_N6thrust23THRUST_200600_302600_NS5minusIiEEEE10hipError_tPvRmT2_T3_mT4_P12ihipStream_tbEUlT_E_NS1_11comp_targetILNS1_3genE8ELNS1_11target_archE1030ELNS1_3gpuE2ELNS1_3repE0EEENS1_30default_config_static_selectorELNS0_4arch9wavefront6targetE0EEEvT1_, .Lfunc_end314-_ZN7rocprim17ROCPRIM_400000_NS6detail17trampoline_kernelINS0_14default_configENS1_35adjacent_difference_config_selectorILb0EiEEZNS1_24adjacent_difference_implIS3_Lb0ELb0EPiS7_N6thrust23THRUST_200600_302600_NS5minusIiEEEE10hipError_tPvRmT2_T3_mT4_P12ihipStream_tbEUlT_E_NS1_11comp_targetILNS1_3genE8ELNS1_11target_archE1030ELNS1_3gpuE2ELNS1_3repE0EEENS1_30default_config_static_selectorELNS0_4arch9wavefront6targetE0EEEvT1_
                                        ; -- End function
	.section	.AMDGPU.csdata,"",@progbits
; Kernel info:
; codeLenInByte = 0
; NumSgprs: 0
; NumVgprs: 0
; ScratchSize: 0
; MemoryBound: 0
; FloatMode: 240
; IeeeMode: 1
; LDSByteSize: 0 bytes/workgroup (compile time only)
; SGPRBlocks: 0
; VGPRBlocks: 0
; NumSGPRsForWavesPerEU: 1
; NumVGPRsForWavesPerEU: 1
; Occupancy: 16
; WaveLimiterHint : 0
; COMPUTE_PGM_RSRC2:SCRATCH_EN: 0
; COMPUTE_PGM_RSRC2:USER_SGPR: 15
; COMPUTE_PGM_RSRC2:TRAP_HANDLER: 0
; COMPUTE_PGM_RSRC2:TGID_X_EN: 1
; COMPUTE_PGM_RSRC2:TGID_Y_EN: 0
; COMPUTE_PGM_RSRC2:TGID_Z_EN: 0
; COMPUTE_PGM_RSRC2:TIDIG_COMP_CNT: 0
	.section	.text._ZN7rocprim17ROCPRIM_400000_NS6detail17trampoline_kernelINS0_14default_configENS1_25transform_config_selectorIiLb0EEEZNS1_14transform_implILb0ES3_S5_NS0_18transform_iteratorINS0_17counting_iteratorImlEEZNS1_24adjacent_difference_implIS3_Lb1ELb0EPiSB_N6thrust23THRUST_200600_302600_NS5minusIiEEEE10hipError_tPvRmT2_T3_mT4_P12ihipStream_tbEUlmE_iEESB_NS0_8identityIvEEEESG_SJ_SK_mSL_SN_bEUlT_E_NS1_11comp_targetILNS1_3genE0ELNS1_11target_archE4294967295ELNS1_3gpuE0ELNS1_3repE0EEENS1_30default_config_static_selectorELNS0_4arch9wavefront6targetE0EEEvT1_,"axG",@progbits,_ZN7rocprim17ROCPRIM_400000_NS6detail17trampoline_kernelINS0_14default_configENS1_25transform_config_selectorIiLb0EEEZNS1_14transform_implILb0ES3_S5_NS0_18transform_iteratorINS0_17counting_iteratorImlEEZNS1_24adjacent_difference_implIS3_Lb1ELb0EPiSB_N6thrust23THRUST_200600_302600_NS5minusIiEEEE10hipError_tPvRmT2_T3_mT4_P12ihipStream_tbEUlmE_iEESB_NS0_8identityIvEEEESG_SJ_SK_mSL_SN_bEUlT_E_NS1_11comp_targetILNS1_3genE0ELNS1_11target_archE4294967295ELNS1_3gpuE0ELNS1_3repE0EEENS1_30default_config_static_selectorELNS0_4arch9wavefront6targetE0EEEvT1_,comdat
	.protected	_ZN7rocprim17ROCPRIM_400000_NS6detail17trampoline_kernelINS0_14default_configENS1_25transform_config_selectorIiLb0EEEZNS1_14transform_implILb0ES3_S5_NS0_18transform_iteratorINS0_17counting_iteratorImlEEZNS1_24adjacent_difference_implIS3_Lb1ELb0EPiSB_N6thrust23THRUST_200600_302600_NS5minusIiEEEE10hipError_tPvRmT2_T3_mT4_P12ihipStream_tbEUlmE_iEESB_NS0_8identityIvEEEESG_SJ_SK_mSL_SN_bEUlT_E_NS1_11comp_targetILNS1_3genE0ELNS1_11target_archE4294967295ELNS1_3gpuE0ELNS1_3repE0EEENS1_30default_config_static_selectorELNS0_4arch9wavefront6targetE0EEEvT1_ ; -- Begin function _ZN7rocprim17ROCPRIM_400000_NS6detail17trampoline_kernelINS0_14default_configENS1_25transform_config_selectorIiLb0EEEZNS1_14transform_implILb0ES3_S5_NS0_18transform_iteratorINS0_17counting_iteratorImlEEZNS1_24adjacent_difference_implIS3_Lb1ELb0EPiSB_N6thrust23THRUST_200600_302600_NS5minusIiEEEE10hipError_tPvRmT2_T3_mT4_P12ihipStream_tbEUlmE_iEESB_NS0_8identityIvEEEESG_SJ_SK_mSL_SN_bEUlT_E_NS1_11comp_targetILNS1_3genE0ELNS1_11target_archE4294967295ELNS1_3gpuE0ELNS1_3repE0EEENS1_30default_config_static_selectorELNS0_4arch9wavefront6targetE0EEEvT1_
	.globl	_ZN7rocprim17ROCPRIM_400000_NS6detail17trampoline_kernelINS0_14default_configENS1_25transform_config_selectorIiLb0EEEZNS1_14transform_implILb0ES3_S5_NS0_18transform_iteratorINS0_17counting_iteratorImlEEZNS1_24adjacent_difference_implIS3_Lb1ELb0EPiSB_N6thrust23THRUST_200600_302600_NS5minusIiEEEE10hipError_tPvRmT2_T3_mT4_P12ihipStream_tbEUlmE_iEESB_NS0_8identityIvEEEESG_SJ_SK_mSL_SN_bEUlT_E_NS1_11comp_targetILNS1_3genE0ELNS1_11target_archE4294967295ELNS1_3gpuE0ELNS1_3repE0EEENS1_30default_config_static_selectorELNS0_4arch9wavefront6targetE0EEEvT1_
	.p2align	8
	.type	_ZN7rocprim17ROCPRIM_400000_NS6detail17trampoline_kernelINS0_14default_configENS1_25transform_config_selectorIiLb0EEEZNS1_14transform_implILb0ES3_S5_NS0_18transform_iteratorINS0_17counting_iteratorImlEEZNS1_24adjacent_difference_implIS3_Lb1ELb0EPiSB_N6thrust23THRUST_200600_302600_NS5minusIiEEEE10hipError_tPvRmT2_T3_mT4_P12ihipStream_tbEUlmE_iEESB_NS0_8identityIvEEEESG_SJ_SK_mSL_SN_bEUlT_E_NS1_11comp_targetILNS1_3genE0ELNS1_11target_archE4294967295ELNS1_3gpuE0ELNS1_3repE0EEENS1_30default_config_static_selectorELNS0_4arch9wavefront6targetE0EEEvT1_,@function
_ZN7rocprim17ROCPRIM_400000_NS6detail17trampoline_kernelINS0_14default_configENS1_25transform_config_selectorIiLb0EEEZNS1_14transform_implILb0ES3_S5_NS0_18transform_iteratorINS0_17counting_iteratorImlEEZNS1_24adjacent_difference_implIS3_Lb1ELb0EPiSB_N6thrust23THRUST_200600_302600_NS5minusIiEEEE10hipError_tPvRmT2_T3_mT4_P12ihipStream_tbEUlmE_iEESB_NS0_8identityIvEEEESG_SJ_SK_mSL_SN_bEUlT_E_NS1_11comp_targetILNS1_3genE0ELNS1_11target_archE4294967295ELNS1_3gpuE0ELNS1_3repE0EEENS1_30default_config_static_selectorELNS0_4arch9wavefront6targetE0EEEvT1_: ; @_ZN7rocprim17ROCPRIM_400000_NS6detail17trampoline_kernelINS0_14default_configENS1_25transform_config_selectorIiLb0EEEZNS1_14transform_implILb0ES3_S5_NS0_18transform_iteratorINS0_17counting_iteratorImlEEZNS1_24adjacent_difference_implIS3_Lb1ELb0EPiSB_N6thrust23THRUST_200600_302600_NS5minusIiEEEE10hipError_tPvRmT2_T3_mT4_P12ihipStream_tbEUlmE_iEESB_NS0_8identityIvEEEESG_SJ_SK_mSL_SN_bEUlT_E_NS1_11comp_targetILNS1_3genE0ELNS1_11target_archE4294967295ELNS1_3gpuE0ELNS1_3repE0EEENS1_30default_config_static_selectorELNS0_4arch9wavefront6targetE0EEEvT1_
; %bb.0:
	.section	.rodata,"a",@progbits
	.p2align	6, 0x0
	.amdhsa_kernel _ZN7rocprim17ROCPRIM_400000_NS6detail17trampoline_kernelINS0_14default_configENS1_25transform_config_selectorIiLb0EEEZNS1_14transform_implILb0ES3_S5_NS0_18transform_iteratorINS0_17counting_iteratorImlEEZNS1_24adjacent_difference_implIS3_Lb1ELb0EPiSB_N6thrust23THRUST_200600_302600_NS5minusIiEEEE10hipError_tPvRmT2_T3_mT4_P12ihipStream_tbEUlmE_iEESB_NS0_8identityIvEEEESG_SJ_SK_mSL_SN_bEUlT_E_NS1_11comp_targetILNS1_3genE0ELNS1_11target_archE4294967295ELNS1_3gpuE0ELNS1_3repE0EEENS1_30default_config_static_selectorELNS0_4arch9wavefront6targetE0EEEvT1_
		.amdhsa_group_segment_fixed_size 0
		.amdhsa_private_segment_fixed_size 0
		.amdhsa_kernarg_size 56
		.amdhsa_user_sgpr_count 15
		.amdhsa_user_sgpr_dispatch_ptr 0
		.amdhsa_user_sgpr_queue_ptr 0
		.amdhsa_user_sgpr_kernarg_segment_ptr 1
		.amdhsa_user_sgpr_dispatch_id 0
		.amdhsa_user_sgpr_private_segment_size 0
		.amdhsa_wavefront_size32 1
		.amdhsa_uses_dynamic_stack 0
		.amdhsa_enable_private_segment 0
		.amdhsa_system_sgpr_workgroup_id_x 1
		.amdhsa_system_sgpr_workgroup_id_y 0
		.amdhsa_system_sgpr_workgroup_id_z 0
		.amdhsa_system_sgpr_workgroup_info 0
		.amdhsa_system_vgpr_workitem_id 0
		.amdhsa_next_free_vgpr 1
		.amdhsa_next_free_sgpr 1
		.amdhsa_reserve_vcc 0
		.amdhsa_float_round_mode_32 0
		.amdhsa_float_round_mode_16_64 0
		.amdhsa_float_denorm_mode_32 3
		.amdhsa_float_denorm_mode_16_64 3
		.amdhsa_dx10_clamp 1
		.amdhsa_ieee_mode 1
		.amdhsa_fp16_overflow 0
		.amdhsa_workgroup_processor_mode 1
		.amdhsa_memory_ordered 1
		.amdhsa_forward_progress 0
		.amdhsa_shared_vgpr_count 0
		.amdhsa_exception_fp_ieee_invalid_op 0
		.amdhsa_exception_fp_denorm_src 0
		.amdhsa_exception_fp_ieee_div_zero 0
		.amdhsa_exception_fp_ieee_overflow 0
		.amdhsa_exception_fp_ieee_underflow 0
		.amdhsa_exception_fp_ieee_inexact 0
		.amdhsa_exception_int_div_zero 0
	.end_amdhsa_kernel
	.section	.text._ZN7rocprim17ROCPRIM_400000_NS6detail17trampoline_kernelINS0_14default_configENS1_25transform_config_selectorIiLb0EEEZNS1_14transform_implILb0ES3_S5_NS0_18transform_iteratorINS0_17counting_iteratorImlEEZNS1_24adjacent_difference_implIS3_Lb1ELb0EPiSB_N6thrust23THRUST_200600_302600_NS5minusIiEEEE10hipError_tPvRmT2_T3_mT4_P12ihipStream_tbEUlmE_iEESB_NS0_8identityIvEEEESG_SJ_SK_mSL_SN_bEUlT_E_NS1_11comp_targetILNS1_3genE0ELNS1_11target_archE4294967295ELNS1_3gpuE0ELNS1_3repE0EEENS1_30default_config_static_selectorELNS0_4arch9wavefront6targetE0EEEvT1_,"axG",@progbits,_ZN7rocprim17ROCPRIM_400000_NS6detail17trampoline_kernelINS0_14default_configENS1_25transform_config_selectorIiLb0EEEZNS1_14transform_implILb0ES3_S5_NS0_18transform_iteratorINS0_17counting_iteratorImlEEZNS1_24adjacent_difference_implIS3_Lb1ELb0EPiSB_N6thrust23THRUST_200600_302600_NS5minusIiEEEE10hipError_tPvRmT2_T3_mT4_P12ihipStream_tbEUlmE_iEESB_NS0_8identityIvEEEESG_SJ_SK_mSL_SN_bEUlT_E_NS1_11comp_targetILNS1_3genE0ELNS1_11target_archE4294967295ELNS1_3gpuE0ELNS1_3repE0EEENS1_30default_config_static_selectorELNS0_4arch9wavefront6targetE0EEEvT1_,comdat
.Lfunc_end315:
	.size	_ZN7rocprim17ROCPRIM_400000_NS6detail17trampoline_kernelINS0_14default_configENS1_25transform_config_selectorIiLb0EEEZNS1_14transform_implILb0ES3_S5_NS0_18transform_iteratorINS0_17counting_iteratorImlEEZNS1_24adjacent_difference_implIS3_Lb1ELb0EPiSB_N6thrust23THRUST_200600_302600_NS5minusIiEEEE10hipError_tPvRmT2_T3_mT4_P12ihipStream_tbEUlmE_iEESB_NS0_8identityIvEEEESG_SJ_SK_mSL_SN_bEUlT_E_NS1_11comp_targetILNS1_3genE0ELNS1_11target_archE4294967295ELNS1_3gpuE0ELNS1_3repE0EEENS1_30default_config_static_selectorELNS0_4arch9wavefront6targetE0EEEvT1_, .Lfunc_end315-_ZN7rocprim17ROCPRIM_400000_NS6detail17trampoline_kernelINS0_14default_configENS1_25transform_config_selectorIiLb0EEEZNS1_14transform_implILb0ES3_S5_NS0_18transform_iteratorINS0_17counting_iteratorImlEEZNS1_24adjacent_difference_implIS3_Lb1ELb0EPiSB_N6thrust23THRUST_200600_302600_NS5minusIiEEEE10hipError_tPvRmT2_T3_mT4_P12ihipStream_tbEUlmE_iEESB_NS0_8identityIvEEEESG_SJ_SK_mSL_SN_bEUlT_E_NS1_11comp_targetILNS1_3genE0ELNS1_11target_archE4294967295ELNS1_3gpuE0ELNS1_3repE0EEENS1_30default_config_static_selectorELNS0_4arch9wavefront6targetE0EEEvT1_
                                        ; -- End function
	.section	.AMDGPU.csdata,"",@progbits
; Kernel info:
; codeLenInByte = 0
; NumSgprs: 0
; NumVgprs: 0
; ScratchSize: 0
; MemoryBound: 0
; FloatMode: 240
; IeeeMode: 1
; LDSByteSize: 0 bytes/workgroup (compile time only)
; SGPRBlocks: 0
; VGPRBlocks: 0
; NumSGPRsForWavesPerEU: 1
; NumVGPRsForWavesPerEU: 1
; Occupancy: 16
; WaveLimiterHint : 0
; COMPUTE_PGM_RSRC2:SCRATCH_EN: 0
; COMPUTE_PGM_RSRC2:USER_SGPR: 15
; COMPUTE_PGM_RSRC2:TRAP_HANDLER: 0
; COMPUTE_PGM_RSRC2:TGID_X_EN: 1
; COMPUTE_PGM_RSRC2:TGID_Y_EN: 0
; COMPUTE_PGM_RSRC2:TGID_Z_EN: 0
; COMPUTE_PGM_RSRC2:TIDIG_COMP_CNT: 0
	.section	.text._ZN7rocprim17ROCPRIM_400000_NS6detail17trampoline_kernelINS0_14default_configENS1_25transform_config_selectorIiLb0EEEZNS1_14transform_implILb0ES3_S5_NS0_18transform_iteratorINS0_17counting_iteratorImlEEZNS1_24adjacent_difference_implIS3_Lb1ELb0EPiSB_N6thrust23THRUST_200600_302600_NS5minusIiEEEE10hipError_tPvRmT2_T3_mT4_P12ihipStream_tbEUlmE_iEESB_NS0_8identityIvEEEESG_SJ_SK_mSL_SN_bEUlT_E_NS1_11comp_targetILNS1_3genE5ELNS1_11target_archE942ELNS1_3gpuE9ELNS1_3repE0EEENS1_30default_config_static_selectorELNS0_4arch9wavefront6targetE0EEEvT1_,"axG",@progbits,_ZN7rocprim17ROCPRIM_400000_NS6detail17trampoline_kernelINS0_14default_configENS1_25transform_config_selectorIiLb0EEEZNS1_14transform_implILb0ES3_S5_NS0_18transform_iteratorINS0_17counting_iteratorImlEEZNS1_24adjacent_difference_implIS3_Lb1ELb0EPiSB_N6thrust23THRUST_200600_302600_NS5minusIiEEEE10hipError_tPvRmT2_T3_mT4_P12ihipStream_tbEUlmE_iEESB_NS0_8identityIvEEEESG_SJ_SK_mSL_SN_bEUlT_E_NS1_11comp_targetILNS1_3genE5ELNS1_11target_archE942ELNS1_3gpuE9ELNS1_3repE0EEENS1_30default_config_static_selectorELNS0_4arch9wavefront6targetE0EEEvT1_,comdat
	.protected	_ZN7rocprim17ROCPRIM_400000_NS6detail17trampoline_kernelINS0_14default_configENS1_25transform_config_selectorIiLb0EEEZNS1_14transform_implILb0ES3_S5_NS0_18transform_iteratorINS0_17counting_iteratorImlEEZNS1_24adjacent_difference_implIS3_Lb1ELb0EPiSB_N6thrust23THRUST_200600_302600_NS5minusIiEEEE10hipError_tPvRmT2_T3_mT4_P12ihipStream_tbEUlmE_iEESB_NS0_8identityIvEEEESG_SJ_SK_mSL_SN_bEUlT_E_NS1_11comp_targetILNS1_3genE5ELNS1_11target_archE942ELNS1_3gpuE9ELNS1_3repE0EEENS1_30default_config_static_selectorELNS0_4arch9wavefront6targetE0EEEvT1_ ; -- Begin function _ZN7rocprim17ROCPRIM_400000_NS6detail17trampoline_kernelINS0_14default_configENS1_25transform_config_selectorIiLb0EEEZNS1_14transform_implILb0ES3_S5_NS0_18transform_iteratorINS0_17counting_iteratorImlEEZNS1_24adjacent_difference_implIS3_Lb1ELb0EPiSB_N6thrust23THRUST_200600_302600_NS5minusIiEEEE10hipError_tPvRmT2_T3_mT4_P12ihipStream_tbEUlmE_iEESB_NS0_8identityIvEEEESG_SJ_SK_mSL_SN_bEUlT_E_NS1_11comp_targetILNS1_3genE5ELNS1_11target_archE942ELNS1_3gpuE9ELNS1_3repE0EEENS1_30default_config_static_selectorELNS0_4arch9wavefront6targetE0EEEvT1_
	.globl	_ZN7rocprim17ROCPRIM_400000_NS6detail17trampoline_kernelINS0_14default_configENS1_25transform_config_selectorIiLb0EEEZNS1_14transform_implILb0ES3_S5_NS0_18transform_iteratorINS0_17counting_iteratorImlEEZNS1_24adjacent_difference_implIS3_Lb1ELb0EPiSB_N6thrust23THRUST_200600_302600_NS5minusIiEEEE10hipError_tPvRmT2_T3_mT4_P12ihipStream_tbEUlmE_iEESB_NS0_8identityIvEEEESG_SJ_SK_mSL_SN_bEUlT_E_NS1_11comp_targetILNS1_3genE5ELNS1_11target_archE942ELNS1_3gpuE9ELNS1_3repE0EEENS1_30default_config_static_selectorELNS0_4arch9wavefront6targetE0EEEvT1_
	.p2align	8
	.type	_ZN7rocprim17ROCPRIM_400000_NS6detail17trampoline_kernelINS0_14default_configENS1_25transform_config_selectorIiLb0EEEZNS1_14transform_implILb0ES3_S5_NS0_18transform_iteratorINS0_17counting_iteratorImlEEZNS1_24adjacent_difference_implIS3_Lb1ELb0EPiSB_N6thrust23THRUST_200600_302600_NS5minusIiEEEE10hipError_tPvRmT2_T3_mT4_P12ihipStream_tbEUlmE_iEESB_NS0_8identityIvEEEESG_SJ_SK_mSL_SN_bEUlT_E_NS1_11comp_targetILNS1_3genE5ELNS1_11target_archE942ELNS1_3gpuE9ELNS1_3repE0EEENS1_30default_config_static_selectorELNS0_4arch9wavefront6targetE0EEEvT1_,@function
_ZN7rocprim17ROCPRIM_400000_NS6detail17trampoline_kernelINS0_14default_configENS1_25transform_config_selectorIiLb0EEEZNS1_14transform_implILb0ES3_S5_NS0_18transform_iteratorINS0_17counting_iteratorImlEEZNS1_24adjacent_difference_implIS3_Lb1ELb0EPiSB_N6thrust23THRUST_200600_302600_NS5minusIiEEEE10hipError_tPvRmT2_T3_mT4_P12ihipStream_tbEUlmE_iEESB_NS0_8identityIvEEEESG_SJ_SK_mSL_SN_bEUlT_E_NS1_11comp_targetILNS1_3genE5ELNS1_11target_archE942ELNS1_3gpuE9ELNS1_3repE0EEENS1_30default_config_static_selectorELNS0_4arch9wavefront6targetE0EEEvT1_: ; @_ZN7rocprim17ROCPRIM_400000_NS6detail17trampoline_kernelINS0_14default_configENS1_25transform_config_selectorIiLb0EEEZNS1_14transform_implILb0ES3_S5_NS0_18transform_iteratorINS0_17counting_iteratorImlEEZNS1_24adjacent_difference_implIS3_Lb1ELb0EPiSB_N6thrust23THRUST_200600_302600_NS5minusIiEEEE10hipError_tPvRmT2_T3_mT4_P12ihipStream_tbEUlmE_iEESB_NS0_8identityIvEEEESG_SJ_SK_mSL_SN_bEUlT_E_NS1_11comp_targetILNS1_3genE5ELNS1_11target_archE942ELNS1_3gpuE9ELNS1_3repE0EEENS1_30default_config_static_selectorELNS0_4arch9wavefront6targetE0EEEvT1_
; %bb.0:
	.section	.rodata,"a",@progbits
	.p2align	6, 0x0
	.amdhsa_kernel _ZN7rocprim17ROCPRIM_400000_NS6detail17trampoline_kernelINS0_14default_configENS1_25transform_config_selectorIiLb0EEEZNS1_14transform_implILb0ES3_S5_NS0_18transform_iteratorINS0_17counting_iteratorImlEEZNS1_24adjacent_difference_implIS3_Lb1ELb0EPiSB_N6thrust23THRUST_200600_302600_NS5minusIiEEEE10hipError_tPvRmT2_T3_mT4_P12ihipStream_tbEUlmE_iEESB_NS0_8identityIvEEEESG_SJ_SK_mSL_SN_bEUlT_E_NS1_11comp_targetILNS1_3genE5ELNS1_11target_archE942ELNS1_3gpuE9ELNS1_3repE0EEENS1_30default_config_static_selectorELNS0_4arch9wavefront6targetE0EEEvT1_
		.amdhsa_group_segment_fixed_size 0
		.amdhsa_private_segment_fixed_size 0
		.amdhsa_kernarg_size 56
		.amdhsa_user_sgpr_count 15
		.amdhsa_user_sgpr_dispatch_ptr 0
		.amdhsa_user_sgpr_queue_ptr 0
		.amdhsa_user_sgpr_kernarg_segment_ptr 1
		.amdhsa_user_sgpr_dispatch_id 0
		.amdhsa_user_sgpr_private_segment_size 0
		.amdhsa_wavefront_size32 1
		.amdhsa_uses_dynamic_stack 0
		.amdhsa_enable_private_segment 0
		.amdhsa_system_sgpr_workgroup_id_x 1
		.amdhsa_system_sgpr_workgroup_id_y 0
		.amdhsa_system_sgpr_workgroup_id_z 0
		.amdhsa_system_sgpr_workgroup_info 0
		.amdhsa_system_vgpr_workitem_id 0
		.amdhsa_next_free_vgpr 1
		.amdhsa_next_free_sgpr 1
		.amdhsa_reserve_vcc 0
		.amdhsa_float_round_mode_32 0
		.amdhsa_float_round_mode_16_64 0
		.amdhsa_float_denorm_mode_32 3
		.amdhsa_float_denorm_mode_16_64 3
		.amdhsa_dx10_clamp 1
		.amdhsa_ieee_mode 1
		.amdhsa_fp16_overflow 0
		.amdhsa_workgroup_processor_mode 1
		.amdhsa_memory_ordered 1
		.amdhsa_forward_progress 0
		.amdhsa_shared_vgpr_count 0
		.amdhsa_exception_fp_ieee_invalid_op 0
		.amdhsa_exception_fp_denorm_src 0
		.amdhsa_exception_fp_ieee_div_zero 0
		.amdhsa_exception_fp_ieee_overflow 0
		.amdhsa_exception_fp_ieee_underflow 0
		.amdhsa_exception_fp_ieee_inexact 0
		.amdhsa_exception_int_div_zero 0
	.end_amdhsa_kernel
	.section	.text._ZN7rocprim17ROCPRIM_400000_NS6detail17trampoline_kernelINS0_14default_configENS1_25transform_config_selectorIiLb0EEEZNS1_14transform_implILb0ES3_S5_NS0_18transform_iteratorINS0_17counting_iteratorImlEEZNS1_24adjacent_difference_implIS3_Lb1ELb0EPiSB_N6thrust23THRUST_200600_302600_NS5minusIiEEEE10hipError_tPvRmT2_T3_mT4_P12ihipStream_tbEUlmE_iEESB_NS0_8identityIvEEEESG_SJ_SK_mSL_SN_bEUlT_E_NS1_11comp_targetILNS1_3genE5ELNS1_11target_archE942ELNS1_3gpuE9ELNS1_3repE0EEENS1_30default_config_static_selectorELNS0_4arch9wavefront6targetE0EEEvT1_,"axG",@progbits,_ZN7rocprim17ROCPRIM_400000_NS6detail17trampoline_kernelINS0_14default_configENS1_25transform_config_selectorIiLb0EEEZNS1_14transform_implILb0ES3_S5_NS0_18transform_iteratorINS0_17counting_iteratorImlEEZNS1_24adjacent_difference_implIS3_Lb1ELb0EPiSB_N6thrust23THRUST_200600_302600_NS5minusIiEEEE10hipError_tPvRmT2_T3_mT4_P12ihipStream_tbEUlmE_iEESB_NS0_8identityIvEEEESG_SJ_SK_mSL_SN_bEUlT_E_NS1_11comp_targetILNS1_3genE5ELNS1_11target_archE942ELNS1_3gpuE9ELNS1_3repE0EEENS1_30default_config_static_selectorELNS0_4arch9wavefront6targetE0EEEvT1_,comdat
.Lfunc_end316:
	.size	_ZN7rocprim17ROCPRIM_400000_NS6detail17trampoline_kernelINS0_14default_configENS1_25transform_config_selectorIiLb0EEEZNS1_14transform_implILb0ES3_S5_NS0_18transform_iteratorINS0_17counting_iteratorImlEEZNS1_24adjacent_difference_implIS3_Lb1ELb0EPiSB_N6thrust23THRUST_200600_302600_NS5minusIiEEEE10hipError_tPvRmT2_T3_mT4_P12ihipStream_tbEUlmE_iEESB_NS0_8identityIvEEEESG_SJ_SK_mSL_SN_bEUlT_E_NS1_11comp_targetILNS1_3genE5ELNS1_11target_archE942ELNS1_3gpuE9ELNS1_3repE0EEENS1_30default_config_static_selectorELNS0_4arch9wavefront6targetE0EEEvT1_, .Lfunc_end316-_ZN7rocprim17ROCPRIM_400000_NS6detail17trampoline_kernelINS0_14default_configENS1_25transform_config_selectorIiLb0EEEZNS1_14transform_implILb0ES3_S5_NS0_18transform_iteratorINS0_17counting_iteratorImlEEZNS1_24adjacent_difference_implIS3_Lb1ELb0EPiSB_N6thrust23THRUST_200600_302600_NS5minusIiEEEE10hipError_tPvRmT2_T3_mT4_P12ihipStream_tbEUlmE_iEESB_NS0_8identityIvEEEESG_SJ_SK_mSL_SN_bEUlT_E_NS1_11comp_targetILNS1_3genE5ELNS1_11target_archE942ELNS1_3gpuE9ELNS1_3repE0EEENS1_30default_config_static_selectorELNS0_4arch9wavefront6targetE0EEEvT1_
                                        ; -- End function
	.section	.AMDGPU.csdata,"",@progbits
; Kernel info:
; codeLenInByte = 0
; NumSgprs: 0
; NumVgprs: 0
; ScratchSize: 0
; MemoryBound: 0
; FloatMode: 240
; IeeeMode: 1
; LDSByteSize: 0 bytes/workgroup (compile time only)
; SGPRBlocks: 0
; VGPRBlocks: 0
; NumSGPRsForWavesPerEU: 1
; NumVGPRsForWavesPerEU: 1
; Occupancy: 16
; WaveLimiterHint : 0
; COMPUTE_PGM_RSRC2:SCRATCH_EN: 0
; COMPUTE_PGM_RSRC2:USER_SGPR: 15
; COMPUTE_PGM_RSRC2:TRAP_HANDLER: 0
; COMPUTE_PGM_RSRC2:TGID_X_EN: 1
; COMPUTE_PGM_RSRC2:TGID_Y_EN: 0
; COMPUTE_PGM_RSRC2:TGID_Z_EN: 0
; COMPUTE_PGM_RSRC2:TIDIG_COMP_CNT: 0
	.section	.text._ZN7rocprim17ROCPRIM_400000_NS6detail17trampoline_kernelINS0_14default_configENS1_25transform_config_selectorIiLb0EEEZNS1_14transform_implILb0ES3_S5_NS0_18transform_iteratorINS0_17counting_iteratorImlEEZNS1_24adjacent_difference_implIS3_Lb1ELb0EPiSB_N6thrust23THRUST_200600_302600_NS5minusIiEEEE10hipError_tPvRmT2_T3_mT4_P12ihipStream_tbEUlmE_iEESB_NS0_8identityIvEEEESG_SJ_SK_mSL_SN_bEUlT_E_NS1_11comp_targetILNS1_3genE4ELNS1_11target_archE910ELNS1_3gpuE8ELNS1_3repE0EEENS1_30default_config_static_selectorELNS0_4arch9wavefront6targetE0EEEvT1_,"axG",@progbits,_ZN7rocprim17ROCPRIM_400000_NS6detail17trampoline_kernelINS0_14default_configENS1_25transform_config_selectorIiLb0EEEZNS1_14transform_implILb0ES3_S5_NS0_18transform_iteratorINS0_17counting_iteratorImlEEZNS1_24adjacent_difference_implIS3_Lb1ELb0EPiSB_N6thrust23THRUST_200600_302600_NS5minusIiEEEE10hipError_tPvRmT2_T3_mT4_P12ihipStream_tbEUlmE_iEESB_NS0_8identityIvEEEESG_SJ_SK_mSL_SN_bEUlT_E_NS1_11comp_targetILNS1_3genE4ELNS1_11target_archE910ELNS1_3gpuE8ELNS1_3repE0EEENS1_30default_config_static_selectorELNS0_4arch9wavefront6targetE0EEEvT1_,comdat
	.protected	_ZN7rocprim17ROCPRIM_400000_NS6detail17trampoline_kernelINS0_14default_configENS1_25transform_config_selectorIiLb0EEEZNS1_14transform_implILb0ES3_S5_NS0_18transform_iteratorINS0_17counting_iteratorImlEEZNS1_24adjacent_difference_implIS3_Lb1ELb0EPiSB_N6thrust23THRUST_200600_302600_NS5minusIiEEEE10hipError_tPvRmT2_T3_mT4_P12ihipStream_tbEUlmE_iEESB_NS0_8identityIvEEEESG_SJ_SK_mSL_SN_bEUlT_E_NS1_11comp_targetILNS1_3genE4ELNS1_11target_archE910ELNS1_3gpuE8ELNS1_3repE0EEENS1_30default_config_static_selectorELNS0_4arch9wavefront6targetE0EEEvT1_ ; -- Begin function _ZN7rocprim17ROCPRIM_400000_NS6detail17trampoline_kernelINS0_14default_configENS1_25transform_config_selectorIiLb0EEEZNS1_14transform_implILb0ES3_S5_NS0_18transform_iteratorINS0_17counting_iteratorImlEEZNS1_24adjacent_difference_implIS3_Lb1ELb0EPiSB_N6thrust23THRUST_200600_302600_NS5minusIiEEEE10hipError_tPvRmT2_T3_mT4_P12ihipStream_tbEUlmE_iEESB_NS0_8identityIvEEEESG_SJ_SK_mSL_SN_bEUlT_E_NS1_11comp_targetILNS1_3genE4ELNS1_11target_archE910ELNS1_3gpuE8ELNS1_3repE0EEENS1_30default_config_static_selectorELNS0_4arch9wavefront6targetE0EEEvT1_
	.globl	_ZN7rocprim17ROCPRIM_400000_NS6detail17trampoline_kernelINS0_14default_configENS1_25transform_config_selectorIiLb0EEEZNS1_14transform_implILb0ES3_S5_NS0_18transform_iteratorINS0_17counting_iteratorImlEEZNS1_24adjacent_difference_implIS3_Lb1ELb0EPiSB_N6thrust23THRUST_200600_302600_NS5minusIiEEEE10hipError_tPvRmT2_T3_mT4_P12ihipStream_tbEUlmE_iEESB_NS0_8identityIvEEEESG_SJ_SK_mSL_SN_bEUlT_E_NS1_11comp_targetILNS1_3genE4ELNS1_11target_archE910ELNS1_3gpuE8ELNS1_3repE0EEENS1_30default_config_static_selectorELNS0_4arch9wavefront6targetE0EEEvT1_
	.p2align	8
	.type	_ZN7rocprim17ROCPRIM_400000_NS6detail17trampoline_kernelINS0_14default_configENS1_25transform_config_selectorIiLb0EEEZNS1_14transform_implILb0ES3_S5_NS0_18transform_iteratorINS0_17counting_iteratorImlEEZNS1_24adjacent_difference_implIS3_Lb1ELb0EPiSB_N6thrust23THRUST_200600_302600_NS5minusIiEEEE10hipError_tPvRmT2_T3_mT4_P12ihipStream_tbEUlmE_iEESB_NS0_8identityIvEEEESG_SJ_SK_mSL_SN_bEUlT_E_NS1_11comp_targetILNS1_3genE4ELNS1_11target_archE910ELNS1_3gpuE8ELNS1_3repE0EEENS1_30default_config_static_selectorELNS0_4arch9wavefront6targetE0EEEvT1_,@function
_ZN7rocprim17ROCPRIM_400000_NS6detail17trampoline_kernelINS0_14default_configENS1_25transform_config_selectorIiLb0EEEZNS1_14transform_implILb0ES3_S5_NS0_18transform_iteratorINS0_17counting_iteratorImlEEZNS1_24adjacent_difference_implIS3_Lb1ELb0EPiSB_N6thrust23THRUST_200600_302600_NS5minusIiEEEE10hipError_tPvRmT2_T3_mT4_P12ihipStream_tbEUlmE_iEESB_NS0_8identityIvEEEESG_SJ_SK_mSL_SN_bEUlT_E_NS1_11comp_targetILNS1_3genE4ELNS1_11target_archE910ELNS1_3gpuE8ELNS1_3repE0EEENS1_30default_config_static_selectorELNS0_4arch9wavefront6targetE0EEEvT1_: ; @_ZN7rocprim17ROCPRIM_400000_NS6detail17trampoline_kernelINS0_14default_configENS1_25transform_config_selectorIiLb0EEEZNS1_14transform_implILb0ES3_S5_NS0_18transform_iteratorINS0_17counting_iteratorImlEEZNS1_24adjacent_difference_implIS3_Lb1ELb0EPiSB_N6thrust23THRUST_200600_302600_NS5minusIiEEEE10hipError_tPvRmT2_T3_mT4_P12ihipStream_tbEUlmE_iEESB_NS0_8identityIvEEEESG_SJ_SK_mSL_SN_bEUlT_E_NS1_11comp_targetILNS1_3genE4ELNS1_11target_archE910ELNS1_3gpuE8ELNS1_3repE0EEENS1_30default_config_static_selectorELNS0_4arch9wavefront6targetE0EEEvT1_
; %bb.0:
	.section	.rodata,"a",@progbits
	.p2align	6, 0x0
	.amdhsa_kernel _ZN7rocprim17ROCPRIM_400000_NS6detail17trampoline_kernelINS0_14default_configENS1_25transform_config_selectorIiLb0EEEZNS1_14transform_implILb0ES3_S5_NS0_18transform_iteratorINS0_17counting_iteratorImlEEZNS1_24adjacent_difference_implIS3_Lb1ELb0EPiSB_N6thrust23THRUST_200600_302600_NS5minusIiEEEE10hipError_tPvRmT2_T3_mT4_P12ihipStream_tbEUlmE_iEESB_NS0_8identityIvEEEESG_SJ_SK_mSL_SN_bEUlT_E_NS1_11comp_targetILNS1_3genE4ELNS1_11target_archE910ELNS1_3gpuE8ELNS1_3repE0EEENS1_30default_config_static_selectorELNS0_4arch9wavefront6targetE0EEEvT1_
		.amdhsa_group_segment_fixed_size 0
		.amdhsa_private_segment_fixed_size 0
		.amdhsa_kernarg_size 56
		.amdhsa_user_sgpr_count 15
		.amdhsa_user_sgpr_dispatch_ptr 0
		.amdhsa_user_sgpr_queue_ptr 0
		.amdhsa_user_sgpr_kernarg_segment_ptr 1
		.amdhsa_user_sgpr_dispatch_id 0
		.amdhsa_user_sgpr_private_segment_size 0
		.amdhsa_wavefront_size32 1
		.amdhsa_uses_dynamic_stack 0
		.amdhsa_enable_private_segment 0
		.amdhsa_system_sgpr_workgroup_id_x 1
		.amdhsa_system_sgpr_workgroup_id_y 0
		.amdhsa_system_sgpr_workgroup_id_z 0
		.amdhsa_system_sgpr_workgroup_info 0
		.amdhsa_system_vgpr_workitem_id 0
		.amdhsa_next_free_vgpr 1
		.amdhsa_next_free_sgpr 1
		.amdhsa_reserve_vcc 0
		.amdhsa_float_round_mode_32 0
		.amdhsa_float_round_mode_16_64 0
		.amdhsa_float_denorm_mode_32 3
		.amdhsa_float_denorm_mode_16_64 3
		.amdhsa_dx10_clamp 1
		.amdhsa_ieee_mode 1
		.amdhsa_fp16_overflow 0
		.amdhsa_workgroup_processor_mode 1
		.amdhsa_memory_ordered 1
		.amdhsa_forward_progress 0
		.amdhsa_shared_vgpr_count 0
		.amdhsa_exception_fp_ieee_invalid_op 0
		.amdhsa_exception_fp_denorm_src 0
		.amdhsa_exception_fp_ieee_div_zero 0
		.amdhsa_exception_fp_ieee_overflow 0
		.amdhsa_exception_fp_ieee_underflow 0
		.amdhsa_exception_fp_ieee_inexact 0
		.amdhsa_exception_int_div_zero 0
	.end_amdhsa_kernel
	.section	.text._ZN7rocprim17ROCPRIM_400000_NS6detail17trampoline_kernelINS0_14default_configENS1_25transform_config_selectorIiLb0EEEZNS1_14transform_implILb0ES3_S5_NS0_18transform_iteratorINS0_17counting_iteratorImlEEZNS1_24adjacent_difference_implIS3_Lb1ELb0EPiSB_N6thrust23THRUST_200600_302600_NS5minusIiEEEE10hipError_tPvRmT2_T3_mT4_P12ihipStream_tbEUlmE_iEESB_NS0_8identityIvEEEESG_SJ_SK_mSL_SN_bEUlT_E_NS1_11comp_targetILNS1_3genE4ELNS1_11target_archE910ELNS1_3gpuE8ELNS1_3repE0EEENS1_30default_config_static_selectorELNS0_4arch9wavefront6targetE0EEEvT1_,"axG",@progbits,_ZN7rocprim17ROCPRIM_400000_NS6detail17trampoline_kernelINS0_14default_configENS1_25transform_config_selectorIiLb0EEEZNS1_14transform_implILb0ES3_S5_NS0_18transform_iteratorINS0_17counting_iteratorImlEEZNS1_24adjacent_difference_implIS3_Lb1ELb0EPiSB_N6thrust23THRUST_200600_302600_NS5minusIiEEEE10hipError_tPvRmT2_T3_mT4_P12ihipStream_tbEUlmE_iEESB_NS0_8identityIvEEEESG_SJ_SK_mSL_SN_bEUlT_E_NS1_11comp_targetILNS1_3genE4ELNS1_11target_archE910ELNS1_3gpuE8ELNS1_3repE0EEENS1_30default_config_static_selectorELNS0_4arch9wavefront6targetE0EEEvT1_,comdat
.Lfunc_end317:
	.size	_ZN7rocprim17ROCPRIM_400000_NS6detail17trampoline_kernelINS0_14default_configENS1_25transform_config_selectorIiLb0EEEZNS1_14transform_implILb0ES3_S5_NS0_18transform_iteratorINS0_17counting_iteratorImlEEZNS1_24adjacent_difference_implIS3_Lb1ELb0EPiSB_N6thrust23THRUST_200600_302600_NS5minusIiEEEE10hipError_tPvRmT2_T3_mT4_P12ihipStream_tbEUlmE_iEESB_NS0_8identityIvEEEESG_SJ_SK_mSL_SN_bEUlT_E_NS1_11comp_targetILNS1_3genE4ELNS1_11target_archE910ELNS1_3gpuE8ELNS1_3repE0EEENS1_30default_config_static_selectorELNS0_4arch9wavefront6targetE0EEEvT1_, .Lfunc_end317-_ZN7rocprim17ROCPRIM_400000_NS6detail17trampoline_kernelINS0_14default_configENS1_25transform_config_selectorIiLb0EEEZNS1_14transform_implILb0ES3_S5_NS0_18transform_iteratorINS0_17counting_iteratorImlEEZNS1_24adjacent_difference_implIS3_Lb1ELb0EPiSB_N6thrust23THRUST_200600_302600_NS5minusIiEEEE10hipError_tPvRmT2_T3_mT4_P12ihipStream_tbEUlmE_iEESB_NS0_8identityIvEEEESG_SJ_SK_mSL_SN_bEUlT_E_NS1_11comp_targetILNS1_3genE4ELNS1_11target_archE910ELNS1_3gpuE8ELNS1_3repE0EEENS1_30default_config_static_selectorELNS0_4arch9wavefront6targetE0EEEvT1_
                                        ; -- End function
	.section	.AMDGPU.csdata,"",@progbits
; Kernel info:
; codeLenInByte = 0
; NumSgprs: 0
; NumVgprs: 0
; ScratchSize: 0
; MemoryBound: 0
; FloatMode: 240
; IeeeMode: 1
; LDSByteSize: 0 bytes/workgroup (compile time only)
; SGPRBlocks: 0
; VGPRBlocks: 0
; NumSGPRsForWavesPerEU: 1
; NumVGPRsForWavesPerEU: 1
; Occupancy: 16
; WaveLimiterHint : 0
; COMPUTE_PGM_RSRC2:SCRATCH_EN: 0
; COMPUTE_PGM_RSRC2:USER_SGPR: 15
; COMPUTE_PGM_RSRC2:TRAP_HANDLER: 0
; COMPUTE_PGM_RSRC2:TGID_X_EN: 1
; COMPUTE_PGM_RSRC2:TGID_Y_EN: 0
; COMPUTE_PGM_RSRC2:TGID_Z_EN: 0
; COMPUTE_PGM_RSRC2:TIDIG_COMP_CNT: 0
	.section	.text._ZN7rocprim17ROCPRIM_400000_NS6detail17trampoline_kernelINS0_14default_configENS1_25transform_config_selectorIiLb0EEEZNS1_14transform_implILb0ES3_S5_NS0_18transform_iteratorINS0_17counting_iteratorImlEEZNS1_24adjacent_difference_implIS3_Lb1ELb0EPiSB_N6thrust23THRUST_200600_302600_NS5minusIiEEEE10hipError_tPvRmT2_T3_mT4_P12ihipStream_tbEUlmE_iEESB_NS0_8identityIvEEEESG_SJ_SK_mSL_SN_bEUlT_E_NS1_11comp_targetILNS1_3genE3ELNS1_11target_archE908ELNS1_3gpuE7ELNS1_3repE0EEENS1_30default_config_static_selectorELNS0_4arch9wavefront6targetE0EEEvT1_,"axG",@progbits,_ZN7rocprim17ROCPRIM_400000_NS6detail17trampoline_kernelINS0_14default_configENS1_25transform_config_selectorIiLb0EEEZNS1_14transform_implILb0ES3_S5_NS0_18transform_iteratorINS0_17counting_iteratorImlEEZNS1_24adjacent_difference_implIS3_Lb1ELb0EPiSB_N6thrust23THRUST_200600_302600_NS5minusIiEEEE10hipError_tPvRmT2_T3_mT4_P12ihipStream_tbEUlmE_iEESB_NS0_8identityIvEEEESG_SJ_SK_mSL_SN_bEUlT_E_NS1_11comp_targetILNS1_3genE3ELNS1_11target_archE908ELNS1_3gpuE7ELNS1_3repE0EEENS1_30default_config_static_selectorELNS0_4arch9wavefront6targetE0EEEvT1_,comdat
	.protected	_ZN7rocprim17ROCPRIM_400000_NS6detail17trampoline_kernelINS0_14default_configENS1_25transform_config_selectorIiLb0EEEZNS1_14transform_implILb0ES3_S5_NS0_18transform_iteratorINS0_17counting_iteratorImlEEZNS1_24adjacent_difference_implIS3_Lb1ELb0EPiSB_N6thrust23THRUST_200600_302600_NS5minusIiEEEE10hipError_tPvRmT2_T3_mT4_P12ihipStream_tbEUlmE_iEESB_NS0_8identityIvEEEESG_SJ_SK_mSL_SN_bEUlT_E_NS1_11comp_targetILNS1_3genE3ELNS1_11target_archE908ELNS1_3gpuE7ELNS1_3repE0EEENS1_30default_config_static_selectorELNS0_4arch9wavefront6targetE0EEEvT1_ ; -- Begin function _ZN7rocprim17ROCPRIM_400000_NS6detail17trampoline_kernelINS0_14default_configENS1_25transform_config_selectorIiLb0EEEZNS1_14transform_implILb0ES3_S5_NS0_18transform_iteratorINS0_17counting_iteratorImlEEZNS1_24adjacent_difference_implIS3_Lb1ELb0EPiSB_N6thrust23THRUST_200600_302600_NS5minusIiEEEE10hipError_tPvRmT2_T3_mT4_P12ihipStream_tbEUlmE_iEESB_NS0_8identityIvEEEESG_SJ_SK_mSL_SN_bEUlT_E_NS1_11comp_targetILNS1_3genE3ELNS1_11target_archE908ELNS1_3gpuE7ELNS1_3repE0EEENS1_30default_config_static_selectorELNS0_4arch9wavefront6targetE0EEEvT1_
	.globl	_ZN7rocprim17ROCPRIM_400000_NS6detail17trampoline_kernelINS0_14default_configENS1_25transform_config_selectorIiLb0EEEZNS1_14transform_implILb0ES3_S5_NS0_18transform_iteratorINS0_17counting_iteratorImlEEZNS1_24adjacent_difference_implIS3_Lb1ELb0EPiSB_N6thrust23THRUST_200600_302600_NS5minusIiEEEE10hipError_tPvRmT2_T3_mT4_P12ihipStream_tbEUlmE_iEESB_NS0_8identityIvEEEESG_SJ_SK_mSL_SN_bEUlT_E_NS1_11comp_targetILNS1_3genE3ELNS1_11target_archE908ELNS1_3gpuE7ELNS1_3repE0EEENS1_30default_config_static_selectorELNS0_4arch9wavefront6targetE0EEEvT1_
	.p2align	8
	.type	_ZN7rocprim17ROCPRIM_400000_NS6detail17trampoline_kernelINS0_14default_configENS1_25transform_config_selectorIiLb0EEEZNS1_14transform_implILb0ES3_S5_NS0_18transform_iteratorINS0_17counting_iteratorImlEEZNS1_24adjacent_difference_implIS3_Lb1ELb0EPiSB_N6thrust23THRUST_200600_302600_NS5minusIiEEEE10hipError_tPvRmT2_T3_mT4_P12ihipStream_tbEUlmE_iEESB_NS0_8identityIvEEEESG_SJ_SK_mSL_SN_bEUlT_E_NS1_11comp_targetILNS1_3genE3ELNS1_11target_archE908ELNS1_3gpuE7ELNS1_3repE0EEENS1_30default_config_static_selectorELNS0_4arch9wavefront6targetE0EEEvT1_,@function
_ZN7rocprim17ROCPRIM_400000_NS6detail17trampoline_kernelINS0_14default_configENS1_25transform_config_selectorIiLb0EEEZNS1_14transform_implILb0ES3_S5_NS0_18transform_iteratorINS0_17counting_iteratorImlEEZNS1_24adjacent_difference_implIS3_Lb1ELb0EPiSB_N6thrust23THRUST_200600_302600_NS5minusIiEEEE10hipError_tPvRmT2_T3_mT4_P12ihipStream_tbEUlmE_iEESB_NS0_8identityIvEEEESG_SJ_SK_mSL_SN_bEUlT_E_NS1_11comp_targetILNS1_3genE3ELNS1_11target_archE908ELNS1_3gpuE7ELNS1_3repE0EEENS1_30default_config_static_selectorELNS0_4arch9wavefront6targetE0EEEvT1_: ; @_ZN7rocprim17ROCPRIM_400000_NS6detail17trampoline_kernelINS0_14default_configENS1_25transform_config_selectorIiLb0EEEZNS1_14transform_implILb0ES3_S5_NS0_18transform_iteratorINS0_17counting_iteratorImlEEZNS1_24adjacent_difference_implIS3_Lb1ELb0EPiSB_N6thrust23THRUST_200600_302600_NS5minusIiEEEE10hipError_tPvRmT2_T3_mT4_P12ihipStream_tbEUlmE_iEESB_NS0_8identityIvEEEESG_SJ_SK_mSL_SN_bEUlT_E_NS1_11comp_targetILNS1_3genE3ELNS1_11target_archE908ELNS1_3gpuE7ELNS1_3repE0EEENS1_30default_config_static_selectorELNS0_4arch9wavefront6targetE0EEEvT1_
; %bb.0:
	.section	.rodata,"a",@progbits
	.p2align	6, 0x0
	.amdhsa_kernel _ZN7rocprim17ROCPRIM_400000_NS6detail17trampoline_kernelINS0_14default_configENS1_25transform_config_selectorIiLb0EEEZNS1_14transform_implILb0ES3_S5_NS0_18transform_iteratorINS0_17counting_iteratorImlEEZNS1_24adjacent_difference_implIS3_Lb1ELb0EPiSB_N6thrust23THRUST_200600_302600_NS5minusIiEEEE10hipError_tPvRmT2_T3_mT4_P12ihipStream_tbEUlmE_iEESB_NS0_8identityIvEEEESG_SJ_SK_mSL_SN_bEUlT_E_NS1_11comp_targetILNS1_3genE3ELNS1_11target_archE908ELNS1_3gpuE7ELNS1_3repE0EEENS1_30default_config_static_selectorELNS0_4arch9wavefront6targetE0EEEvT1_
		.amdhsa_group_segment_fixed_size 0
		.amdhsa_private_segment_fixed_size 0
		.amdhsa_kernarg_size 56
		.amdhsa_user_sgpr_count 15
		.amdhsa_user_sgpr_dispatch_ptr 0
		.amdhsa_user_sgpr_queue_ptr 0
		.amdhsa_user_sgpr_kernarg_segment_ptr 1
		.amdhsa_user_sgpr_dispatch_id 0
		.amdhsa_user_sgpr_private_segment_size 0
		.amdhsa_wavefront_size32 1
		.amdhsa_uses_dynamic_stack 0
		.amdhsa_enable_private_segment 0
		.amdhsa_system_sgpr_workgroup_id_x 1
		.amdhsa_system_sgpr_workgroup_id_y 0
		.amdhsa_system_sgpr_workgroup_id_z 0
		.amdhsa_system_sgpr_workgroup_info 0
		.amdhsa_system_vgpr_workitem_id 0
		.amdhsa_next_free_vgpr 1
		.amdhsa_next_free_sgpr 1
		.amdhsa_reserve_vcc 0
		.amdhsa_float_round_mode_32 0
		.amdhsa_float_round_mode_16_64 0
		.amdhsa_float_denorm_mode_32 3
		.amdhsa_float_denorm_mode_16_64 3
		.amdhsa_dx10_clamp 1
		.amdhsa_ieee_mode 1
		.amdhsa_fp16_overflow 0
		.amdhsa_workgroup_processor_mode 1
		.amdhsa_memory_ordered 1
		.amdhsa_forward_progress 0
		.amdhsa_shared_vgpr_count 0
		.amdhsa_exception_fp_ieee_invalid_op 0
		.amdhsa_exception_fp_denorm_src 0
		.amdhsa_exception_fp_ieee_div_zero 0
		.amdhsa_exception_fp_ieee_overflow 0
		.amdhsa_exception_fp_ieee_underflow 0
		.amdhsa_exception_fp_ieee_inexact 0
		.amdhsa_exception_int_div_zero 0
	.end_amdhsa_kernel
	.section	.text._ZN7rocprim17ROCPRIM_400000_NS6detail17trampoline_kernelINS0_14default_configENS1_25transform_config_selectorIiLb0EEEZNS1_14transform_implILb0ES3_S5_NS0_18transform_iteratorINS0_17counting_iteratorImlEEZNS1_24adjacent_difference_implIS3_Lb1ELb0EPiSB_N6thrust23THRUST_200600_302600_NS5minusIiEEEE10hipError_tPvRmT2_T3_mT4_P12ihipStream_tbEUlmE_iEESB_NS0_8identityIvEEEESG_SJ_SK_mSL_SN_bEUlT_E_NS1_11comp_targetILNS1_3genE3ELNS1_11target_archE908ELNS1_3gpuE7ELNS1_3repE0EEENS1_30default_config_static_selectorELNS0_4arch9wavefront6targetE0EEEvT1_,"axG",@progbits,_ZN7rocprim17ROCPRIM_400000_NS6detail17trampoline_kernelINS0_14default_configENS1_25transform_config_selectorIiLb0EEEZNS1_14transform_implILb0ES3_S5_NS0_18transform_iteratorINS0_17counting_iteratorImlEEZNS1_24adjacent_difference_implIS3_Lb1ELb0EPiSB_N6thrust23THRUST_200600_302600_NS5minusIiEEEE10hipError_tPvRmT2_T3_mT4_P12ihipStream_tbEUlmE_iEESB_NS0_8identityIvEEEESG_SJ_SK_mSL_SN_bEUlT_E_NS1_11comp_targetILNS1_3genE3ELNS1_11target_archE908ELNS1_3gpuE7ELNS1_3repE0EEENS1_30default_config_static_selectorELNS0_4arch9wavefront6targetE0EEEvT1_,comdat
.Lfunc_end318:
	.size	_ZN7rocprim17ROCPRIM_400000_NS6detail17trampoline_kernelINS0_14default_configENS1_25transform_config_selectorIiLb0EEEZNS1_14transform_implILb0ES3_S5_NS0_18transform_iteratorINS0_17counting_iteratorImlEEZNS1_24adjacent_difference_implIS3_Lb1ELb0EPiSB_N6thrust23THRUST_200600_302600_NS5minusIiEEEE10hipError_tPvRmT2_T3_mT4_P12ihipStream_tbEUlmE_iEESB_NS0_8identityIvEEEESG_SJ_SK_mSL_SN_bEUlT_E_NS1_11comp_targetILNS1_3genE3ELNS1_11target_archE908ELNS1_3gpuE7ELNS1_3repE0EEENS1_30default_config_static_selectorELNS0_4arch9wavefront6targetE0EEEvT1_, .Lfunc_end318-_ZN7rocprim17ROCPRIM_400000_NS6detail17trampoline_kernelINS0_14default_configENS1_25transform_config_selectorIiLb0EEEZNS1_14transform_implILb0ES3_S5_NS0_18transform_iteratorINS0_17counting_iteratorImlEEZNS1_24adjacent_difference_implIS3_Lb1ELb0EPiSB_N6thrust23THRUST_200600_302600_NS5minusIiEEEE10hipError_tPvRmT2_T3_mT4_P12ihipStream_tbEUlmE_iEESB_NS0_8identityIvEEEESG_SJ_SK_mSL_SN_bEUlT_E_NS1_11comp_targetILNS1_3genE3ELNS1_11target_archE908ELNS1_3gpuE7ELNS1_3repE0EEENS1_30default_config_static_selectorELNS0_4arch9wavefront6targetE0EEEvT1_
                                        ; -- End function
	.section	.AMDGPU.csdata,"",@progbits
; Kernel info:
; codeLenInByte = 0
; NumSgprs: 0
; NumVgprs: 0
; ScratchSize: 0
; MemoryBound: 0
; FloatMode: 240
; IeeeMode: 1
; LDSByteSize: 0 bytes/workgroup (compile time only)
; SGPRBlocks: 0
; VGPRBlocks: 0
; NumSGPRsForWavesPerEU: 1
; NumVGPRsForWavesPerEU: 1
; Occupancy: 16
; WaveLimiterHint : 0
; COMPUTE_PGM_RSRC2:SCRATCH_EN: 0
; COMPUTE_PGM_RSRC2:USER_SGPR: 15
; COMPUTE_PGM_RSRC2:TRAP_HANDLER: 0
; COMPUTE_PGM_RSRC2:TGID_X_EN: 1
; COMPUTE_PGM_RSRC2:TGID_Y_EN: 0
; COMPUTE_PGM_RSRC2:TGID_Z_EN: 0
; COMPUTE_PGM_RSRC2:TIDIG_COMP_CNT: 0
	.section	.text._ZN7rocprim17ROCPRIM_400000_NS6detail17trampoline_kernelINS0_14default_configENS1_25transform_config_selectorIiLb0EEEZNS1_14transform_implILb0ES3_S5_NS0_18transform_iteratorINS0_17counting_iteratorImlEEZNS1_24adjacent_difference_implIS3_Lb1ELb0EPiSB_N6thrust23THRUST_200600_302600_NS5minusIiEEEE10hipError_tPvRmT2_T3_mT4_P12ihipStream_tbEUlmE_iEESB_NS0_8identityIvEEEESG_SJ_SK_mSL_SN_bEUlT_E_NS1_11comp_targetILNS1_3genE2ELNS1_11target_archE906ELNS1_3gpuE6ELNS1_3repE0EEENS1_30default_config_static_selectorELNS0_4arch9wavefront6targetE0EEEvT1_,"axG",@progbits,_ZN7rocprim17ROCPRIM_400000_NS6detail17trampoline_kernelINS0_14default_configENS1_25transform_config_selectorIiLb0EEEZNS1_14transform_implILb0ES3_S5_NS0_18transform_iteratorINS0_17counting_iteratorImlEEZNS1_24adjacent_difference_implIS3_Lb1ELb0EPiSB_N6thrust23THRUST_200600_302600_NS5minusIiEEEE10hipError_tPvRmT2_T3_mT4_P12ihipStream_tbEUlmE_iEESB_NS0_8identityIvEEEESG_SJ_SK_mSL_SN_bEUlT_E_NS1_11comp_targetILNS1_3genE2ELNS1_11target_archE906ELNS1_3gpuE6ELNS1_3repE0EEENS1_30default_config_static_selectorELNS0_4arch9wavefront6targetE0EEEvT1_,comdat
	.protected	_ZN7rocprim17ROCPRIM_400000_NS6detail17trampoline_kernelINS0_14default_configENS1_25transform_config_selectorIiLb0EEEZNS1_14transform_implILb0ES3_S5_NS0_18transform_iteratorINS0_17counting_iteratorImlEEZNS1_24adjacent_difference_implIS3_Lb1ELb0EPiSB_N6thrust23THRUST_200600_302600_NS5minusIiEEEE10hipError_tPvRmT2_T3_mT4_P12ihipStream_tbEUlmE_iEESB_NS0_8identityIvEEEESG_SJ_SK_mSL_SN_bEUlT_E_NS1_11comp_targetILNS1_3genE2ELNS1_11target_archE906ELNS1_3gpuE6ELNS1_3repE0EEENS1_30default_config_static_selectorELNS0_4arch9wavefront6targetE0EEEvT1_ ; -- Begin function _ZN7rocprim17ROCPRIM_400000_NS6detail17trampoline_kernelINS0_14default_configENS1_25transform_config_selectorIiLb0EEEZNS1_14transform_implILb0ES3_S5_NS0_18transform_iteratorINS0_17counting_iteratorImlEEZNS1_24adjacent_difference_implIS3_Lb1ELb0EPiSB_N6thrust23THRUST_200600_302600_NS5minusIiEEEE10hipError_tPvRmT2_T3_mT4_P12ihipStream_tbEUlmE_iEESB_NS0_8identityIvEEEESG_SJ_SK_mSL_SN_bEUlT_E_NS1_11comp_targetILNS1_3genE2ELNS1_11target_archE906ELNS1_3gpuE6ELNS1_3repE0EEENS1_30default_config_static_selectorELNS0_4arch9wavefront6targetE0EEEvT1_
	.globl	_ZN7rocprim17ROCPRIM_400000_NS6detail17trampoline_kernelINS0_14default_configENS1_25transform_config_selectorIiLb0EEEZNS1_14transform_implILb0ES3_S5_NS0_18transform_iteratorINS0_17counting_iteratorImlEEZNS1_24adjacent_difference_implIS3_Lb1ELb0EPiSB_N6thrust23THRUST_200600_302600_NS5minusIiEEEE10hipError_tPvRmT2_T3_mT4_P12ihipStream_tbEUlmE_iEESB_NS0_8identityIvEEEESG_SJ_SK_mSL_SN_bEUlT_E_NS1_11comp_targetILNS1_3genE2ELNS1_11target_archE906ELNS1_3gpuE6ELNS1_3repE0EEENS1_30default_config_static_selectorELNS0_4arch9wavefront6targetE0EEEvT1_
	.p2align	8
	.type	_ZN7rocprim17ROCPRIM_400000_NS6detail17trampoline_kernelINS0_14default_configENS1_25transform_config_selectorIiLb0EEEZNS1_14transform_implILb0ES3_S5_NS0_18transform_iteratorINS0_17counting_iteratorImlEEZNS1_24adjacent_difference_implIS3_Lb1ELb0EPiSB_N6thrust23THRUST_200600_302600_NS5minusIiEEEE10hipError_tPvRmT2_T3_mT4_P12ihipStream_tbEUlmE_iEESB_NS0_8identityIvEEEESG_SJ_SK_mSL_SN_bEUlT_E_NS1_11comp_targetILNS1_3genE2ELNS1_11target_archE906ELNS1_3gpuE6ELNS1_3repE0EEENS1_30default_config_static_selectorELNS0_4arch9wavefront6targetE0EEEvT1_,@function
_ZN7rocprim17ROCPRIM_400000_NS6detail17trampoline_kernelINS0_14default_configENS1_25transform_config_selectorIiLb0EEEZNS1_14transform_implILb0ES3_S5_NS0_18transform_iteratorINS0_17counting_iteratorImlEEZNS1_24adjacent_difference_implIS3_Lb1ELb0EPiSB_N6thrust23THRUST_200600_302600_NS5minusIiEEEE10hipError_tPvRmT2_T3_mT4_P12ihipStream_tbEUlmE_iEESB_NS0_8identityIvEEEESG_SJ_SK_mSL_SN_bEUlT_E_NS1_11comp_targetILNS1_3genE2ELNS1_11target_archE906ELNS1_3gpuE6ELNS1_3repE0EEENS1_30default_config_static_selectorELNS0_4arch9wavefront6targetE0EEEvT1_: ; @_ZN7rocprim17ROCPRIM_400000_NS6detail17trampoline_kernelINS0_14default_configENS1_25transform_config_selectorIiLb0EEEZNS1_14transform_implILb0ES3_S5_NS0_18transform_iteratorINS0_17counting_iteratorImlEEZNS1_24adjacent_difference_implIS3_Lb1ELb0EPiSB_N6thrust23THRUST_200600_302600_NS5minusIiEEEE10hipError_tPvRmT2_T3_mT4_P12ihipStream_tbEUlmE_iEESB_NS0_8identityIvEEEESG_SJ_SK_mSL_SN_bEUlT_E_NS1_11comp_targetILNS1_3genE2ELNS1_11target_archE906ELNS1_3gpuE6ELNS1_3repE0EEENS1_30default_config_static_selectorELNS0_4arch9wavefront6targetE0EEEvT1_
; %bb.0:
	.section	.rodata,"a",@progbits
	.p2align	6, 0x0
	.amdhsa_kernel _ZN7rocprim17ROCPRIM_400000_NS6detail17trampoline_kernelINS0_14default_configENS1_25transform_config_selectorIiLb0EEEZNS1_14transform_implILb0ES3_S5_NS0_18transform_iteratorINS0_17counting_iteratorImlEEZNS1_24adjacent_difference_implIS3_Lb1ELb0EPiSB_N6thrust23THRUST_200600_302600_NS5minusIiEEEE10hipError_tPvRmT2_T3_mT4_P12ihipStream_tbEUlmE_iEESB_NS0_8identityIvEEEESG_SJ_SK_mSL_SN_bEUlT_E_NS1_11comp_targetILNS1_3genE2ELNS1_11target_archE906ELNS1_3gpuE6ELNS1_3repE0EEENS1_30default_config_static_selectorELNS0_4arch9wavefront6targetE0EEEvT1_
		.amdhsa_group_segment_fixed_size 0
		.amdhsa_private_segment_fixed_size 0
		.amdhsa_kernarg_size 56
		.amdhsa_user_sgpr_count 15
		.amdhsa_user_sgpr_dispatch_ptr 0
		.amdhsa_user_sgpr_queue_ptr 0
		.amdhsa_user_sgpr_kernarg_segment_ptr 1
		.amdhsa_user_sgpr_dispatch_id 0
		.amdhsa_user_sgpr_private_segment_size 0
		.amdhsa_wavefront_size32 1
		.amdhsa_uses_dynamic_stack 0
		.amdhsa_enable_private_segment 0
		.amdhsa_system_sgpr_workgroup_id_x 1
		.amdhsa_system_sgpr_workgroup_id_y 0
		.amdhsa_system_sgpr_workgroup_id_z 0
		.amdhsa_system_sgpr_workgroup_info 0
		.amdhsa_system_vgpr_workitem_id 0
		.amdhsa_next_free_vgpr 1
		.amdhsa_next_free_sgpr 1
		.amdhsa_reserve_vcc 0
		.amdhsa_float_round_mode_32 0
		.amdhsa_float_round_mode_16_64 0
		.amdhsa_float_denorm_mode_32 3
		.amdhsa_float_denorm_mode_16_64 3
		.amdhsa_dx10_clamp 1
		.amdhsa_ieee_mode 1
		.amdhsa_fp16_overflow 0
		.amdhsa_workgroup_processor_mode 1
		.amdhsa_memory_ordered 1
		.amdhsa_forward_progress 0
		.amdhsa_shared_vgpr_count 0
		.amdhsa_exception_fp_ieee_invalid_op 0
		.amdhsa_exception_fp_denorm_src 0
		.amdhsa_exception_fp_ieee_div_zero 0
		.amdhsa_exception_fp_ieee_overflow 0
		.amdhsa_exception_fp_ieee_underflow 0
		.amdhsa_exception_fp_ieee_inexact 0
		.amdhsa_exception_int_div_zero 0
	.end_amdhsa_kernel
	.section	.text._ZN7rocprim17ROCPRIM_400000_NS6detail17trampoline_kernelINS0_14default_configENS1_25transform_config_selectorIiLb0EEEZNS1_14transform_implILb0ES3_S5_NS0_18transform_iteratorINS0_17counting_iteratorImlEEZNS1_24adjacent_difference_implIS3_Lb1ELb0EPiSB_N6thrust23THRUST_200600_302600_NS5minusIiEEEE10hipError_tPvRmT2_T3_mT4_P12ihipStream_tbEUlmE_iEESB_NS0_8identityIvEEEESG_SJ_SK_mSL_SN_bEUlT_E_NS1_11comp_targetILNS1_3genE2ELNS1_11target_archE906ELNS1_3gpuE6ELNS1_3repE0EEENS1_30default_config_static_selectorELNS0_4arch9wavefront6targetE0EEEvT1_,"axG",@progbits,_ZN7rocprim17ROCPRIM_400000_NS6detail17trampoline_kernelINS0_14default_configENS1_25transform_config_selectorIiLb0EEEZNS1_14transform_implILb0ES3_S5_NS0_18transform_iteratorINS0_17counting_iteratorImlEEZNS1_24adjacent_difference_implIS3_Lb1ELb0EPiSB_N6thrust23THRUST_200600_302600_NS5minusIiEEEE10hipError_tPvRmT2_T3_mT4_P12ihipStream_tbEUlmE_iEESB_NS0_8identityIvEEEESG_SJ_SK_mSL_SN_bEUlT_E_NS1_11comp_targetILNS1_3genE2ELNS1_11target_archE906ELNS1_3gpuE6ELNS1_3repE0EEENS1_30default_config_static_selectorELNS0_4arch9wavefront6targetE0EEEvT1_,comdat
.Lfunc_end319:
	.size	_ZN7rocprim17ROCPRIM_400000_NS6detail17trampoline_kernelINS0_14default_configENS1_25transform_config_selectorIiLb0EEEZNS1_14transform_implILb0ES3_S5_NS0_18transform_iteratorINS0_17counting_iteratorImlEEZNS1_24adjacent_difference_implIS3_Lb1ELb0EPiSB_N6thrust23THRUST_200600_302600_NS5minusIiEEEE10hipError_tPvRmT2_T3_mT4_P12ihipStream_tbEUlmE_iEESB_NS0_8identityIvEEEESG_SJ_SK_mSL_SN_bEUlT_E_NS1_11comp_targetILNS1_3genE2ELNS1_11target_archE906ELNS1_3gpuE6ELNS1_3repE0EEENS1_30default_config_static_selectorELNS0_4arch9wavefront6targetE0EEEvT1_, .Lfunc_end319-_ZN7rocprim17ROCPRIM_400000_NS6detail17trampoline_kernelINS0_14default_configENS1_25transform_config_selectorIiLb0EEEZNS1_14transform_implILb0ES3_S5_NS0_18transform_iteratorINS0_17counting_iteratorImlEEZNS1_24adjacent_difference_implIS3_Lb1ELb0EPiSB_N6thrust23THRUST_200600_302600_NS5minusIiEEEE10hipError_tPvRmT2_T3_mT4_P12ihipStream_tbEUlmE_iEESB_NS0_8identityIvEEEESG_SJ_SK_mSL_SN_bEUlT_E_NS1_11comp_targetILNS1_3genE2ELNS1_11target_archE906ELNS1_3gpuE6ELNS1_3repE0EEENS1_30default_config_static_selectorELNS0_4arch9wavefront6targetE0EEEvT1_
                                        ; -- End function
	.section	.AMDGPU.csdata,"",@progbits
; Kernel info:
; codeLenInByte = 0
; NumSgprs: 0
; NumVgprs: 0
; ScratchSize: 0
; MemoryBound: 0
; FloatMode: 240
; IeeeMode: 1
; LDSByteSize: 0 bytes/workgroup (compile time only)
; SGPRBlocks: 0
; VGPRBlocks: 0
; NumSGPRsForWavesPerEU: 1
; NumVGPRsForWavesPerEU: 1
; Occupancy: 16
; WaveLimiterHint : 0
; COMPUTE_PGM_RSRC2:SCRATCH_EN: 0
; COMPUTE_PGM_RSRC2:USER_SGPR: 15
; COMPUTE_PGM_RSRC2:TRAP_HANDLER: 0
; COMPUTE_PGM_RSRC2:TGID_X_EN: 1
; COMPUTE_PGM_RSRC2:TGID_Y_EN: 0
; COMPUTE_PGM_RSRC2:TGID_Z_EN: 0
; COMPUTE_PGM_RSRC2:TIDIG_COMP_CNT: 0
	.section	.text._ZN7rocprim17ROCPRIM_400000_NS6detail17trampoline_kernelINS0_14default_configENS1_25transform_config_selectorIiLb0EEEZNS1_14transform_implILb0ES3_S5_NS0_18transform_iteratorINS0_17counting_iteratorImlEEZNS1_24adjacent_difference_implIS3_Lb1ELb0EPiSB_N6thrust23THRUST_200600_302600_NS5minusIiEEEE10hipError_tPvRmT2_T3_mT4_P12ihipStream_tbEUlmE_iEESB_NS0_8identityIvEEEESG_SJ_SK_mSL_SN_bEUlT_E_NS1_11comp_targetILNS1_3genE10ELNS1_11target_archE1201ELNS1_3gpuE5ELNS1_3repE0EEENS1_30default_config_static_selectorELNS0_4arch9wavefront6targetE0EEEvT1_,"axG",@progbits,_ZN7rocprim17ROCPRIM_400000_NS6detail17trampoline_kernelINS0_14default_configENS1_25transform_config_selectorIiLb0EEEZNS1_14transform_implILb0ES3_S5_NS0_18transform_iteratorINS0_17counting_iteratorImlEEZNS1_24adjacent_difference_implIS3_Lb1ELb0EPiSB_N6thrust23THRUST_200600_302600_NS5minusIiEEEE10hipError_tPvRmT2_T3_mT4_P12ihipStream_tbEUlmE_iEESB_NS0_8identityIvEEEESG_SJ_SK_mSL_SN_bEUlT_E_NS1_11comp_targetILNS1_3genE10ELNS1_11target_archE1201ELNS1_3gpuE5ELNS1_3repE0EEENS1_30default_config_static_selectorELNS0_4arch9wavefront6targetE0EEEvT1_,comdat
	.protected	_ZN7rocprim17ROCPRIM_400000_NS6detail17trampoline_kernelINS0_14default_configENS1_25transform_config_selectorIiLb0EEEZNS1_14transform_implILb0ES3_S5_NS0_18transform_iteratorINS0_17counting_iteratorImlEEZNS1_24adjacent_difference_implIS3_Lb1ELb0EPiSB_N6thrust23THRUST_200600_302600_NS5minusIiEEEE10hipError_tPvRmT2_T3_mT4_P12ihipStream_tbEUlmE_iEESB_NS0_8identityIvEEEESG_SJ_SK_mSL_SN_bEUlT_E_NS1_11comp_targetILNS1_3genE10ELNS1_11target_archE1201ELNS1_3gpuE5ELNS1_3repE0EEENS1_30default_config_static_selectorELNS0_4arch9wavefront6targetE0EEEvT1_ ; -- Begin function _ZN7rocprim17ROCPRIM_400000_NS6detail17trampoline_kernelINS0_14default_configENS1_25transform_config_selectorIiLb0EEEZNS1_14transform_implILb0ES3_S5_NS0_18transform_iteratorINS0_17counting_iteratorImlEEZNS1_24adjacent_difference_implIS3_Lb1ELb0EPiSB_N6thrust23THRUST_200600_302600_NS5minusIiEEEE10hipError_tPvRmT2_T3_mT4_P12ihipStream_tbEUlmE_iEESB_NS0_8identityIvEEEESG_SJ_SK_mSL_SN_bEUlT_E_NS1_11comp_targetILNS1_3genE10ELNS1_11target_archE1201ELNS1_3gpuE5ELNS1_3repE0EEENS1_30default_config_static_selectorELNS0_4arch9wavefront6targetE0EEEvT1_
	.globl	_ZN7rocprim17ROCPRIM_400000_NS6detail17trampoline_kernelINS0_14default_configENS1_25transform_config_selectorIiLb0EEEZNS1_14transform_implILb0ES3_S5_NS0_18transform_iteratorINS0_17counting_iteratorImlEEZNS1_24adjacent_difference_implIS3_Lb1ELb0EPiSB_N6thrust23THRUST_200600_302600_NS5minusIiEEEE10hipError_tPvRmT2_T3_mT4_P12ihipStream_tbEUlmE_iEESB_NS0_8identityIvEEEESG_SJ_SK_mSL_SN_bEUlT_E_NS1_11comp_targetILNS1_3genE10ELNS1_11target_archE1201ELNS1_3gpuE5ELNS1_3repE0EEENS1_30default_config_static_selectorELNS0_4arch9wavefront6targetE0EEEvT1_
	.p2align	8
	.type	_ZN7rocprim17ROCPRIM_400000_NS6detail17trampoline_kernelINS0_14default_configENS1_25transform_config_selectorIiLb0EEEZNS1_14transform_implILb0ES3_S5_NS0_18transform_iteratorINS0_17counting_iteratorImlEEZNS1_24adjacent_difference_implIS3_Lb1ELb0EPiSB_N6thrust23THRUST_200600_302600_NS5minusIiEEEE10hipError_tPvRmT2_T3_mT4_P12ihipStream_tbEUlmE_iEESB_NS0_8identityIvEEEESG_SJ_SK_mSL_SN_bEUlT_E_NS1_11comp_targetILNS1_3genE10ELNS1_11target_archE1201ELNS1_3gpuE5ELNS1_3repE0EEENS1_30default_config_static_selectorELNS0_4arch9wavefront6targetE0EEEvT1_,@function
_ZN7rocprim17ROCPRIM_400000_NS6detail17trampoline_kernelINS0_14default_configENS1_25transform_config_selectorIiLb0EEEZNS1_14transform_implILb0ES3_S5_NS0_18transform_iteratorINS0_17counting_iteratorImlEEZNS1_24adjacent_difference_implIS3_Lb1ELb0EPiSB_N6thrust23THRUST_200600_302600_NS5minusIiEEEE10hipError_tPvRmT2_T3_mT4_P12ihipStream_tbEUlmE_iEESB_NS0_8identityIvEEEESG_SJ_SK_mSL_SN_bEUlT_E_NS1_11comp_targetILNS1_3genE10ELNS1_11target_archE1201ELNS1_3gpuE5ELNS1_3repE0EEENS1_30default_config_static_selectorELNS0_4arch9wavefront6targetE0EEEvT1_: ; @_ZN7rocprim17ROCPRIM_400000_NS6detail17trampoline_kernelINS0_14default_configENS1_25transform_config_selectorIiLb0EEEZNS1_14transform_implILb0ES3_S5_NS0_18transform_iteratorINS0_17counting_iteratorImlEEZNS1_24adjacent_difference_implIS3_Lb1ELb0EPiSB_N6thrust23THRUST_200600_302600_NS5minusIiEEEE10hipError_tPvRmT2_T3_mT4_P12ihipStream_tbEUlmE_iEESB_NS0_8identityIvEEEESG_SJ_SK_mSL_SN_bEUlT_E_NS1_11comp_targetILNS1_3genE10ELNS1_11target_archE1201ELNS1_3gpuE5ELNS1_3repE0EEENS1_30default_config_static_selectorELNS0_4arch9wavefront6targetE0EEEvT1_
; %bb.0:
	.section	.rodata,"a",@progbits
	.p2align	6, 0x0
	.amdhsa_kernel _ZN7rocprim17ROCPRIM_400000_NS6detail17trampoline_kernelINS0_14default_configENS1_25transform_config_selectorIiLb0EEEZNS1_14transform_implILb0ES3_S5_NS0_18transform_iteratorINS0_17counting_iteratorImlEEZNS1_24adjacent_difference_implIS3_Lb1ELb0EPiSB_N6thrust23THRUST_200600_302600_NS5minusIiEEEE10hipError_tPvRmT2_T3_mT4_P12ihipStream_tbEUlmE_iEESB_NS0_8identityIvEEEESG_SJ_SK_mSL_SN_bEUlT_E_NS1_11comp_targetILNS1_3genE10ELNS1_11target_archE1201ELNS1_3gpuE5ELNS1_3repE0EEENS1_30default_config_static_selectorELNS0_4arch9wavefront6targetE0EEEvT1_
		.amdhsa_group_segment_fixed_size 0
		.amdhsa_private_segment_fixed_size 0
		.amdhsa_kernarg_size 56
		.amdhsa_user_sgpr_count 15
		.amdhsa_user_sgpr_dispatch_ptr 0
		.amdhsa_user_sgpr_queue_ptr 0
		.amdhsa_user_sgpr_kernarg_segment_ptr 1
		.amdhsa_user_sgpr_dispatch_id 0
		.amdhsa_user_sgpr_private_segment_size 0
		.amdhsa_wavefront_size32 1
		.amdhsa_uses_dynamic_stack 0
		.amdhsa_enable_private_segment 0
		.amdhsa_system_sgpr_workgroup_id_x 1
		.amdhsa_system_sgpr_workgroup_id_y 0
		.amdhsa_system_sgpr_workgroup_id_z 0
		.amdhsa_system_sgpr_workgroup_info 0
		.amdhsa_system_vgpr_workitem_id 0
		.amdhsa_next_free_vgpr 1
		.amdhsa_next_free_sgpr 1
		.amdhsa_reserve_vcc 0
		.amdhsa_float_round_mode_32 0
		.amdhsa_float_round_mode_16_64 0
		.amdhsa_float_denorm_mode_32 3
		.amdhsa_float_denorm_mode_16_64 3
		.amdhsa_dx10_clamp 1
		.amdhsa_ieee_mode 1
		.amdhsa_fp16_overflow 0
		.amdhsa_workgroup_processor_mode 1
		.amdhsa_memory_ordered 1
		.amdhsa_forward_progress 0
		.amdhsa_shared_vgpr_count 0
		.amdhsa_exception_fp_ieee_invalid_op 0
		.amdhsa_exception_fp_denorm_src 0
		.amdhsa_exception_fp_ieee_div_zero 0
		.amdhsa_exception_fp_ieee_overflow 0
		.amdhsa_exception_fp_ieee_underflow 0
		.amdhsa_exception_fp_ieee_inexact 0
		.amdhsa_exception_int_div_zero 0
	.end_amdhsa_kernel
	.section	.text._ZN7rocprim17ROCPRIM_400000_NS6detail17trampoline_kernelINS0_14default_configENS1_25transform_config_selectorIiLb0EEEZNS1_14transform_implILb0ES3_S5_NS0_18transform_iteratorINS0_17counting_iteratorImlEEZNS1_24adjacent_difference_implIS3_Lb1ELb0EPiSB_N6thrust23THRUST_200600_302600_NS5minusIiEEEE10hipError_tPvRmT2_T3_mT4_P12ihipStream_tbEUlmE_iEESB_NS0_8identityIvEEEESG_SJ_SK_mSL_SN_bEUlT_E_NS1_11comp_targetILNS1_3genE10ELNS1_11target_archE1201ELNS1_3gpuE5ELNS1_3repE0EEENS1_30default_config_static_selectorELNS0_4arch9wavefront6targetE0EEEvT1_,"axG",@progbits,_ZN7rocprim17ROCPRIM_400000_NS6detail17trampoline_kernelINS0_14default_configENS1_25transform_config_selectorIiLb0EEEZNS1_14transform_implILb0ES3_S5_NS0_18transform_iteratorINS0_17counting_iteratorImlEEZNS1_24adjacent_difference_implIS3_Lb1ELb0EPiSB_N6thrust23THRUST_200600_302600_NS5minusIiEEEE10hipError_tPvRmT2_T3_mT4_P12ihipStream_tbEUlmE_iEESB_NS0_8identityIvEEEESG_SJ_SK_mSL_SN_bEUlT_E_NS1_11comp_targetILNS1_3genE10ELNS1_11target_archE1201ELNS1_3gpuE5ELNS1_3repE0EEENS1_30default_config_static_selectorELNS0_4arch9wavefront6targetE0EEEvT1_,comdat
.Lfunc_end320:
	.size	_ZN7rocprim17ROCPRIM_400000_NS6detail17trampoline_kernelINS0_14default_configENS1_25transform_config_selectorIiLb0EEEZNS1_14transform_implILb0ES3_S5_NS0_18transform_iteratorINS0_17counting_iteratorImlEEZNS1_24adjacent_difference_implIS3_Lb1ELb0EPiSB_N6thrust23THRUST_200600_302600_NS5minusIiEEEE10hipError_tPvRmT2_T3_mT4_P12ihipStream_tbEUlmE_iEESB_NS0_8identityIvEEEESG_SJ_SK_mSL_SN_bEUlT_E_NS1_11comp_targetILNS1_3genE10ELNS1_11target_archE1201ELNS1_3gpuE5ELNS1_3repE0EEENS1_30default_config_static_selectorELNS0_4arch9wavefront6targetE0EEEvT1_, .Lfunc_end320-_ZN7rocprim17ROCPRIM_400000_NS6detail17trampoline_kernelINS0_14default_configENS1_25transform_config_selectorIiLb0EEEZNS1_14transform_implILb0ES3_S5_NS0_18transform_iteratorINS0_17counting_iteratorImlEEZNS1_24adjacent_difference_implIS3_Lb1ELb0EPiSB_N6thrust23THRUST_200600_302600_NS5minusIiEEEE10hipError_tPvRmT2_T3_mT4_P12ihipStream_tbEUlmE_iEESB_NS0_8identityIvEEEESG_SJ_SK_mSL_SN_bEUlT_E_NS1_11comp_targetILNS1_3genE10ELNS1_11target_archE1201ELNS1_3gpuE5ELNS1_3repE0EEENS1_30default_config_static_selectorELNS0_4arch9wavefront6targetE0EEEvT1_
                                        ; -- End function
	.section	.AMDGPU.csdata,"",@progbits
; Kernel info:
; codeLenInByte = 0
; NumSgprs: 0
; NumVgprs: 0
; ScratchSize: 0
; MemoryBound: 0
; FloatMode: 240
; IeeeMode: 1
; LDSByteSize: 0 bytes/workgroup (compile time only)
; SGPRBlocks: 0
; VGPRBlocks: 0
; NumSGPRsForWavesPerEU: 1
; NumVGPRsForWavesPerEU: 1
; Occupancy: 16
; WaveLimiterHint : 0
; COMPUTE_PGM_RSRC2:SCRATCH_EN: 0
; COMPUTE_PGM_RSRC2:USER_SGPR: 15
; COMPUTE_PGM_RSRC2:TRAP_HANDLER: 0
; COMPUTE_PGM_RSRC2:TGID_X_EN: 1
; COMPUTE_PGM_RSRC2:TGID_Y_EN: 0
; COMPUTE_PGM_RSRC2:TGID_Z_EN: 0
; COMPUTE_PGM_RSRC2:TIDIG_COMP_CNT: 0
	.section	.text._ZN7rocprim17ROCPRIM_400000_NS6detail17trampoline_kernelINS0_14default_configENS1_25transform_config_selectorIiLb0EEEZNS1_14transform_implILb0ES3_S5_NS0_18transform_iteratorINS0_17counting_iteratorImlEEZNS1_24adjacent_difference_implIS3_Lb1ELb0EPiSB_N6thrust23THRUST_200600_302600_NS5minusIiEEEE10hipError_tPvRmT2_T3_mT4_P12ihipStream_tbEUlmE_iEESB_NS0_8identityIvEEEESG_SJ_SK_mSL_SN_bEUlT_E_NS1_11comp_targetILNS1_3genE10ELNS1_11target_archE1200ELNS1_3gpuE4ELNS1_3repE0EEENS1_30default_config_static_selectorELNS0_4arch9wavefront6targetE0EEEvT1_,"axG",@progbits,_ZN7rocprim17ROCPRIM_400000_NS6detail17trampoline_kernelINS0_14default_configENS1_25transform_config_selectorIiLb0EEEZNS1_14transform_implILb0ES3_S5_NS0_18transform_iteratorINS0_17counting_iteratorImlEEZNS1_24adjacent_difference_implIS3_Lb1ELb0EPiSB_N6thrust23THRUST_200600_302600_NS5minusIiEEEE10hipError_tPvRmT2_T3_mT4_P12ihipStream_tbEUlmE_iEESB_NS0_8identityIvEEEESG_SJ_SK_mSL_SN_bEUlT_E_NS1_11comp_targetILNS1_3genE10ELNS1_11target_archE1200ELNS1_3gpuE4ELNS1_3repE0EEENS1_30default_config_static_selectorELNS0_4arch9wavefront6targetE0EEEvT1_,comdat
	.protected	_ZN7rocprim17ROCPRIM_400000_NS6detail17trampoline_kernelINS0_14default_configENS1_25transform_config_selectorIiLb0EEEZNS1_14transform_implILb0ES3_S5_NS0_18transform_iteratorINS0_17counting_iteratorImlEEZNS1_24adjacent_difference_implIS3_Lb1ELb0EPiSB_N6thrust23THRUST_200600_302600_NS5minusIiEEEE10hipError_tPvRmT2_T3_mT4_P12ihipStream_tbEUlmE_iEESB_NS0_8identityIvEEEESG_SJ_SK_mSL_SN_bEUlT_E_NS1_11comp_targetILNS1_3genE10ELNS1_11target_archE1200ELNS1_3gpuE4ELNS1_3repE0EEENS1_30default_config_static_selectorELNS0_4arch9wavefront6targetE0EEEvT1_ ; -- Begin function _ZN7rocprim17ROCPRIM_400000_NS6detail17trampoline_kernelINS0_14default_configENS1_25transform_config_selectorIiLb0EEEZNS1_14transform_implILb0ES3_S5_NS0_18transform_iteratorINS0_17counting_iteratorImlEEZNS1_24adjacent_difference_implIS3_Lb1ELb0EPiSB_N6thrust23THRUST_200600_302600_NS5minusIiEEEE10hipError_tPvRmT2_T3_mT4_P12ihipStream_tbEUlmE_iEESB_NS0_8identityIvEEEESG_SJ_SK_mSL_SN_bEUlT_E_NS1_11comp_targetILNS1_3genE10ELNS1_11target_archE1200ELNS1_3gpuE4ELNS1_3repE0EEENS1_30default_config_static_selectorELNS0_4arch9wavefront6targetE0EEEvT1_
	.globl	_ZN7rocprim17ROCPRIM_400000_NS6detail17trampoline_kernelINS0_14default_configENS1_25transform_config_selectorIiLb0EEEZNS1_14transform_implILb0ES3_S5_NS0_18transform_iteratorINS0_17counting_iteratorImlEEZNS1_24adjacent_difference_implIS3_Lb1ELb0EPiSB_N6thrust23THRUST_200600_302600_NS5minusIiEEEE10hipError_tPvRmT2_T3_mT4_P12ihipStream_tbEUlmE_iEESB_NS0_8identityIvEEEESG_SJ_SK_mSL_SN_bEUlT_E_NS1_11comp_targetILNS1_3genE10ELNS1_11target_archE1200ELNS1_3gpuE4ELNS1_3repE0EEENS1_30default_config_static_selectorELNS0_4arch9wavefront6targetE0EEEvT1_
	.p2align	8
	.type	_ZN7rocprim17ROCPRIM_400000_NS6detail17trampoline_kernelINS0_14default_configENS1_25transform_config_selectorIiLb0EEEZNS1_14transform_implILb0ES3_S5_NS0_18transform_iteratorINS0_17counting_iteratorImlEEZNS1_24adjacent_difference_implIS3_Lb1ELb0EPiSB_N6thrust23THRUST_200600_302600_NS5minusIiEEEE10hipError_tPvRmT2_T3_mT4_P12ihipStream_tbEUlmE_iEESB_NS0_8identityIvEEEESG_SJ_SK_mSL_SN_bEUlT_E_NS1_11comp_targetILNS1_3genE10ELNS1_11target_archE1200ELNS1_3gpuE4ELNS1_3repE0EEENS1_30default_config_static_selectorELNS0_4arch9wavefront6targetE0EEEvT1_,@function
_ZN7rocprim17ROCPRIM_400000_NS6detail17trampoline_kernelINS0_14default_configENS1_25transform_config_selectorIiLb0EEEZNS1_14transform_implILb0ES3_S5_NS0_18transform_iteratorINS0_17counting_iteratorImlEEZNS1_24adjacent_difference_implIS3_Lb1ELb0EPiSB_N6thrust23THRUST_200600_302600_NS5minusIiEEEE10hipError_tPvRmT2_T3_mT4_P12ihipStream_tbEUlmE_iEESB_NS0_8identityIvEEEESG_SJ_SK_mSL_SN_bEUlT_E_NS1_11comp_targetILNS1_3genE10ELNS1_11target_archE1200ELNS1_3gpuE4ELNS1_3repE0EEENS1_30default_config_static_selectorELNS0_4arch9wavefront6targetE0EEEvT1_: ; @_ZN7rocprim17ROCPRIM_400000_NS6detail17trampoline_kernelINS0_14default_configENS1_25transform_config_selectorIiLb0EEEZNS1_14transform_implILb0ES3_S5_NS0_18transform_iteratorINS0_17counting_iteratorImlEEZNS1_24adjacent_difference_implIS3_Lb1ELb0EPiSB_N6thrust23THRUST_200600_302600_NS5minusIiEEEE10hipError_tPvRmT2_T3_mT4_P12ihipStream_tbEUlmE_iEESB_NS0_8identityIvEEEESG_SJ_SK_mSL_SN_bEUlT_E_NS1_11comp_targetILNS1_3genE10ELNS1_11target_archE1200ELNS1_3gpuE4ELNS1_3repE0EEENS1_30default_config_static_selectorELNS0_4arch9wavefront6targetE0EEEvT1_
; %bb.0:
	.section	.rodata,"a",@progbits
	.p2align	6, 0x0
	.amdhsa_kernel _ZN7rocprim17ROCPRIM_400000_NS6detail17trampoline_kernelINS0_14default_configENS1_25transform_config_selectorIiLb0EEEZNS1_14transform_implILb0ES3_S5_NS0_18transform_iteratorINS0_17counting_iteratorImlEEZNS1_24adjacent_difference_implIS3_Lb1ELb0EPiSB_N6thrust23THRUST_200600_302600_NS5minusIiEEEE10hipError_tPvRmT2_T3_mT4_P12ihipStream_tbEUlmE_iEESB_NS0_8identityIvEEEESG_SJ_SK_mSL_SN_bEUlT_E_NS1_11comp_targetILNS1_3genE10ELNS1_11target_archE1200ELNS1_3gpuE4ELNS1_3repE0EEENS1_30default_config_static_selectorELNS0_4arch9wavefront6targetE0EEEvT1_
		.amdhsa_group_segment_fixed_size 0
		.amdhsa_private_segment_fixed_size 0
		.amdhsa_kernarg_size 56
		.amdhsa_user_sgpr_count 15
		.amdhsa_user_sgpr_dispatch_ptr 0
		.amdhsa_user_sgpr_queue_ptr 0
		.amdhsa_user_sgpr_kernarg_segment_ptr 1
		.amdhsa_user_sgpr_dispatch_id 0
		.amdhsa_user_sgpr_private_segment_size 0
		.amdhsa_wavefront_size32 1
		.amdhsa_uses_dynamic_stack 0
		.amdhsa_enable_private_segment 0
		.amdhsa_system_sgpr_workgroup_id_x 1
		.amdhsa_system_sgpr_workgroup_id_y 0
		.amdhsa_system_sgpr_workgroup_id_z 0
		.amdhsa_system_sgpr_workgroup_info 0
		.amdhsa_system_vgpr_workitem_id 0
		.amdhsa_next_free_vgpr 1
		.amdhsa_next_free_sgpr 1
		.amdhsa_reserve_vcc 0
		.amdhsa_float_round_mode_32 0
		.amdhsa_float_round_mode_16_64 0
		.amdhsa_float_denorm_mode_32 3
		.amdhsa_float_denorm_mode_16_64 3
		.amdhsa_dx10_clamp 1
		.amdhsa_ieee_mode 1
		.amdhsa_fp16_overflow 0
		.amdhsa_workgroup_processor_mode 1
		.amdhsa_memory_ordered 1
		.amdhsa_forward_progress 0
		.amdhsa_shared_vgpr_count 0
		.amdhsa_exception_fp_ieee_invalid_op 0
		.amdhsa_exception_fp_denorm_src 0
		.amdhsa_exception_fp_ieee_div_zero 0
		.amdhsa_exception_fp_ieee_overflow 0
		.amdhsa_exception_fp_ieee_underflow 0
		.amdhsa_exception_fp_ieee_inexact 0
		.amdhsa_exception_int_div_zero 0
	.end_amdhsa_kernel
	.section	.text._ZN7rocprim17ROCPRIM_400000_NS6detail17trampoline_kernelINS0_14default_configENS1_25transform_config_selectorIiLb0EEEZNS1_14transform_implILb0ES3_S5_NS0_18transform_iteratorINS0_17counting_iteratorImlEEZNS1_24adjacent_difference_implIS3_Lb1ELb0EPiSB_N6thrust23THRUST_200600_302600_NS5minusIiEEEE10hipError_tPvRmT2_T3_mT4_P12ihipStream_tbEUlmE_iEESB_NS0_8identityIvEEEESG_SJ_SK_mSL_SN_bEUlT_E_NS1_11comp_targetILNS1_3genE10ELNS1_11target_archE1200ELNS1_3gpuE4ELNS1_3repE0EEENS1_30default_config_static_selectorELNS0_4arch9wavefront6targetE0EEEvT1_,"axG",@progbits,_ZN7rocprim17ROCPRIM_400000_NS6detail17trampoline_kernelINS0_14default_configENS1_25transform_config_selectorIiLb0EEEZNS1_14transform_implILb0ES3_S5_NS0_18transform_iteratorINS0_17counting_iteratorImlEEZNS1_24adjacent_difference_implIS3_Lb1ELb0EPiSB_N6thrust23THRUST_200600_302600_NS5minusIiEEEE10hipError_tPvRmT2_T3_mT4_P12ihipStream_tbEUlmE_iEESB_NS0_8identityIvEEEESG_SJ_SK_mSL_SN_bEUlT_E_NS1_11comp_targetILNS1_3genE10ELNS1_11target_archE1200ELNS1_3gpuE4ELNS1_3repE0EEENS1_30default_config_static_selectorELNS0_4arch9wavefront6targetE0EEEvT1_,comdat
.Lfunc_end321:
	.size	_ZN7rocprim17ROCPRIM_400000_NS6detail17trampoline_kernelINS0_14default_configENS1_25transform_config_selectorIiLb0EEEZNS1_14transform_implILb0ES3_S5_NS0_18transform_iteratorINS0_17counting_iteratorImlEEZNS1_24adjacent_difference_implIS3_Lb1ELb0EPiSB_N6thrust23THRUST_200600_302600_NS5minusIiEEEE10hipError_tPvRmT2_T3_mT4_P12ihipStream_tbEUlmE_iEESB_NS0_8identityIvEEEESG_SJ_SK_mSL_SN_bEUlT_E_NS1_11comp_targetILNS1_3genE10ELNS1_11target_archE1200ELNS1_3gpuE4ELNS1_3repE0EEENS1_30default_config_static_selectorELNS0_4arch9wavefront6targetE0EEEvT1_, .Lfunc_end321-_ZN7rocprim17ROCPRIM_400000_NS6detail17trampoline_kernelINS0_14default_configENS1_25transform_config_selectorIiLb0EEEZNS1_14transform_implILb0ES3_S5_NS0_18transform_iteratorINS0_17counting_iteratorImlEEZNS1_24adjacent_difference_implIS3_Lb1ELb0EPiSB_N6thrust23THRUST_200600_302600_NS5minusIiEEEE10hipError_tPvRmT2_T3_mT4_P12ihipStream_tbEUlmE_iEESB_NS0_8identityIvEEEESG_SJ_SK_mSL_SN_bEUlT_E_NS1_11comp_targetILNS1_3genE10ELNS1_11target_archE1200ELNS1_3gpuE4ELNS1_3repE0EEENS1_30default_config_static_selectorELNS0_4arch9wavefront6targetE0EEEvT1_
                                        ; -- End function
	.section	.AMDGPU.csdata,"",@progbits
; Kernel info:
; codeLenInByte = 0
; NumSgprs: 0
; NumVgprs: 0
; ScratchSize: 0
; MemoryBound: 0
; FloatMode: 240
; IeeeMode: 1
; LDSByteSize: 0 bytes/workgroup (compile time only)
; SGPRBlocks: 0
; VGPRBlocks: 0
; NumSGPRsForWavesPerEU: 1
; NumVGPRsForWavesPerEU: 1
; Occupancy: 16
; WaveLimiterHint : 0
; COMPUTE_PGM_RSRC2:SCRATCH_EN: 0
; COMPUTE_PGM_RSRC2:USER_SGPR: 15
; COMPUTE_PGM_RSRC2:TRAP_HANDLER: 0
; COMPUTE_PGM_RSRC2:TGID_X_EN: 1
; COMPUTE_PGM_RSRC2:TGID_Y_EN: 0
; COMPUTE_PGM_RSRC2:TGID_Z_EN: 0
; COMPUTE_PGM_RSRC2:TIDIG_COMP_CNT: 0
	.section	.text._ZN7rocprim17ROCPRIM_400000_NS6detail17trampoline_kernelINS0_14default_configENS1_25transform_config_selectorIiLb0EEEZNS1_14transform_implILb0ES3_S5_NS0_18transform_iteratorINS0_17counting_iteratorImlEEZNS1_24adjacent_difference_implIS3_Lb1ELb0EPiSB_N6thrust23THRUST_200600_302600_NS5minusIiEEEE10hipError_tPvRmT2_T3_mT4_P12ihipStream_tbEUlmE_iEESB_NS0_8identityIvEEEESG_SJ_SK_mSL_SN_bEUlT_E_NS1_11comp_targetILNS1_3genE9ELNS1_11target_archE1100ELNS1_3gpuE3ELNS1_3repE0EEENS1_30default_config_static_selectorELNS0_4arch9wavefront6targetE0EEEvT1_,"axG",@progbits,_ZN7rocprim17ROCPRIM_400000_NS6detail17trampoline_kernelINS0_14default_configENS1_25transform_config_selectorIiLb0EEEZNS1_14transform_implILb0ES3_S5_NS0_18transform_iteratorINS0_17counting_iteratorImlEEZNS1_24adjacent_difference_implIS3_Lb1ELb0EPiSB_N6thrust23THRUST_200600_302600_NS5minusIiEEEE10hipError_tPvRmT2_T3_mT4_P12ihipStream_tbEUlmE_iEESB_NS0_8identityIvEEEESG_SJ_SK_mSL_SN_bEUlT_E_NS1_11comp_targetILNS1_3genE9ELNS1_11target_archE1100ELNS1_3gpuE3ELNS1_3repE0EEENS1_30default_config_static_selectorELNS0_4arch9wavefront6targetE0EEEvT1_,comdat
	.protected	_ZN7rocprim17ROCPRIM_400000_NS6detail17trampoline_kernelINS0_14default_configENS1_25transform_config_selectorIiLb0EEEZNS1_14transform_implILb0ES3_S5_NS0_18transform_iteratorINS0_17counting_iteratorImlEEZNS1_24adjacent_difference_implIS3_Lb1ELb0EPiSB_N6thrust23THRUST_200600_302600_NS5minusIiEEEE10hipError_tPvRmT2_T3_mT4_P12ihipStream_tbEUlmE_iEESB_NS0_8identityIvEEEESG_SJ_SK_mSL_SN_bEUlT_E_NS1_11comp_targetILNS1_3genE9ELNS1_11target_archE1100ELNS1_3gpuE3ELNS1_3repE0EEENS1_30default_config_static_selectorELNS0_4arch9wavefront6targetE0EEEvT1_ ; -- Begin function _ZN7rocprim17ROCPRIM_400000_NS6detail17trampoline_kernelINS0_14default_configENS1_25transform_config_selectorIiLb0EEEZNS1_14transform_implILb0ES3_S5_NS0_18transform_iteratorINS0_17counting_iteratorImlEEZNS1_24adjacent_difference_implIS3_Lb1ELb0EPiSB_N6thrust23THRUST_200600_302600_NS5minusIiEEEE10hipError_tPvRmT2_T3_mT4_P12ihipStream_tbEUlmE_iEESB_NS0_8identityIvEEEESG_SJ_SK_mSL_SN_bEUlT_E_NS1_11comp_targetILNS1_3genE9ELNS1_11target_archE1100ELNS1_3gpuE3ELNS1_3repE0EEENS1_30default_config_static_selectorELNS0_4arch9wavefront6targetE0EEEvT1_
	.globl	_ZN7rocprim17ROCPRIM_400000_NS6detail17trampoline_kernelINS0_14default_configENS1_25transform_config_selectorIiLb0EEEZNS1_14transform_implILb0ES3_S5_NS0_18transform_iteratorINS0_17counting_iteratorImlEEZNS1_24adjacent_difference_implIS3_Lb1ELb0EPiSB_N6thrust23THRUST_200600_302600_NS5minusIiEEEE10hipError_tPvRmT2_T3_mT4_P12ihipStream_tbEUlmE_iEESB_NS0_8identityIvEEEESG_SJ_SK_mSL_SN_bEUlT_E_NS1_11comp_targetILNS1_3genE9ELNS1_11target_archE1100ELNS1_3gpuE3ELNS1_3repE0EEENS1_30default_config_static_selectorELNS0_4arch9wavefront6targetE0EEEvT1_
	.p2align	8
	.type	_ZN7rocprim17ROCPRIM_400000_NS6detail17trampoline_kernelINS0_14default_configENS1_25transform_config_selectorIiLb0EEEZNS1_14transform_implILb0ES3_S5_NS0_18transform_iteratorINS0_17counting_iteratorImlEEZNS1_24adjacent_difference_implIS3_Lb1ELb0EPiSB_N6thrust23THRUST_200600_302600_NS5minusIiEEEE10hipError_tPvRmT2_T3_mT4_P12ihipStream_tbEUlmE_iEESB_NS0_8identityIvEEEESG_SJ_SK_mSL_SN_bEUlT_E_NS1_11comp_targetILNS1_3genE9ELNS1_11target_archE1100ELNS1_3gpuE3ELNS1_3repE0EEENS1_30default_config_static_selectorELNS0_4arch9wavefront6targetE0EEEvT1_,@function
_ZN7rocprim17ROCPRIM_400000_NS6detail17trampoline_kernelINS0_14default_configENS1_25transform_config_selectorIiLb0EEEZNS1_14transform_implILb0ES3_S5_NS0_18transform_iteratorINS0_17counting_iteratorImlEEZNS1_24adjacent_difference_implIS3_Lb1ELb0EPiSB_N6thrust23THRUST_200600_302600_NS5minusIiEEEE10hipError_tPvRmT2_T3_mT4_P12ihipStream_tbEUlmE_iEESB_NS0_8identityIvEEEESG_SJ_SK_mSL_SN_bEUlT_E_NS1_11comp_targetILNS1_3genE9ELNS1_11target_archE1100ELNS1_3gpuE3ELNS1_3repE0EEENS1_30default_config_static_selectorELNS0_4arch9wavefront6targetE0EEEvT1_: ; @_ZN7rocprim17ROCPRIM_400000_NS6detail17trampoline_kernelINS0_14default_configENS1_25transform_config_selectorIiLb0EEEZNS1_14transform_implILb0ES3_S5_NS0_18transform_iteratorINS0_17counting_iteratorImlEEZNS1_24adjacent_difference_implIS3_Lb1ELb0EPiSB_N6thrust23THRUST_200600_302600_NS5minusIiEEEE10hipError_tPvRmT2_T3_mT4_P12ihipStream_tbEUlmE_iEESB_NS0_8identityIvEEEESG_SJ_SK_mSL_SN_bEUlT_E_NS1_11comp_targetILNS1_3genE9ELNS1_11target_archE1100ELNS1_3gpuE3ELNS1_3repE0EEENS1_30default_config_static_selectorELNS0_4arch9wavefront6targetE0EEEvT1_
; %bb.0:
	s_clause 0x4
	s_load_b128 s[4:7], s[0:1], 0x0
	s_load_b64 s[2:3], s[0:1], 0x18
	s_load_b64 s[12:13], s[0:1], 0x28
	s_load_b32 s11, s[0:1], 0x38
	s_load_b32 s8, s[0:1], 0x10
	s_waitcnt lgkmcnt(0)
	s_add_u32 s9, s2, s4
	s_addc_u32 s10, s3, s5
	s_lshl_b64 s[2:3], s[2:3], 2
	s_delay_alu instid0(SALU_CYCLE_1)
	s_add_u32 s4, s12, s2
	s_addc_u32 s5, s13, s3
	s_add_i32 s11, s11, -1
	s_lshl_b32 s2, s15, 6
	s_mov_b32 s3, 0
	s_cmp_lg_u32 s15, s11
	s_mov_b32 s11, -1
	s_cbranch_scc0 .LBB322_2
; %bb.1:
	s_add_u32 s11, s9, s2
	s_addc_u32 s12, s10, 0
	v_add_co_u32 v3, s11, s11, v0
	s_delay_alu instid0(VALU_DEP_1) | instskip(SKIP_1) | instid1(VALU_DEP_2)
	v_add_co_ci_u32_e64 v5, null, s12, 0, s11
	s_lshl_b64 s[12:13], s[2:3], 2
	v_mad_u64_u32 v[1:2], null, v3, s8, 0
	s_add_u32 s12, s4, s12
	s_addc_u32 s13, s5, s13
	s_mov_b32 s11, s3
	s_delay_alu instid0(VALU_DEP_1) | instskip(NEXT) | instid1(VALU_DEP_1)
	v_mad_u64_u32 v[3:4], null, v5, s8, v[2:3]
	v_mov_b32_e32 v2, v3
	s_delay_alu instid0(VALU_DEP_1) | instskip(NEXT) | instid1(VALU_DEP_1)
	v_lshlrev_b64 v[1:2], 2, v[1:2]
	v_add_co_u32 v1, vcc_lo, s6, v1
	s_delay_alu instid0(VALU_DEP_2)
	v_add_co_ci_u32_e32 v2, vcc_lo, s7, v2, vcc_lo
	global_load_b32 v1, v[1:2], off
	v_lshlrev_b32_e32 v2, 2, v0
	s_waitcnt vmcnt(0)
	global_store_b32 v2, v1, s[12:13]
.LBB322_2:
	s_and_not1_b32 vcc_lo, exec_lo, s11
	s_cbranch_vccnz .LBB322_7
; %bb.3:
	s_load_b32 s0, s[0:1], 0x20
                                        ; implicit-def: $vgpr1
	s_waitcnt lgkmcnt(0)
	s_sub_i32 s0, s0, s2
	s_delay_alu instid0(SALU_CYCLE_1)
	v_cmp_gt_u32_e32 vcc_lo, s0, v0
	s_and_saveexec_b32 s1, vcc_lo
	s_cbranch_execz .LBB322_5
; %bb.4:
	s_add_u32 s0, s9, s2
	s_addc_u32 s9, s10, 0
	v_add_co_u32 v3, s0, s0, v0
	s_delay_alu instid0(VALU_DEP_1) | instskip(NEXT) | instid1(VALU_DEP_2)
	v_add_co_ci_u32_e64 v5, null, s9, 0, s0
	v_mad_u64_u32 v[1:2], null, v3, s8, 0
	s_delay_alu instid0(VALU_DEP_1) | instskip(NEXT) | instid1(VALU_DEP_1)
	v_mad_u64_u32 v[3:4], null, v5, s8, v[2:3]
	v_mov_b32_e32 v2, v3
	s_delay_alu instid0(VALU_DEP_1) | instskip(NEXT) | instid1(VALU_DEP_1)
	v_lshlrev_b64 v[1:2], 2, v[1:2]
	v_add_co_u32 v1, s0, s6, v1
	s_delay_alu instid0(VALU_DEP_1)
	v_add_co_ci_u32_e64 v2, s0, s7, v2, s0
	global_load_b32 v1, v[1:2], off
.LBB322_5:
	s_or_b32 exec_lo, exec_lo, s1
	s_and_saveexec_b32 s0, vcc_lo
	s_cbranch_execz .LBB322_7
; %bb.6:
	s_lshl_b64 s[0:1], s[2:3], 2
	v_lshlrev_b32_e32 v0, 2, v0
	s_add_u32 s0, s4, s0
	s_addc_u32 s1, s5, s1
	s_waitcnt vmcnt(0)
	global_store_b32 v0, v1, s[0:1]
.LBB322_7:
	s_nop 0
	s_sendmsg sendmsg(MSG_DEALLOC_VGPRS)
	s_endpgm
	.section	.rodata,"a",@progbits
	.p2align	6, 0x0
	.amdhsa_kernel _ZN7rocprim17ROCPRIM_400000_NS6detail17trampoline_kernelINS0_14default_configENS1_25transform_config_selectorIiLb0EEEZNS1_14transform_implILb0ES3_S5_NS0_18transform_iteratorINS0_17counting_iteratorImlEEZNS1_24adjacent_difference_implIS3_Lb1ELb0EPiSB_N6thrust23THRUST_200600_302600_NS5minusIiEEEE10hipError_tPvRmT2_T3_mT4_P12ihipStream_tbEUlmE_iEESB_NS0_8identityIvEEEESG_SJ_SK_mSL_SN_bEUlT_E_NS1_11comp_targetILNS1_3genE9ELNS1_11target_archE1100ELNS1_3gpuE3ELNS1_3repE0EEENS1_30default_config_static_selectorELNS0_4arch9wavefront6targetE0EEEvT1_
		.amdhsa_group_segment_fixed_size 0
		.amdhsa_private_segment_fixed_size 0
		.amdhsa_kernarg_size 312
		.amdhsa_user_sgpr_count 15
		.amdhsa_user_sgpr_dispatch_ptr 0
		.amdhsa_user_sgpr_queue_ptr 0
		.amdhsa_user_sgpr_kernarg_segment_ptr 1
		.amdhsa_user_sgpr_dispatch_id 0
		.amdhsa_user_sgpr_private_segment_size 0
		.amdhsa_wavefront_size32 1
		.amdhsa_uses_dynamic_stack 0
		.amdhsa_enable_private_segment 0
		.amdhsa_system_sgpr_workgroup_id_x 1
		.amdhsa_system_sgpr_workgroup_id_y 0
		.amdhsa_system_sgpr_workgroup_id_z 0
		.amdhsa_system_sgpr_workgroup_info 0
		.amdhsa_system_vgpr_workitem_id 0
		.amdhsa_next_free_vgpr 6
		.amdhsa_next_free_sgpr 16
		.amdhsa_reserve_vcc 1
		.amdhsa_float_round_mode_32 0
		.amdhsa_float_round_mode_16_64 0
		.amdhsa_float_denorm_mode_32 3
		.amdhsa_float_denorm_mode_16_64 3
		.amdhsa_dx10_clamp 1
		.amdhsa_ieee_mode 1
		.amdhsa_fp16_overflow 0
		.amdhsa_workgroup_processor_mode 1
		.amdhsa_memory_ordered 1
		.amdhsa_forward_progress 0
		.amdhsa_shared_vgpr_count 0
		.amdhsa_exception_fp_ieee_invalid_op 0
		.amdhsa_exception_fp_denorm_src 0
		.amdhsa_exception_fp_ieee_div_zero 0
		.amdhsa_exception_fp_ieee_overflow 0
		.amdhsa_exception_fp_ieee_underflow 0
		.amdhsa_exception_fp_ieee_inexact 0
		.amdhsa_exception_int_div_zero 0
	.end_amdhsa_kernel
	.section	.text._ZN7rocprim17ROCPRIM_400000_NS6detail17trampoline_kernelINS0_14default_configENS1_25transform_config_selectorIiLb0EEEZNS1_14transform_implILb0ES3_S5_NS0_18transform_iteratorINS0_17counting_iteratorImlEEZNS1_24adjacent_difference_implIS3_Lb1ELb0EPiSB_N6thrust23THRUST_200600_302600_NS5minusIiEEEE10hipError_tPvRmT2_T3_mT4_P12ihipStream_tbEUlmE_iEESB_NS0_8identityIvEEEESG_SJ_SK_mSL_SN_bEUlT_E_NS1_11comp_targetILNS1_3genE9ELNS1_11target_archE1100ELNS1_3gpuE3ELNS1_3repE0EEENS1_30default_config_static_selectorELNS0_4arch9wavefront6targetE0EEEvT1_,"axG",@progbits,_ZN7rocprim17ROCPRIM_400000_NS6detail17trampoline_kernelINS0_14default_configENS1_25transform_config_selectorIiLb0EEEZNS1_14transform_implILb0ES3_S5_NS0_18transform_iteratorINS0_17counting_iteratorImlEEZNS1_24adjacent_difference_implIS3_Lb1ELb0EPiSB_N6thrust23THRUST_200600_302600_NS5minusIiEEEE10hipError_tPvRmT2_T3_mT4_P12ihipStream_tbEUlmE_iEESB_NS0_8identityIvEEEESG_SJ_SK_mSL_SN_bEUlT_E_NS1_11comp_targetILNS1_3genE9ELNS1_11target_archE1100ELNS1_3gpuE3ELNS1_3repE0EEENS1_30default_config_static_selectorELNS0_4arch9wavefront6targetE0EEEvT1_,comdat
.Lfunc_end322:
	.size	_ZN7rocprim17ROCPRIM_400000_NS6detail17trampoline_kernelINS0_14default_configENS1_25transform_config_selectorIiLb0EEEZNS1_14transform_implILb0ES3_S5_NS0_18transform_iteratorINS0_17counting_iteratorImlEEZNS1_24adjacent_difference_implIS3_Lb1ELb0EPiSB_N6thrust23THRUST_200600_302600_NS5minusIiEEEE10hipError_tPvRmT2_T3_mT4_P12ihipStream_tbEUlmE_iEESB_NS0_8identityIvEEEESG_SJ_SK_mSL_SN_bEUlT_E_NS1_11comp_targetILNS1_3genE9ELNS1_11target_archE1100ELNS1_3gpuE3ELNS1_3repE0EEENS1_30default_config_static_selectorELNS0_4arch9wavefront6targetE0EEEvT1_, .Lfunc_end322-_ZN7rocprim17ROCPRIM_400000_NS6detail17trampoline_kernelINS0_14default_configENS1_25transform_config_selectorIiLb0EEEZNS1_14transform_implILb0ES3_S5_NS0_18transform_iteratorINS0_17counting_iteratorImlEEZNS1_24adjacent_difference_implIS3_Lb1ELb0EPiSB_N6thrust23THRUST_200600_302600_NS5minusIiEEEE10hipError_tPvRmT2_T3_mT4_P12ihipStream_tbEUlmE_iEESB_NS0_8identityIvEEEESG_SJ_SK_mSL_SN_bEUlT_E_NS1_11comp_targetILNS1_3genE9ELNS1_11target_archE1100ELNS1_3gpuE3ELNS1_3repE0EEENS1_30default_config_static_selectorELNS0_4arch9wavefront6targetE0EEEvT1_
                                        ; -- End function
	.section	.AMDGPU.csdata,"",@progbits
; Kernel info:
; codeLenInByte = 400
; NumSgprs: 18
; NumVgprs: 6
; ScratchSize: 0
; MemoryBound: 0
; FloatMode: 240
; IeeeMode: 1
; LDSByteSize: 0 bytes/workgroup (compile time only)
; SGPRBlocks: 2
; VGPRBlocks: 0
; NumSGPRsForWavesPerEU: 18
; NumVGPRsForWavesPerEU: 6
; Occupancy: 16
; WaveLimiterHint : 0
; COMPUTE_PGM_RSRC2:SCRATCH_EN: 0
; COMPUTE_PGM_RSRC2:USER_SGPR: 15
; COMPUTE_PGM_RSRC2:TRAP_HANDLER: 0
; COMPUTE_PGM_RSRC2:TGID_X_EN: 1
; COMPUTE_PGM_RSRC2:TGID_Y_EN: 0
; COMPUTE_PGM_RSRC2:TGID_Z_EN: 0
; COMPUTE_PGM_RSRC2:TIDIG_COMP_CNT: 0
	.section	.text._ZN7rocprim17ROCPRIM_400000_NS6detail17trampoline_kernelINS0_14default_configENS1_25transform_config_selectorIiLb0EEEZNS1_14transform_implILb0ES3_S5_NS0_18transform_iteratorINS0_17counting_iteratorImlEEZNS1_24adjacent_difference_implIS3_Lb1ELb0EPiSB_N6thrust23THRUST_200600_302600_NS5minusIiEEEE10hipError_tPvRmT2_T3_mT4_P12ihipStream_tbEUlmE_iEESB_NS0_8identityIvEEEESG_SJ_SK_mSL_SN_bEUlT_E_NS1_11comp_targetILNS1_3genE8ELNS1_11target_archE1030ELNS1_3gpuE2ELNS1_3repE0EEENS1_30default_config_static_selectorELNS0_4arch9wavefront6targetE0EEEvT1_,"axG",@progbits,_ZN7rocprim17ROCPRIM_400000_NS6detail17trampoline_kernelINS0_14default_configENS1_25transform_config_selectorIiLb0EEEZNS1_14transform_implILb0ES3_S5_NS0_18transform_iteratorINS0_17counting_iteratorImlEEZNS1_24adjacent_difference_implIS3_Lb1ELb0EPiSB_N6thrust23THRUST_200600_302600_NS5minusIiEEEE10hipError_tPvRmT2_T3_mT4_P12ihipStream_tbEUlmE_iEESB_NS0_8identityIvEEEESG_SJ_SK_mSL_SN_bEUlT_E_NS1_11comp_targetILNS1_3genE8ELNS1_11target_archE1030ELNS1_3gpuE2ELNS1_3repE0EEENS1_30default_config_static_selectorELNS0_4arch9wavefront6targetE0EEEvT1_,comdat
	.protected	_ZN7rocprim17ROCPRIM_400000_NS6detail17trampoline_kernelINS0_14default_configENS1_25transform_config_selectorIiLb0EEEZNS1_14transform_implILb0ES3_S5_NS0_18transform_iteratorINS0_17counting_iteratorImlEEZNS1_24adjacent_difference_implIS3_Lb1ELb0EPiSB_N6thrust23THRUST_200600_302600_NS5minusIiEEEE10hipError_tPvRmT2_T3_mT4_P12ihipStream_tbEUlmE_iEESB_NS0_8identityIvEEEESG_SJ_SK_mSL_SN_bEUlT_E_NS1_11comp_targetILNS1_3genE8ELNS1_11target_archE1030ELNS1_3gpuE2ELNS1_3repE0EEENS1_30default_config_static_selectorELNS0_4arch9wavefront6targetE0EEEvT1_ ; -- Begin function _ZN7rocprim17ROCPRIM_400000_NS6detail17trampoline_kernelINS0_14default_configENS1_25transform_config_selectorIiLb0EEEZNS1_14transform_implILb0ES3_S5_NS0_18transform_iteratorINS0_17counting_iteratorImlEEZNS1_24adjacent_difference_implIS3_Lb1ELb0EPiSB_N6thrust23THRUST_200600_302600_NS5minusIiEEEE10hipError_tPvRmT2_T3_mT4_P12ihipStream_tbEUlmE_iEESB_NS0_8identityIvEEEESG_SJ_SK_mSL_SN_bEUlT_E_NS1_11comp_targetILNS1_3genE8ELNS1_11target_archE1030ELNS1_3gpuE2ELNS1_3repE0EEENS1_30default_config_static_selectorELNS0_4arch9wavefront6targetE0EEEvT1_
	.globl	_ZN7rocprim17ROCPRIM_400000_NS6detail17trampoline_kernelINS0_14default_configENS1_25transform_config_selectorIiLb0EEEZNS1_14transform_implILb0ES3_S5_NS0_18transform_iteratorINS0_17counting_iteratorImlEEZNS1_24adjacent_difference_implIS3_Lb1ELb0EPiSB_N6thrust23THRUST_200600_302600_NS5minusIiEEEE10hipError_tPvRmT2_T3_mT4_P12ihipStream_tbEUlmE_iEESB_NS0_8identityIvEEEESG_SJ_SK_mSL_SN_bEUlT_E_NS1_11comp_targetILNS1_3genE8ELNS1_11target_archE1030ELNS1_3gpuE2ELNS1_3repE0EEENS1_30default_config_static_selectorELNS0_4arch9wavefront6targetE0EEEvT1_
	.p2align	8
	.type	_ZN7rocprim17ROCPRIM_400000_NS6detail17trampoline_kernelINS0_14default_configENS1_25transform_config_selectorIiLb0EEEZNS1_14transform_implILb0ES3_S5_NS0_18transform_iteratorINS0_17counting_iteratorImlEEZNS1_24adjacent_difference_implIS3_Lb1ELb0EPiSB_N6thrust23THRUST_200600_302600_NS5minusIiEEEE10hipError_tPvRmT2_T3_mT4_P12ihipStream_tbEUlmE_iEESB_NS0_8identityIvEEEESG_SJ_SK_mSL_SN_bEUlT_E_NS1_11comp_targetILNS1_3genE8ELNS1_11target_archE1030ELNS1_3gpuE2ELNS1_3repE0EEENS1_30default_config_static_selectorELNS0_4arch9wavefront6targetE0EEEvT1_,@function
_ZN7rocprim17ROCPRIM_400000_NS6detail17trampoline_kernelINS0_14default_configENS1_25transform_config_selectorIiLb0EEEZNS1_14transform_implILb0ES3_S5_NS0_18transform_iteratorINS0_17counting_iteratorImlEEZNS1_24adjacent_difference_implIS3_Lb1ELb0EPiSB_N6thrust23THRUST_200600_302600_NS5minusIiEEEE10hipError_tPvRmT2_T3_mT4_P12ihipStream_tbEUlmE_iEESB_NS0_8identityIvEEEESG_SJ_SK_mSL_SN_bEUlT_E_NS1_11comp_targetILNS1_3genE8ELNS1_11target_archE1030ELNS1_3gpuE2ELNS1_3repE0EEENS1_30default_config_static_selectorELNS0_4arch9wavefront6targetE0EEEvT1_: ; @_ZN7rocprim17ROCPRIM_400000_NS6detail17trampoline_kernelINS0_14default_configENS1_25transform_config_selectorIiLb0EEEZNS1_14transform_implILb0ES3_S5_NS0_18transform_iteratorINS0_17counting_iteratorImlEEZNS1_24adjacent_difference_implIS3_Lb1ELb0EPiSB_N6thrust23THRUST_200600_302600_NS5minusIiEEEE10hipError_tPvRmT2_T3_mT4_P12ihipStream_tbEUlmE_iEESB_NS0_8identityIvEEEESG_SJ_SK_mSL_SN_bEUlT_E_NS1_11comp_targetILNS1_3genE8ELNS1_11target_archE1030ELNS1_3gpuE2ELNS1_3repE0EEENS1_30default_config_static_selectorELNS0_4arch9wavefront6targetE0EEEvT1_
; %bb.0:
	.section	.rodata,"a",@progbits
	.p2align	6, 0x0
	.amdhsa_kernel _ZN7rocprim17ROCPRIM_400000_NS6detail17trampoline_kernelINS0_14default_configENS1_25transform_config_selectorIiLb0EEEZNS1_14transform_implILb0ES3_S5_NS0_18transform_iteratorINS0_17counting_iteratorImlEEZNS1_24adjacent_difference_implIS3_Lb1ELb0EPiSB_N6thrust23THRUST_200600_302600_NS5minusIiEEEE10hipError_tPvRmT2_T3_mT4_P12ihipStream_tbEUlmE_iEESB_NS0_8identityIvEEEESG_SJ_SK_mSL_SN_bEUlT_E_NS1_11comp_targetILNS1_3genE8ELNS1_11target_archE1030ELNS1_3gpuE2ELNS1_3repE0EEENS1_30default_config_static_selectorELNS0_4arch9wavefront6targetE0EEEvT1_
		.amdhsa_group_segment_fixed_size 0
		.amdhsa_private_segment_fixed_size 0
		.amdhsa_kernarg_size 56
		.amdhsa_user_sgpr_count 15
		.amdhsa_user_sgpr_dispatch_ptr 0
		.amdhsa_user_sgpr_queue_ptr 0
		.amdhsa_user_sgpr_kernarg_segment_ptr 1
		.amdhsa_user_sgpr_dispatch_id 0
		.amdhsa_user_sgpr_private_segment_size 0
		.amdhsa_wavefront_size32 1
		.amdhsa_uses_dynamic_stack 0
		.amdhsa_enable_private_segment 0
		.amdhsa_system_sgpr_workgroup_id_x 1
		.amdhsa_system_sgpr_workgroup_id_y 0
		.amdhsa_system_sgpr_workgroup_id_z 0
		.amdhsa_system_sgpr_workgroup_info 0
		.amdhsa_system_vgpr_workitem_id 0
		.amdhsa_next_free_vgpr 1
		.amdhsa_next_free_sgpr 1
		.amdhsa_reserve_vcc 0
		.amdhsa_float_round_mode_32 0
		.amdhsa_float_round_mode_16_64 0
		.amdhsa_float_denorm_mode_32 3
		.amdhsa_float_denorm_mode_16_64 3
		.amdhsa_dx10_clamp 1
		.amdhsa_ieee_mode 1
		.amdhsa_fp16_overflow 0
		.amdhsa_workgroup_processor_mode 1
		.amdhsa_memory_ordered 1
		.amdhsa_forward_progress 0
		.amdhsa_shared_vgpr_count 0
		.amdhsa_exception_fp_ieee_invalid_op 0
		.amdhsa_exception_fp_denorm_src 0
		.amdhsa_exception_fp_ieee_div_zero 0
		.amdhsa_exception_fp_ieee_overflow 0
		.amdhsa_exception_fp_ieee_underflow 0
		.amdhsa_exception_fp_ieee_inexact 0
		.amdhsa_exception_int_div_zero 0
	.end_amdhsa_kernel
	.section	.text._ZN7rocprim17ROCPRIM_400000_NS6detail17trampoline_kernelINS0_14default_configENS1_25transform_config_selectorIiLb0EEEZNS1_14transform_implILb0ES3_S5_NS0_18transform_iteratorINS0_17counting_iteratorImlEEZNS1_24adjacent_difference_implIS3_Lb1ELb0EPiSB_N6thrust23THRUST_200600_302600_NS5minusIiEEEE10hipError_tPvRmT2_T3_mT4_P12ihipStream_tbEUlmE_iEESB_NS0_8identityIvEEEESG_SJ_SK_mSL_SN_bEUlT_E_NS1_11comp_targetILNS1_3genE8ELNS1_11target_archE1030ELNS1_3gpuE2ELNS1_3repE0EEENS1_30default_config_static_selectorELNS0_4arch9wavefront6targetE0EEEvT1_,"axG",@progbits,_ZN7rocprim17ROCPRIM_400000_NS6detail17trampoline_kernelINS0_14default_configENS1_25transform_config_selectorIiLb0EEEZNS1_14transform_implILb0ES3_S5_NS0_18transform_iteratorINS0_17counting_iteratorImlEEZNS1_24adjacent_difference_implIS3_Lb1ELb0EPiSB_N6thrust23THRUST_200600_302600_NS5minusIiEEEE10hipError_tPvRmT2_T3_mT4_P12ihipStream_tbEUlmE_iEESB_NS0_8identityIvEEEESG_SJ_SK_mSL_SN_bEUlT_E_NS1_11comp_targetILNS1_3genE8ELNS1_11target_archE1030ELNS1_3gpuE2ELNS1_3repE0EEENS1_30default_config_static_selectorELNS0_4arch9wavefront6targetE0EEEvT1_,comdat
.Lfunc_end323:
	.size	_ZN7rocprim17ROCPRIM_400000_NS6detail17trampoline_kernelINS0_14default_configENS1_25transform_config_selectorIiLb0EEEZNS1_14transform_implILb0ES3_S5_NS0_18transform_iteratorINS0_17counting_iteratorImlEEZNS1_24adjacent_difference_implIS3_Lb1ELb0EPiSB_N6thrust23THRUST_200600_302600_NS5minusIiEEEE10hipError_tPvRmT2_T3_mT4_P12ihipStream_tbEUlmE_iEESB_NS0_8identityIvEEEESG_SJ_SK_mSL_SN_bEUlT_E_NS1_11comp_targetILNS1_3genE8ELNS1_11target_archE1030ELNS1_3gpuE2ELNS1_3repE0EEENS1_30default_config_static_selectorELNS0_4arch9wavefront6targetE0EEEvT1_, .Lfunc_end323-_ZN7rocprim17ROCPRIM_400000_NS6detail17trampoline_kernelINS0_14default_configENS1_25transform_config_selectorIiLb0EEEZNS1_14transform_implILb0ES3_S5_NS0_18transform_iteratorINS0_17counting_iteratorImlEEZNS1_24adjacent_difference_implIS3_Lb1ELb0EPiSB_N6thrust23THRUST_200600_302600_NS5minusIiEEEE10hipError_tPvRmT2_T3_mT4_P12ihipStream_tbEUlmE_iEESB_NS0_8identityIvEEEESG_SJ_SK_mSL_SN_bEUlT_E_NS1_11comp_targetILNS1_3genE8ELNS1_11target_archE1030ELNS1_3gpuE2ELNS1_3repE0EEENS1_30default_config_static_selectorELNS0_4arch9wavefront6targetE0EEEvT1_
                                        ; -- End function
	.section	.AMDGPU.csdata,"",@progbits
; Kernel info:
; codeLenInByte = 0
; NumSgprs: 0
; NumVgprs: 0
; ScratchSize: 0
; MemoryBound: 0
; FloatMode: 240
; IeeeMode: 1
; LDSByteSize: 0 bytes/workgroup (compile time only)
; SGPRBlocks: 0
; VGPRBlocks: 0
; NumSGPRsForWavesPerEU: 1
; NumVGPRsForWavesPerEU: 1
; Occupancy: 16
; WaveLimiterHint : 0
; COMPUTE_PGM_RSRC2:SCRATCH_EN: 0
; COMPUTE_PGM_RSRC2:USER_SGPR: 15
; COMPUTE_PGM_RSRC2:TRAP_HANDLER: 0
; COMPUTE_PGM_RSRC2:TGID_X_EN: 1
; COMPUTE_PGM_RSRC2:TGID_Y_EN: 0
; COMPUTE_PGM_RSRC2:TGID_Z_EN: 0
; COMPUTE_PGM_RSRC2:TIDIG_COMP_CNT: 0
	.section	.text._ZN7rocprim17ROCPRIM_400000_NS6detail17trampoline_kernelINS0_14default_configENS1_35adjacent_difference_config_selectorILb1EiEEZNS1_24adjacent_difference_implIS3_Lb1ELb0EPiS7_N6thrust23THRUST_200600_302600_NS5minusIiEEEE10hipError_tPvRmT2_T3_mT4_P12ihipStream_tbEUlT_E_NS1_11comp_targetILNS1_3genE0ELNS1_11target_archE4294967295ELNS1_3gpuE0ELNS1_3repE0EEENS1_30default_config_static_selectorELNS0_4arch9wavefront6targetE0EEEvT1_,"axG",@progbits,_ZN7rocprim17ROCPRIM_400000_NS6detail17trampoline_kernelINS0_14default_configENS1_35adjacent_difference_config_selectorILb1EiEEZNS1_24adjacent_difference_implIS3_Lb1ELb0EPiS7_N6thrust23THRUST_200600_302600_NS5minusIiEEEE10hipError_tPvRmT2_T3_mT4_P12ihipStream_tbEUlT_E_NS1_11comp_targetILNS1_3genE0ELNS1_11target_archE4294967295ELNS1_3gpuE0ELNS1_3repE0EEENS1_30default_config_static_selectorELNS0_4arch9wavefront6targetE0EEEvT1_,comdat
	.protected	_ZN7rocprim17ROCPRIM_400000_NS6detail17trampoline_kernelINS0_14default_configENS1_35adjacent_difference_config_selectorILb1EiEEZNS1_24adjacent_difference_implIS3_Lb1ELb0EPiS7_N6thrust23THRUST_200600_302600_NS5minusIiEEEE10hipError_tPvRmT2_T3_mT4_P12ihipStream_tbEUlT_E_NS1_11comp_targetILNS1_3genE0ELNS1_11target_archE4294967295ELNS1_3gpuE0ELNS1_3repE0EEENS1_30default_config_static_selectorELNS0_4arch9wavefront6targetE0EEEvT1_ ; -- Begin function _ZN7rocprim17ROCPRIM_400000_NS6detail17trampoline_kernelINS0_14default_configENS1_35adjacent_difference_config_selectorILb1EiEEZNS1_24adjacent_difference_implIS3_Lb1ELb0EPiS7_N6thrust23THRUST_200600_302600_NS5minusIiEEEE10hipError_tPvRmT2_T3_mT4_P12ihipStream_tbEUlT_E_NS1_11comp_targetILNS1_3genE0ELNS1_11target_archE4294967295ELNS1_3gpuE0ELNS1_3repE0EEENS1_30default_config_static_selectorELNS0_4arch9wavefront6targetE0EEEvT1_
	.globl	_ZN7rocprim17ROCPRIM_400000_NS6detail17trampoline_kernelINS0_14default_configENS1_35adjacent_difference_config_selectorILb1EiEEZNS1_24adjacent_difference_implIS3_Lb1ELb0EPiS7_N6thrust23THRUST_200600_302600_NS5minusIiEEEE10hipError_tPvRmT2_T3_mT4_P12ihipStream_tbEUlT_E_NS1_11comp_targetILNS1_3genE0ELNS1_11target_archE4294967295ELNS1_3gpuE0ELNS1_3repE0EEENS1_30default_config_static_selectorELNS0_4arch9wavefront6targetE0EEEvT1_
	.p2align	8
	.type	_ZN7rocprim17ROCPRIM_400000_NS6detail17trampoline_kernelINS0_14default_configENS1_35adjacent_difference_config_selectorILb1EiEEZNS1_24adjacent_difference_implIS3_Lb1ELb0EPiS7_N6thrust23THRUST_200600_302600_NS5minusIiEEEE10hipError_tPvRmT2_T3_mT4_P12ihipStream_tbEUlT_E_NS1_11comp_targetILNS1_3genE0ELNS1_11target_archE4294967295ELNS1_3gpuE0ELNS1_3repE0EEENS1_30default_config_static_selectorELNS0_4arch9wavefront6targetE0EEEvT1_,@function
_ZN7rocprim17ROCPRIM_400000_NS6detail17trampoline_kernelINS0_14default_configENS1_35adjacent_difference_config_selectorILb1EiEEZNS1_24adjacent_difference_implIS3_Lb1ELb0EPiS7_N6thrust23THRUST_200600_302600_NS5minusIiEEEE10hipError_tPvRmT2_T3_mT4_P12ihipStream_tbEUlT_E_NS1_11comp_targetILNS1_3genE0ELNS1_11target_archE4294967295ELNS1_3gpuE0ELNS1_3repE0EEENS1_30default_config_static_selectorELNS0_4arch9wavefront6targetE0EEEvT1_: ; @_ZN7rocprim17ROCPRIM_400000_NS6detail17trampoline_kernelINS0_14default_configENS1_35adjacent_difference_config_selectorILb1EiEEZNS1_24adjacent_difference_implIS3_Lb1ELb0EPiS7_N6thrust23THRUST_200600_302600_NS5minusIiEEEE10hipError_tPvRmT2_T3_mT4_P12ihipStream_tbEUlT_E_NS1_11comp_targetILNS1_3genE0ELNS1_11target_archE4294967295ELNS1_3gpuE0ELNS1_3repE0EEENS1_30default_config_static_selectorELNS0_4arch9wavefront6targetE0EEEvT1_
; %bb.0:
	.section	.rodata,"a",@progbits
	.p2align	6, 0x0
	.amdhsa_kernel _ZN7rocprim17ROCPRIM_400000_NS6detail17trampoline_kernelINS0_14default_configENS1_35adjacent_difference_config_selectorILb1EiEEZNS1_24adjacent_difference_implIS3_Lb1ELb0EPiS7_N6thrust23THRUST_200600_302600_NS5minusIiEEEE10hipError_tPvRmT2_T3_mT4_P12ihipStream_tbEUlT_E_NS1_11comp_targetILNS1_3genE0ELNS1_11target_archE4294967295ELNS1_3gpuE0ELNS1_3repE0EEENS1_30default_config_static_selectorELNS0_4arch9wavefront6targetE0EEEvT1_
		.amdhsa_group_segment_fixed_size 0
		.amdhsa_private_segment_fixed_size 0
		.amdhsa_kernarg_size 56
		.amdhsa_user_sgpr_count 15
		.amdhsa_user_sgpr_dispatch_ptr 0
		.amdhsa_user_sgpr_queue_ptr 0
		.amdhsa_user_sgpr_kernarg_segment_ptr 1
		.amdhsa_user_sgpr_dispatch_id 0
		.amdhsa_user_sgpr_private_segment_size 0
		.amdhsa_wavefront_size32 1
		.amdhsa_uses_dynamic_stack 0
		.amdhsa_enable_private_segment 0
		.amdhsa_system_sgpr_workgroup_id_x 1
		.amdhsa_system_sgpr_workgroup_id_y 0
		.amdhsa_system_sgpr_workgroup_id_z 0
		.amdhsa_system_sgpr_workgroup_info 0
		.amdhsa_system_vgpr_workitem_id 0
		.amdhsa_next_free_vgpr 1
		.amdhsa_next_free_sgpr 1
		.amdhsa_reserve_vcc 0
		.amdhsa_float_round_mode_32 0
		.amdhsa_float_round_mode_16_64 0
		.amdhsa_float_denorm_mode_32 3
		.amdhsa_float_denorm_mode_16_64 3
		.amdhsa_dx10_clamp 1
		.amdhsa_ieee_mode 1
		.amdhsa_fp16_overflow 0
		.amdhsa_workgroup_processor_mode 1
		.amdhsa_memory_ordered 1
		.amdhsa_forward_progress 0
		.amdhsa_shared_vgpr_count 0
		.amdhsa_exception_fp_ieee_invalid_op 0
		.amdhsa_exception_fp_denorm_src 0
		.amdhsa_exception_fp_ieee_div_zero 0
		.amdhsa_exception_fp_ieee_overflow 0
		.amdhsa_exception_fp_ieee_underflow 0
		.amdhsa_exception_fp_ieee_inexact 0
		.amdhsa_exception_int_div_zero 0
	.end_amdhsa_kernel
	.section	.text._ZN7rocprim17ROCPRIM_400000_NS6detail17trampoline_kernelINS0_14default_configENS1_35adjacent_difference_config_selectorILb1EiEEZNS1_24adjacent_difference_implIS3_Lb1ELb0EPiS7_N6thrust23THRUST_200600_302600_NS5minusIiEEEE10hipError_tPvRmT2_T3_mT4_P12ihipStream_tbEUlT_E_NS1_11comp_targetILNS1_3genE0ELNS1_11target_archE4294967295ELNS1_3gpuE0ELNS1_3repE0EEENS1_30default_config_static_selectorELNS0_4arch9wavefront6targetE0EEEvT1_,"axG",@progbits,_ZN7rocprim17ROCPRIM_400000_NS6detail17trampoline_kernelINS0_14default_configENS1_35adjacent_difference_config_selectorILb1EiEEZNS1_24adjacent_difference_implIS3_Lb1ELb0EPiS7_N6thrust23THRUST_200600_302600_NS5minusIiEEEE10hipError_tPvRmT2_T3_mT4_P12ihipStream_tbEUlT_E_NS1_11comp_targetILNS1_3genE0ELNS1_11target_archE4294967295ELNS1_3gpuE0ELNS1_3repE0EEENS1_30default_config_static_selectorELNS0_4arch9wavefront6targetE0EEEvT1_,comdat
.Lfunc_end324:
	.size	_ZN7rocprim17ROCPRIM_400000_NS6detail17trampoline_kernelINS0_14default_configENS1_35adjacent_difference_config_selectorILb1EiEEZNS1_24adjacent_difference_implIS3_Lb1ELb0EPiS7_N6thrust23THRUST_200600_302600_NS5minusIiEEEE10hipError_tPvRmT2_T3_mT4_P12ihipStream_tbEUlT_E_NS1_11comp_targetILNS1_3genE0ELNS1_11target_archE4294967295ELNS1_3gpuE0ELNS1_3repE0EEENS1_30default_config_static_selectorELNS0_4arch9wavefront6targetE0EEEvT1_, .Lfunc_end324-_ZN7rocprim17ROCPRIM_400000_NS6detail17trampoline_kernelINS0_14default_configENS1_35adjacent_difference_config_selectorILb1EiEEZNS1_24adjacent_difference_implIS3_Lb1ELb0EPiS7_N6thrust23THRUST_200600_302600_NS5minusIiEEEE10hipError_tPvRmT2_T3_mT4_P12ihipStream_tbEUlT_E_NS1_11comp_targetILNS1_3genE0ELNS1_11target_archE4294967295ELNS1_3gpuE0ELNS1_3repE0EEENS1_30default_config_static_selectorELNS0_4arch9wavefront6targetE0EEEvT1_
                                        ; -- End function
	.section	.AMDGPU.csdata,"",@progbits
; Kernel info:
; codeLenInByte = 0
; NumSgprs: 0
; NumVgprs: 0
; ScratchSize: 0
; MemoryBound: 0
; FloatMode: 240
; IeeeMode: 1
; LDSByteSize: 0 bytes/workgroup (compile time only)
; SGPRBlocks: 0
; VGPRBlocks: 0
; NumSGPRsForWavesPerEU: 1
; NumVGPRsForWavesPerEU: 1
; Occupancy: 16
; WaveLimiterHint : 0
; COMPUTE_PGM_RSRC2:SCRATCH_EN: 0
; COMPUTE_PGM_RSRC2:USER_SGPR: 15
; COMPUTE_PGM_RSRC2:TRAP_HANDLER: 0
; COMPUTE_PGM_RSRC2:TGID_X_EN: 1
; COMPUTE_PGM_RSRC2:TGID_Y_EN: 0
; COMPUTE_PGM_RSRC2:TGID_Z_EN: 0
; COMPUTE_PGM_RSRC2:TIDIG_COMP_CNT: 0
	.section	.text._ZN7rocprim17ROCPRIM_400000_NS6detail17trampoline_kernelINS0_14default_configENS1_35adjacent_difference_config_selectorILb1EiEEZNS1_24adjacent_difference_implIS3_Lb1ELb0EPiS7_N6thrust23THRUST_200600_302600_NS5minusIiEEEE10hipError_tPvRmT2_T3_mT4_P12ihipStream_tbEUlT_E_NS1_11comp_targetILNS1_3genE10ELNS1_11target_archE1201ELNS1_3gpuE5ELNS1_3repE0EEENS1_30default_config_static_selectorELNS0_4arch9wavefront6targetE0EEEvT1_,"axG",@progbits,_ZN7rocprim17ROCPRIM_400000_NS6detail17trampoline_kernelINS0_14default_configENS1_35adjacent_difference_config_selectorILb1EiEEZNS1_24adjacent_difference_implIS3_Lb1ELb0EPiS7_N6thrust23THRUST_200600_302600_NS5minusIiEEEE10hipError_tPvRmT2_T3_mT4_P12ihipStream_tbEUlT_E_NS1_11comp_targetILNS1_3genE10ELNS1_11target_archE1201ELNS1_3gpuE5ELNS1_3repE0EEENS1_30default_config_static_selectorELNS0_4arch9wavefront6targetE0EEEvT1_,comdat
	.protected	_ZN7rocprim17ROCPRIM_400000_NS6detail17trampoline_kernelINS0_14default_configENS1_35adjacent_difference_config_selectorILb1EiEEZNS1_24adjacent_difference_implIS3_Lb1ELb0EPiS7_N6thrust23THRUST_200600_302600_NS5minusIiEEEE10hipError_tPvRmT2_T3_mT4_P12ihipStream_tbEUlT_E_NS1_11comp_targetILNS1_3genE10ELNS1_11target_archE1201ELNS1_3gpuE5ELNS1_3repE0EEENS1_30default_config_static_selectorELNS0_4arch9wavefront6targetE0EEEvT1_ ; -- Begin function _ZN7rocprim17ROCPRIM_400000_NS6detail17trampoline_kernelINS0_14default_configENS1_35adjacent_difference_config_selectorILb1EiEEZNS1_24adjacent_difference_implIS3_Lb1ELb0EPiS7_N6thrust23THRUST_200600_302600_NS5minusIiEEEE10hipError_tPvRmT2_T3_mT4_P12ihipStream_tbEUlT_E_NS1_11comp_targetILNS1_3genE10ELNS1_11target_archE1201ELNS1_3gpuE5ELNS1_3repE0EEENS1_30default_config_static_selectorELNS0_4arch9wavefront6targetE0EEEvT1_
	.globl	_ZN7rocprim17ROCPRIM_400000_NS6detail17trampoline_kernelINS0_14default_configENS1_35adjacent_difference_config_selectorILb1EiEEZNS1_24adjacent_difference_implIS3_Lb1ELb0EPiS7_N6thrust23THRUST_200600_302600_NS5minusIiEEEE10hipError_tPvRmT2_T3_mT4_P12ihipStream_tbEUlT_E_NS1_11comp_targetILNS1_3genE10ELNS1_11target_archE1201ELNS1_3gpuE5ELNS1_3repE0EEENS1_30default_config_static_selectorELNS0_4arch9wavefront6targetE0EEEvT1_
	.p2align	8
	.type	_ZN7rocprim17ROCPRIM_400000_NS6detail17trampoline_kernelINS0_14default_configENS1_35adjacent_difference_config_selectorILb1EiEEZNS1_24adjacent_difference_implIS3_Lb1ELb0EPiS7_N6thrust23THRUST_200600_302600_NS5minusIiEEEE10hipError_tPvRmT2_T3_mT4_P12ihipStream_tbEUlT_E_NS1_11comp_targetILNS1_3genE10ELNS1_11target_archE1201ELNS1_3gpuE5ELNS1_3repE0EEENS1_30default_config_static_selectorELNS0_4arch9wavefront6targetE0EEEvT1_,@function
_ZN7rocprim17ROCPRIM_400000_NS6detail17trampoline_kernelINS0_14default_configENS1_35adjacent_difference_config_selectorILb1EiEEZNS1_24adjacent_difference_implIS3_Lb1ELb0EPiS7_N6thrust23THRUST_200600_302600_NS5minusIiEEEE10hipError_tPvRmT2_T3_mT4_P12ihipStream_tbEUlT_E_NS1_11comp_targetILNS1_3genE10ELNS1_11target_archE1201ELNS1_3gpuE5ELNS1_3repE0EEENS1_30default_config_static_selectorELNS0_4arch9wavefront6targetE0EEEvT1_: ; @_ZN7rocprim17ROCPRIM_400000_NS6detail17trampoline_kernelINS0_14default_configENS1_35adjacent_difference_config_selectorILb1EiEEZNS1_24adjacent_difference_implIS3_Lb1ELb0EPiS7_N6thrust23THRUST_200600_302600_NS5minusIiEEEE10hipError_tPvRmT2_T3_mT4_P12ihipStream_tbEUlT_E_NS1_11comp_targetILNS1_3genE10ELNS1_11target_archE1201ELNS1_3gpuE5ELNS1_3repE0EEENS1_30default_config_static_selectorELNS0_4arch9wavefront6targetE0EEEvT1_
; %bb.0:
	.section	.rodata,"a",@progbits
	.p2align	6, 0x0
	.amdhsa_kernel _ZN7rocprim17ROCPRIM_400000_NS6detail17trampoline_kernelINS0_14default_configENS1_35adjacent_difference_config_selectorILb1EiEEZNS1_24adjacent_difference_implIS3_Lb1ELb0EPiS7_N6thrust23THRUST_200600_302600_NS5minusIiEEEE10hipError_tPvRmT2_T3_mT4_P12ihipStream_tbEUlT_E_NS1_11comp_targetILNS1_3genE10ELNS1_11target_archE1201ELNS1_3gpuE5ELNS1_3repE0EEENS1_30default_config_static_selectorELNS0_4arch9wavefront6targetE0EEEvT1_
		.amdhsa_group_segment_fixed_size 0
		.amdhsa_private_segment_fixed_size 0
		.amdhsa_kernarg_size 56
		.amdhsa_user_sgpr_count 15
		.amdhsa_user_sgpr_dispatch_ptr 0
		.amdhsa_user_sgpr_queue_ptr 0
		.amdhsa_user_sgpr_kernarg_segment_ptr 1
		.amdhsa_user_sgpr_dispatch_id 0
		.amdhsa_user_sgpr_private_segment_size 0
		.amdhsa_wavefront_size32 1
		.amdhsa_uses_dynamic_stack 0
		.amdhsa_enable_private_segment 0
		.amdhsa_system_sgpr_workgroup_id_x 1
		.amdhsa_system_sgpr_workgroup_id_y 0
		.amdhsa_system_sgpr_workgroup_id_z 0
		.amdhsa_system_sgpr_workgroup_info 0
		.amdhsa_system_vgpr_workitem_id 0
		.amdhsa_next_free_vgpr 1
		.amdhsa_next_free_sgpr 1
		.amdhsa_reserve_vcc 0
		.amdhsa_float_round_mode_32 0
		.amdhsa_float_round_mode_16_64 0
		.amdhsa_float_denorm_mode_32 3
		.amdhsa_float_denorm_mode_16_64 3
		.amdhsa_dx10_clamp 1
		.amdhsa_ieee_mode 1
		.amdhsa_fp16_overflow 0
		.amdhsa_workgroup_processor_mode 1
		.amdhsa_memory_ordered 1
		.amdhsa_forward_progress 0
		.amdhsa_shared_vgpr_count 0
		.amdhsa_exception_fp_ieee_invalid_op 0
		.amdhsa_exception_fp_denorm_src 0
		.amdhsa_exception_fp_ieee_div_zero 0
		.amdhsa_exception_fp_ieee_overflow 0
		.amdhsa_exception_fp_ieee_underflow 0
		.amdhsa_exception_fp_ieee_inexact 0
		.amdhsa_exception_int_div_zero 0
	.end_amdhsa_kernel
	.section	.text._ZN7rocprim17ROCPRIM_400000_NS6detail17trampoline_kernelINS0_14default_configENS1_35adjacent_difference_config_selectorILb1EiEEZNS1_24adjacent_difference_implIS3_Lb1ELb0EPiS7_N6thrust23THRUST_200600_302600_NS5minusIiEEEE10hipError_tPvRmT2_T3_mT4_P12ihipStream_tbEUlT_E_NS1_11comp_targetILNS1_3genE10ELNS1_11target_archE1201ELNS1_3gpuE5ELNS1_3repE0EEENS1_30default_config_static_selectorELNS0_4arch9wavefront6targetE0EEEvT1_,"axG",@progbits,_ZN7rocprim17ROCPRIM_400000_NS6detail17trampoline_kernelINS0_14default_configENS1_35adjacent_difference_config_selectorILb1EiEEZNS1_24adjacent_difference_implIS3_Lb1ELb0EPiS7_N6thrust23THRUST_200600_302600_NS5minusIiEEEE10hipError_tPvRmT2_T3_mT4_P12ihipStream_tbEUlT_E_NS1_11comp_targetILNS1_3genE10ELNS1_11target_archE1201ELNS1_3gpuE5ELNS1_3repE0EEENS1_30default_config_static_selectorELNS0_4arch9wavefront6targetE0EEEvT1_,comdat
.Lfunc_end325:
	.size	_ZN7rocprim17ROCPRIM_400000_NS6detail17trampoline_kernelINS0_14default_configENS1_35adjacent_difference_config_selectorILb1EiEEZNS1_24adjacent_difference_implIS3_Lb1ELb0EPiS7_N6thrust23THRUST_200600_302600_NS5minusIiEEEE10hipError_tPvRmT2_T3_mT4_P12ihipStream_tbEUlT_E_NS1_11comp_targetILNS1_3genE10ELNS1_11target_archE1201ELNS1_3gpuE5ELNS1_3repE0EEENS1_30default_config_static_selectorELNS0_4arch9wavefront6targetE0EEEvT1_, .Lfunc_end325-_ZN7rocprim17ROCPRIM_400000_NS6detail17trampoline_kernelINS0_14default_configENS1_35adjacent_difference_config_selectorILb1EiEEZNS1_24adjacent_difference_implIS3_Lb1ELb0EPiS7_N6thrust23THRUST_200600_302600_NS5minusIiEEEE10hipError_tPvRmT2_T3_mT4_P12ihipStream_tbEUlT_E_NS1_11comp_targetILNS1_3genE10ELNS1_11target_archE1201ELNS1_3gpuE5ELNS1_3repE0EEENS1_30default_config_static_selectorELNS0_4arch9wavefront6targetE0EEEvT1_
                                        ; -- End function
	.section	.AMDGPU.csdata,"",@progbits
; Kernel info:
; codeLenInByte = 0
; NumSgprs: 0
; NumVgprs: 0
; ScratchSize: 0
; MemoryBound: 0
; FloatMode: 240
; IeeeMode: 1
; LDSByteSize: 0 bytes/workgroup (compile time only)
; SGPRBlocks: 0
; VGPRBlocks: 0
; NumSGPRsForWavesPerEU: 1
; NumVGPRsForWavesPerEU: 1
; Occupancy: 16
; WaveLimiterHint : 0
; COMPUTE_PGM_RSRC2:SCRATCH_EN: 0
; COMPUTE_PGM_RSRC2:USER_SGPR: 15
; COMPUTE_PGM_RSRC2:TRAP_HANDLER: 0
; COMPUTE_PGM_RSRC2:TGID_X_EN: 1
; COMPUTE_PGM_RSRC2:TGID_Y_EN: 0
; COMPUTE_PGM_RSRC2:TGID_Z_EN: 0
; COMPUTE_PGM_RSRC2:TIDIG_COMP_CNT: 0
	.section	.text._ZN7rocprim17ROCPRIM_400000_NS6detail17trampoline_kernelINS0_14default_configENS1_35adjacent_difference_config_selectorILb1EiEEZNS1_24adjacent_difference_implIS3_Lb1ELb0EPiS7_N6thrust23THRUST_200600_302600_NS5minusIiEEEE10hipError_tPvRmT2_T3_mT4_P12ihipStream_tbEUlT_E_NS1_11comp_targetILNS1_3genE5ELNS1_11target_archE942ELNS1_3gpuE9ELNS1_3repE0EEENS1_30default_config_static_selectorELNS0_4arch9wavefront6targetE0EEEvT1_,"axG",@progbits,_ZN7rocprim17ROCPRIM_400000_NS6detail17trampoline_kernelINS0_14default_configENS1_35adjacent_difference_config_selectorILb1EiEEZNS1_24adjacent_difference_implIS3_Lb1ELb0EPiS7_N6thrust23THRUST_200600_302600_NS5minusIiEEEE10hipError_tPvRmT2_T3_mT4_P12ihipStream_tbEUlT_E_NS1_11comp_targetILNS1_3genE5ELNS1_11target_archE942ELNS1_3gpuE9ELNS1_3repE0EEENS1_30default_config_static_selectorELNS0_4arch9wavefront6targetE0EEEvT1_,comdat
	.protected	_ZN7rocprim17ROCPRIM_400000_NS6detail17trampoline_kernelINS0_14default_configENS1_35adjacent_difference_config_selectorILb1EiEEZNS1_24adjacent_difference_implIS3_Lb1ELb0EPiS7_N6thrust23THRUST_200600_302600_NS5minusIiEEEE10hipError_tPvRmT2_T3_mT4_P12ihipStream_tbEUlT_E_NS1_11comp_targetILNS1_3genE5ELNS1_11target_archE942ELNS1_3gpuE9ELNS1_3repE0EEENS1_30default_config_static_selectorELNS0_4arch9wavefront6targetE0EEEvT1_ ; -- Begin function _ZN7rocprim17ROCPRIM_400000_NS6detail17trampoline_kernelINS0_14default_configENS1_35adjacent_difference_config_selectorILb1EiEEZNS1_24adjacent_difference_implIS3_Lb1ELb0EPiS7_N6thrust23THRUST_200600_302600_NS5minusIiEEEE10hipError_tPvRmT2_T3_mT4_P12ihipStream_tbEUlT_E_NS1_11comp_targetILNS1_3genE5ELNS1_11target_archE942ELNS1_3gpuE9ELNS1_3repE0EEENS1_30default_config_static_selectorELNS0_4arch9wavefront6targetE0EEEvT1_
	.globl	_ZN7rocprim17ROCPRIM_400000_NS6detail17trampoline_kernelINS0_14default_configENS1_35adjacent_difference_config_selectorILb1EiEEZNS1_24adjacent_difference_implIS3_Lb1ELb0EPiS7_N6thrust23THRUST_200600_302600_NS5minusIiEEEE10hipError_tPvRmT2_T3_mT4_P12ihipStream_tbEUlT_E_NS1_11comp_targetILNS1_3genE5ELNS1_11target_archE942ELNS1_3gpuE9ELNS1_3repE0EEENS1_30default_config_static_selectorELNS0_4arch9wavefront6targetE0EEEvT1_
	.p2align	8
	.type	_ZN7rocprim17ROCPRIM_400000_NS6detail17trampoline_kernelINS0_14default_configENS1_35adjacent_difference_config_selectorILb1EiEEZNS1_24adjacent_difference_implIS3_Lb1ELb0EPiS7_N6thrust23THRUST_200600_302600_NS5minusIiEEEE10hipError_tPvRmT2_T3_mT4_P12ihipStream_tbEUlT_E_NS1_11comp_targetILNS1_3genE5ELNS1_11target_archE942ELNS1_3gpuE9ELNS1_3repE0EEENS1_30default_config_static_selectorELNS0_4arch9wavefront6targetE0EEEvT1_,@function
_ZN7rocprim17ROCPRIM_400000_NS6detail17trampoline_kernelINS0_14default_configENS1_35adjacent_difference_config_selectorILb1EiEEZNS1_24adjacent_difference_implIS3_Lb1ELb0EPiS7_N6thrust23THRUST_200600_302600_NS5minusIiEEEE10hipError_tPvRmT2_T3_mT4_P12ihipStream_tbEUlT_E_NS1_11comp_targetILNS1_3genE5ELNS1_11target_archE942ELNS1_3gpuE9ELNS1_3repE0EEENS1_30default_config_static_selectorELNS0_4arch9wavefront6targetE0EEEvT1_: ; @_ZN7rocprim17ROCPRIM_400000_NS6detail17trampoline_kernelINS0_14default_configENS1_35adjacent_difference_config_selectorILb1EiEEZNS1_24adjacent_difference_implIS3_Lb1ELb0EPiS7_N6thrust23THRUST_200600_302600_NS5minusIiEEEE10hipError_tPvRmT2_T3_mT4_P12ihipStream_tbEUlT_E_NS1_11comp_targetILNS1_3genE5ELNS1_11target_archE942ELNS1_3gpuE9ELNS1_3repE0EEENS1_30default_config_static_selectorELNS0_4arch9wavefront6targetE0EEEvT1_
; %bb.0:
	.section	.rodata,"a",@progbits
	.p2align	6, 0x0
	.amdhsa_kernel _ZN7rocprim17ROCPRIM_400000_NS6detail17trampoline_kernelINS0_14default_configENS1_35adjacent_difference_config_selectorILb1EiEEZNS1_24adjacent_difference_implIS3_Lb1ELb0EPiS7_N6thrust23THRUST_200600_302600_NS5minusIiEEEE10hipError_tPvRmT2_T3_mT4_P12ihipStream_tbEUlT_E_NS1_11comp_targetILNS1_3genE5ELNS1_11target_archE942ELNS1_3gpuE9ELNS1_3repE0EEENS1_30default_config_static_selectorELNS0_4arch9wavefront6targetE0EEEvT1_
		.amdhsa_group_segment_fixed_size 0
		.amdhsa_private_segment_fixed_size 0
		.amdhsa_kernarg_size 56
		.amdhsa_user_sgpr_count 15
		.amdhsa_user_sgpr_dispatch_ptr 0
		.amdhsa_user_sgpr_queue_ptr 0
		.amdhsa_user_sgpr_kernarg_segment_ptr 1
		.amdhsa_user_sgpr_dispatch_id 0
		.amdhsa_user_sgpr_private_segment_size 0
		.amdhsa_wavefront_size32 1
		.amdhsa_uses_dynamic_stack 0
		.amdhsa_enable_private_segment 0
		.amdhsa_system_sgpr_workgroup_id_x 1
		.amdhsa_system_sgpr_workgroup_id_y 0
		.amdhsa_system_sgpr_workgroup_id_z 0
		.amdhsa_system_sgpr_workgroup_info 0
		.amdhsa_system_vgpr_workitem_id 0
		.amdhsa_next_free_vgpr 1
		.amdhsa_next_free_sgpr 1
		.amdhsa_reserve_vcc 0
		.amdhsa_float_round_mode_32 0
		.amdhsa_float_round_mode_16_64 0
		.amdhsa_float_denorm_mode_32 3
		.amdhsa_float_denorm_mode_16_64 3
		.amdhsa_dx10_clamp 1
		.amdhsa_ieee_mode 1
		.amdhsa_fp16_overflow 0
		.amdhsa_workgroup_processor_mode 1
		.amdhsa_memory_ordered 1
		.amdhsa_forward_progress 0
		.amdhsa_shared_vgpr_count 0
		.amdhsa_exception_fp_ieee_invalid_op 0
		.amdhsa_exception_fp_denorm_src 0
		.amdhsa_exception_fp_ieee_div_zero 0
		.amdhsa_exception_fp_ieee_overflow 0
		.amdhsa_exception_fp_ieee_underflow 0
		.amdhsa_exception_fp_ieee_inexact 0
		.amdhsa_exception_int_div_zero 0
	.end_amdhsa_kernel
	.section	.text._ZN7rocprim17ROCPRIM_400000_NS6detail17trampoline_kernelINS0_14default_configENS1_35adjacent_difference_config_selectorILb1EiEEZNS1_24adjacent_difference_implIS3_Lb1ELb0EPiS7_N6thrust23THRUST_200600_302600_NS5minusIiEEEE10hipError_tPvRmT2_T3_mT4_P12ihipStream_tbEUlT_E_NS1_11comp_targetILNS1_3genE5ELNS1_11target_archE942ELNS1_3gpuE9ELNS1_3repE0EEENS1_30default_config_static_selectorELNS0_4arch9wavefront6targetE0EEEvT1_,"axG",@progbits,_ZN7rocprim17ROCPRIM_400000_NS6detail17trampoline_kernelINS0_14default_configENS1_35adjacent_difference_config_selectorILb1EiEEZNS1_24adjacent_difference_implIS3_Lb1ELb0EPiS7_N6thrust23THRUST_200600_302600_NS5minusIiEEEE10hipError_tPvRmT2_T3_mT4_P12ihipStream_tbEUlT_E_NS1_11comp_targetILNS1_3genE5ELNS1_11target_archE942ELNS1_3gpuE9ELNS1_3repE0EEENS1_30default_config_static_selectorELNS0_4arch9wavefront6targetE0EEEvT1_,comdat
.Lfunc_end326:
	.size	_ZN7rocprim17ROCPRIM_400000_NS6detail17trampoline_kernelINS0_14default_configENS1_35adjacent_difference_config_selectorILb1EiEEZNS1_24adjacent_difference_implIS3_Lb1ELb0EPiS7_N6thrust23THRUST_200600_302600_NS5minusIiEEEE10hipError_tPvRmT2_T3_mT4_P12ihipStream_tbEUlT_E_NS1_11comp_targetILNS1_3genE5ELNS1_11target_archE942ELNS1_3gpuE9ELNS1_3repE0EEENS1_30default_config_static_selectorELNS0_4arch9wavefront6targetE0EEEvT1_, .Lfunc_end326-_ZN7rocprim17ROCPRIM_400000_NS6detail17trampoline_kernelINS0_14default_configENS1_35adjacent_difference_config_selectorILb1EiEEZNS1_24adjacent_difference_implIS3_Lb1ELb0EPiS7_N6thrust23THRUST_200600_302600_NS5minusIiEEEE10hipError_tPvRmT2_T3_mT4_P12ihipStream_tbEUlT_E_NS1_11comp_targetILNS1_3genE5ELNS1_11target_archE942ELNS1_3gpuE9ELNS1_3repE0EEENS1_30default_config_static_selectorELNS0_4arch9wavefront6targetE0EEEvT1_
                                        ; -- End function
	.section	.AMDGPU.csdata,"",@progbits
; Kernel info:
; codeLenInByte = 0
; NumSgprs: 0
; NumVgprs: 0
; ScratchSize: 0
; MemoryBound: 0
; FloatMode: 240
; IeeeMode: 1
; LDSByteSize: 0 bytes/workgroup (compile time only)
; SGPRBlocks: 0
; VGPRBlocks: 0
; NumSGPRsForWavesPerEU: 1
; NumVGPRsForWavesPerEU: 1
; Occupancy: 16
; WaveLimiterHint : 0
; COMPUTE_PGM_RSRC2:SCRATCH_EN: 0
; COMPUTE_PGM_RSRC2:USER_SGPR: 15
; COMPUTE_PGM_RSRC2:TRAP_HANDLER: 0
; COMPUTE_PGM_RSRC2:TGID_X_EN: 1
; COMPUTE_PGM_RSRC2:TGID_Y_EN: 0
; COMPUTE_PGM_RSRC2:TGID_Z_EN: 0
; COMPUTE_PGM_RSRC2:TIDIG_COMP_CNT: 0
	.section	.text._ZN7rocprim17ROCPRIM_400000_NS6detail17trampoline_kernelINS0_14default_configENS1_35adjacent_difference_config_selectorILb1EiEEZNS1_24adjacent_difference_implIS3_Lb1ELb0EPiS7_N6thrust23THRUST_200600_302600_NS5minusIiEEEE10hipError_tPvRmT2_T3_mT4_P12ihipStream_tbEUlT_E_NS1_11comp_targetILNS1_3genE4ELNS1_11target_archE910ELNS1_3gpuE8ELNS1_3repE0EEENS1_30default_config_static_selectorELNS0_4arch9wavefront6targetE0EEEvT1_,"axG",@progbits,_ZN7rocprim17ROCPRIM_400000_NS6detail17trampoline_kernelINS0_14default_configENS1_35adjacent_difference_config_selectorILb1EiEEZNS1_24adjacent_difference_implIS3_Lb1ELb0EPiS7_N6thrust23THRUST_200600_302600_NS5minusIiEEEE10hipError_tPvRmT2_T3_mT4_P12ihipStream_tbEUlT_E_NS1_11comp_targetILNS1_3genE4ELNS1_11target_archE910ELNS1_3gpuE8ELNS1_3repE0EEENS1_30default_config_static_selectorELNS0_4arch9wavefront6targetE0EEEvT1_,comdat
	.protected	_ZN7rocprim17ROCPRIM_400000_NS6detail17trampoline_kernelINS0_14default_configENS1_35adjacent_difference_config_selectorILb1EiEEZNS1_24adjacent_difference_implIS3_Lb1ELb0EPiS7_N6thrust23THRUST_200600_302600_NS5minusIiEEEE10hipError_tPvRmT2_T3_mT4_P12ihipStream_tbEUlT_E_NS1_11comp_targetILNS1_3genE4ELNS1_11target_archE910ELNS1_3gpuE8ELNS1_3repE0EEENS1_30default_config_static_selectorELNS0_4arch9wavefront6targetE0EEEvT1_ ; -- Begin function _ZN7rocprim17ROCPRIM_400000_NS6detail17trampoline_kernelINS0_14default_configENS1_35adjacent_difference_config_selectorILb1EiEEZNS1_24adjacent_difference_implIS3_Lb1ELb0EPiS7_N6thrust23THRUST_200600_302600_NS5minusIiEEEE10hipError_tPvRmT2_T3_mT4_P12ihipStream_tbEUlT_E_NS1_11comp_targetILNS1_3genE4ELNS1_11target_archE910ELNS1_3gpuE8ELNS1_3repE0EEENS1_30default_config_static_selectorELNS0_4arch9wavefront6targetE0EEEvT1_
	.globl	_ZN7rocprim17ROCPRIM_400000_NS6detail17trampoline_kernelINS0_14default_configENS1_35adjacent_difference_config_selectorILb1EiEEZNS1_24adjacent_difference_implIS3_Lb1ELb0EPiS7_N6thrust23THRUST_200600_302600_NS5minusIiEEEE10hipError_tPvRmT2_T3_mT4_P12ihipStream_tbEUlT_E_NS1_11comp_targetILNS1_3genE4ELNS1_11target_archE910ELNS1_3gpuE8ELNS1_3repE0EEENS1_30default_config_static_selectorELNS0_4arch9wavefront6targetE0EEEvT1_
	.p2align	8
	.type	_ZN7rocprim17ROCPRIM_400000_NS6detail17trampoline_kernelINS0_14default_configENS1_35adjacent_difference_config_selectorILb1EiEEZNS1_24adjacent_difference_implIS3_Lb1ELb0EPiS7_N6thrust23THRUST_200600_302600_NS5minusIiEEEE10hipError_tPvRmT2_T3_mT4_P12ihipStream_tbEUlT_E_NS1_11comp_targetILNS1_3genE4ELNS1_11target_archE910ELNS1_3gpuE8ELNS1_3repE0EEENS1_30default_config_static_selectorELNS0_4arch9wavefront6targetE0EEEvT1_,@function
_ZN7rocprim17ROCPRIM_400000_NS6detail17trampoline_kernelINS0_14default_configENS1_35adjacent_difference_config_selectorILb1EiEEZNS1_24adjacent_difference_implIS3_Lb1ELb0EPiS7_N6thrust23THRUST_200600_302600_NS5minusIiEEEE10hipError_tPvRmT2_T3_mT4_P12ihipStream_tbEUlT_E_NS1_11comp_targetILNS1_3genE4ELNS1_11target_archE910ELNS1_3gpuE8ELNS1_3repE0EEENS1_30default_config_static_selectorELNS0_4arch9wavefront6targetE0EEEvT1_: ; @_ZN7rocprim17ROCPRIM_400000_NS6detail17trampoline_kernelINS0_14default_configENS1_35adjacent_difference_config_selectorILb1EiEEZNS1_24adjacent_difference_implIS3_Lb1ELb0EPiS7_N6thrust23THRUST_200600_302600_NS5minusIiEEEE10hipError_tPvRmT2_T3_mT4_P12ihipStream_tbEUlT_E_NS1_11comp_targetILNS1_3genE4ELNS1_11target_archE910ELNS1_3gpuE8ELNS1_3repE0EEENS1_30default_config_static_selectorELNS0_4arch9wavefront6targetE0EEEvT1_
; %bb.0:
	.section	.rodata,"a",@progbits
	.p2align	6, 0x0
	.amdhsa_kernel _ZN7rocprim17ROCPRIM_400000_NS6detail17trampoline_kernelINS0_14default_configENS1_35adjacent_difference_config_selectorILb1EiEEZNS1_24adjacent_difference_implIS3_Lb1ELb0EPiS7_N6thrust23THRUST_200600_302600_NS5minusIiEEEE10hipError_tPvRmT2_T3_mT4_P12ihipStream_tbEUlT_E_NS1_11comp_targetILNS1_3genE4ELNS1_11target_archE910ELNS1_3gpuE8ELNS1_3repE0EEENS1_30default_config_static_selectorELNS0_4arch9wavefront6targetE0EEEvT1_
		.amdhsa_group_segment_fixed_size 0
		.amdhsa_private_segment_fixed_size 0
		.amdhsa_kernarg_size 56
		.amdhsa_user_sgpr_count 15
		.amdhsa_user_sgpr_dispatch_ptr 0
		.amdhsa_user_sgpr_queue_ptr 0
		.amdhsa_user_sgpr_kernarg_segment_ptr 1
		.amdhsa_user_sgpr_dispatch_id 0
		.amdhsa_user_sgpr_private_segment_size 0
		.amdhsa_wavefront_size32 1
		.amdhsa_uses_dynamic_stack 0
		.amdhsa_enable_private_segment 0
		.amdhsa_system_sgpr_workgroup_id_x 1
		.amdhsa_system_sgpr_workgroup_id_y 0
		.amdhsa_system_sgpr_workgroup_id_z 0
		.amdhsa_system_sgpr_workgroup_info 0
		.amdhsa_system_vgpr_workitem_id 0
		.amdhsa_next_free_vgpr 1
		.amdhsa_next_free_sgpr 1
		.amdhsa_reserve_vcc 0
		.amdhsa_float_round_mode_32 0
		.amdhsa_float_round_mode_16_64 0
		.amdhsa_float_denorm_mode_32 3
		.amdhsa_float_denorm_mode_16_64 3
		.amdhsa_dx10_clamp 1
		.amdhsa_ieee_mode 1
		.amdhsa_fp16_overflow 0
		.amdhsa_workgroup_processor_mode 1
		.amdhsa_memory_ordered 1
		.amdhsa_forward_progress 0
		.amdhsa_shared_vgpr_count 0
		.amdhsa_exception_fp_ieee_invalid_op 0
		.amdhsa_exception_fp_denorm_src 0
		.amdhsa_exception_fp_ieee_div_zero 0
		.amdhsa_exception_fp_ieee_overflow 0
		.amdhsa_exception_fp_ieee_underflow 0
		.amdhsa_exception_fp_ieee_inexact 0
		.amdhsa_exception_int_div_zero 0
	.end_amdhsa_kernel
	.section	.text._ZN7rocprim17ROCPRIM_400000_NS6detail17trampoline_kernelINS0_14default_configENS1_35adjacent_difference_config_selectorILb1EiEEZNS1_24adjacent_difference_implIS3_Lb1ELb0EPiS7_N6thrust23THRUST_200600_302600_NS5minusIiEEEE10hipError_tPvRmT2_T3_mT4_P12ihipStream_tbEUlT_E_NS1_11comp_targetILNS1_3genE4ELNS1_11target_archE910ELNS1_3gpuE8ELNS1_3repE0EEENS1_30default_config_static_selectorELNS0_4arch9wavefront6targetE0EEEvT1_,"axG",@progbits,_ZN7rocprim17ROCPRIM_400000_NS6detail17trampoline_kernelINS0_14default_configENS1_35adjacent_difference_config_selectorILb1EiEEZNS1_24adjacent_difference_implIS3_Lb1ELb0EPiS7_N6thrust23THRUST_200600_302600_NS5minusIiEEEE10hipError_tPvRmT2_T3_mT4_P12ihipStream_tbEUlT_E_NS1_11comp_targetILNS1_3genE4ELNS1_11target_archE910ELNS1_3gpuE8ELNS1_3repE0EEENS1_30default_config_static_selectorELNS0_4arch9wavefront6targetE0EEEvT1_,comdat
.Lfunc_end327:
	.size	_ZN7rocprim17ROCPRIM_400000_NS6detail17trampoline_kernelINS0_14default_configENS1_35adjacent_difference_config_selectorILb1EiEEZNS1_24adjacent_difference_implIS3_Lb1ELb0EPiS7_N6thrust23THRUST_200600_302600_NS5minusIiEEEE10hipError_tPvRmT2_T3_mT4_P12ihipStream_tbEUlT_E_NS1_11comp_targetILNS1_3genE4ELNS1_11target_archE910ELNS1_3gpuE8ELNS1_3repE0EEENS1_30default_config_static_selectorELNS0_4arch9wavefront6targetE0EEEvT1_, .Lfunc_end327-_ZN7rocprim17ROCPRIM_400000_NS6detail17trampoline_kernelINS0_14default_configENS1_35adjacent_difference_config_selectorILb1EiEEZNS1_24adjacent_difference_implIS3_Lb1ELb0EPiS7_N6thrust23THRUST_200600_302600_NS5minusIiEEEE10hipError_tPvRmT2_T3_mT4_P12ihipStream_tbEUlT_E_NS1_11comp_targetILNS1_3genE4ELNS1_11target_archE910ELNS1_3gpuE8ELNS1_3repE0EEENS1_30default_config_static_selectorELNS0_4arch9wavefront6targetE0EEEvT1_
                                        ; -- End function
	.section	.AMDGPU.csdata,"",@progbits
; Kernel info:
; codeLenInByte = 0
; NumSgprs: 0
; NumVgprs: 0
; ScratchSize: 0
; MemoryBound: 0
; FloatMode: 240
; IeeeMode: 1
; LDSByteSize: 0 bytes/workgroup (compile time only)
; SGPRBlocks: 0
; VGPRBlocks: 0
; NumSGPRsForWavesPerEU: 1
; NumVGPRsForWavesPerEU: 1
; Occupancy: 16
; WaveLimiterHint : 0
; COMPUTE_PGM_RSRC2:SCRATCH_EN: 0
; COMPUTE_PGM_RSRC2:USER_SGPR: 15
; COMPUTE_PGM_RSRC2:TRAP_HANDLER: 0
; COMPUTE_PGM_RSRC2:TGID_X_EN: 1
; COMPUTE_PGM_RSRC2:TGID_Y_EN: 0
; COMPUTE_PGM_RSRC2:TGID_Z_EN: 0
; COMPUTE_PGM_RSRC2:TIDIG_COMP_CNT: 0
	.section	.text._ZN7rocprim17ROCPRIM_400000_NS6detail17trampoline_kernelINS0_14default_configENS1_35adjacent_difference_config_selectorILb1EiEEZNS1_24adjacent_difference_implIS3_Lb1ELb0EPiS7_N6thrust23THRUST_200600_302600_NS5minusIiEEEE10hipError_tPvRmT2_T3_mT4_P12ihipStream_tbEUlT_E_NS1_11comp_targetILNS1_3genE3ELNS1_11target_archE908ELNS1_3gpuE7ELNS1_3repE0EEENS1_30default_config_static_selectorELNS0_4arch9wavefront6targetE0EEEvT1_,"axG",@progbits,_ZN7rocprim17ROCPRIM_400000_NS6detail17trampoline_kernelINS0_14default_configENS1_35adjacent_difference_config_selectorILb1EiEEZNS1_24adjacent_difference_implIS3_Lb1ELb0EPiS7_N6thrust23THRUST_200600_302600_NS5minusIiEEEE10hipError_tPvRmT2_T3_mT4_P12ihipStream_tbEUlT_E_NS1_11comp_targetILNS1_3genE3ELNS1_11target_archE908ELNS1_3gpuE7ELNS1_3repE0EEENS1_30default_config_static_selectorELNS0_4arch9wavefront6targetE0EEEvT1_,comdat
	.protected	_ZN7rocprim17ROCPRIM_400000_NS6detail17trampoline_kernelINS0_14default_configENS1_35adjacent_difference_config_selectorILb1EiEEZNS1_24adjacent_difference_implIS3_Lb1ELb0EPiS7_N6thrust23THRUST_200600_302600_NS5minusIiEEEE10hipError_tPvRmT2_T3_mT4_P12ihipStream_tbEUlT_E_NS1_11comp_targetILNS1_3genE3ELNS1_11target_archE908ELNS1_3gpuE7ELNS1_3repE0EEENS1_30default_config_static_selectorELNS0_4arch9wavefront6targetE0EEEvT1_ ; -- Begin function _ZN7rocprim17ROCPRIM_400000_NS6detail17trampoline_kernelINS0_14default_configENS1_35adjacent_difference_config_selectorILb1EiEEZNS1_24adjacent_difference_implIS3_Lb1ELb0EPiS7_N6thrust23THRUST_200600_302600_NS5minusIiEEEE10hipError_tPvRmT2_T3_mT4_P12ihipStream_tbEUlT_E_NS1_11comp_targetILNS1_3genE3ELNS1_11target_archE908ELNS1_3gpuE7ELNS1_3repE0EEENS1_30default_config_static_selectorELNS0_4arch9wavefront6targetE0EEEvT1_
	.globl	_ZN7rocprim17ROCPRIM_400000_NS6detail17trampoline_kernelINS0_14default_configENS1_35adjacent_difference_config_selectorILb1EiEEZNS1_24adjacent_difference_implIS3_Lb1ELb0EPiS7_N6thrust23THRUST_200600_302600_NS5minusIiEEEE10hipError_tPvRmT2_T3_mT4_P12ihipStream_tbEUlT_E_NS1_11comp_targetILNS1_3genE3ELNS1_11target_archE908ELNS1_3gpuE7ELNS1_3repE0EEENS1_30default_config_static_selectorELNS0_4arch9wavefront6targetE0EEEvT1_
	.p2align	8
	.type	_ZN7rocprim17ROCPRIM_400000_NS6detail17trampoline_kernelINS0_14default_configENS1_35adjacent_difference_config_selectorILb1EiEEZNS1_24adjacent_difference_implIS3_Lb1ELb0EPiS7_N6thrust23THRUST_200600_302600_NS5minusIiEEEE10hipError_tPvRmT2_T3_mT4_P12ihipStream_tbEUlT_E_NS1_11comp_targetILNS1_3genE3ELNS1_11target_archE908ELNS1_3gpuE7ELNS1_3repE0EEENS1_30default_config_static_selectorELNS0_4arch9wavefront6targetE0EEEvT1_,@function
_ZN7rocprim17ROCPRIM_400000_NS6detail17trampoline_kernelINS0_14default_configENS1_35adjacent_difference_config_selectorILb1EiEEZNS1_24adjacent_difference_implIS3_Lb1ELb0EPiS7_N6thrust23THRUST_200600_302600_NS5minusIiEEEE10hipError_tPvRmT2_T3_mT4_P12ihipStream_tbEUlT_E_NS1_11comp_targetILNS1_3genE3ELNS1_11target_archE908ELNS1_3gpuE7ELNS1_3repE0EEENS1_30default_config_static_selectorELNS0_4arch9wavefront6targetE0EEEvT1_: ; @_ZN7rocprim17ROCPRIM_400000_NS6detail17trampoline_kernelINS0_14default_configENS1_35adjacent_difference_config_selectorILb1EiEEZNS1_24adjacent_difference_implIS3_Lb1ELb0EPiS7_N6thrust23THRUST_200600_302600_NS5minusIiEEEE10hipError_tPvRmT2_T3_mT4_P12ihipStream_tbEUlT_E_NS1_11comp_targetILNS1_3genE3ELNS1_11target_archE908ELNS1_3gpuE7ELNS1_3repE0EEENS1_30default_config_static_selectorELNS0_4arch9wavefront6targetE0EEEvT1_
; %bb.0:
	.section	.rodata,"a",@progbits
	.p2align	6, 0x0
	.amdhsa_kernel _ZN7rocprim17ROCPRIM_400000_NS6detail17trampoline_kernelINS0_14default_configENS1_35adjacent_difference_config_selectorILb1EiEEZNS1_24adjacent_difference_implIS3_Lb1ELb0EPiS7_N6thrust23THRUST_200600_302600_NS5minusIiEEEE10hipError_tPvRmT2_T3_mT4_P12ihipStream_tbEUlT_E_NS1_11comp_targetILNS1_3genE3ELNS1_11target_archE908ELNS1_3gpuE7ELNS1_3repE0EEENS1_30default_config_static_selectorELNS0_4arch9wavefront6targetE0EEEvT1_
		.amdhsa_group_segment_fixed_size 0
		.amdhsa_private_segment_fixed_size 0
		.amdhsa_kernarg_size 56
		.amdhsa_user_sgpr_count 15
		.amdhsa_user_sgpr_dispatch_ptr 0
		.amdhsa_user_sgpr_queue_ptr 0
		.amdhsa_user_sgpr_kernarg_segment_ptr 1
		.amdhsa_user_sgpr_dispatch_id 0
		.amdhsa_user_sgpr_private_segment_size 0
		.amdhsa_wavefront_size32 1
		.amdhsa_uses_dynamic_stack 0
		.amdhsa_enable_private_segment 0
		.amdhsa_system_sgpr_workgroup_id_x 1
		.amdhsa_system_sgpr_workgroup_id_y 0
		.amdhsa_system_sgpr_workgroup_id_z 0
		.amdhsa_system_sgpr_workgroup_info 0
		.amdhsa_system_vgpr_workitem_id 0
		.amdhsa_next_free_vgpr 1
		.amdhsa_next_free_sgpr 1
		.amdhsa_reserve_vcc 0
		.amdhsa_float_round_mode_32 0
		.amdhsa_float_round_mode_16_64 0
		.amdhsa_float_denorm_mode_32 3
		.amdhsa_float_denorm_mode_16_64 3
		.amdhsa_dx10_clamp 1
		.amdhsa_ieee_mode 1
		.amdhsa_fp16_overflow 0
		.amdhsa_workgroup_processor_mode 1
		.amdhsa_memory_ordered 1
		.amdhsa_forward_progress 0
		.amdhsa_shared_vgpr_count 0
		.amdhsa_exception_fp_ieee_invalid_op 0
		.amdhsa_exception_fp_denorm_src 0
		.amdhsa_exception_fp_ieee_div_zero 0
		.amdhsa_exception_fp_ieee_overflow 0
		.amdhsa_exception_fp_ieee_underflow 0
		.amdhsa_exception_fp_ieee_inexact 0
		.amdhsa_exception_int_div_zero 0
	.end_amdhsa_kernel
	.section	.text._ZN7rocprim17ROCPRIM_400000_NS6detail17trampoline_kernelINS0_14default_configENS1_35adjacent_difference_config_selectorILb1EiEEZNS1_24adjacent_difference_implIS3_Lb1ELb0EPiS7_N6thrust23THRUST_200600_302600_NS5minusIiEEEE10hipError_tPvRmT2_T3_mT4_P12ihipStream_tbEUlT_E_NS1_11comp_targetILNS1_3genE3ELNS1_11target_archE908ELNS1_3gpuE7ELNS1_3repE0EEENS1_30default_config_static_selectorELNS0_4arch9wavefront6targetE0EEEvT1_,"axG",@progbits,_ZN7rocprim17ROCPRIM_400000_NS6detail17trampoline_kernelINS0_14default_configENS1_35adjacent_difference_config_selectorILb1EiEEZNS1_24adjacent_difference_implIS3_Lb1ELb0EPiS7_N6thrust23THRUST_200600_302600_NS5minusIiEEEE10hipError_tPvRmT2_T3_mT4_P12ihipStream_tbEUlT_E_NS1_11comp_targetILNS1_3genE3ELNS1_11target_archE908ELNS1_3gpuE7ELNS1_3repE0EEENS1_30default_config_static_selectorELNS0_4arch9wavefront6targetE0EEEvT1_,comdat
.Lfunc_end328:
	.size	_ZN7rocprim17ROCPRIM_400000_NS6detail17trampoline_kernelINS0_14default_configENS1_35adjacent_difference_config_selectorILb1EiEEZNS1_24adjacent_difference_implIS3_Lb1ELb0EPiS7_N6thrust23THRUST_200600_302600_NS5minusIiEEEE10hipError_tPvRmT2_T3_mT4_P12ihipStream_tbEUlT_E_NS1_11comp_targetILNS1_3genE3ELNS1_11target_archE908ELNS1_3gpuE7ELNS1_3repE0EEENS1_30default_config_static_selectorELNS0_4arch9wavefront6targetE0EEEvT1_, .Lfunc_end328-_ZN7rocprim17ROCPRIM_400000_NS6detail17trampoline_kernelINS0_14default_configENS1_35adjacent_difference_config_selectorILb1EiEEZNS1_24adjacent_difference_implIS3_Lb1ELb0EPiS7_N6thrust23THRUST_200600_302600_NS5minusIiEEEE10hipError_tPvRmT2_T3_mT4_P12ihipStream_tbEUlT_E_NS1_11comp_targetILNS1_3genE3ELNS1_11target_archE908ELNS1_3gpuE7ELNS1_3repE0EEENS1_30default_config_static_selectorELNS0_4arch9wavefront6targetE0EEEvT1_
                                        ; -- End function
	.section	.AMDGPU.csdata,"",@progbits
; Kernel info:
; codeLenInByte = 0
; NumSgprs: 0
; NumVgprs: 0
; ScratchSize: 0
; MemoryBound: 0
; FloatMode: 240
; IeeeMode: 1
; LDSByteSize: 0 bytes/workgroup (compile time only)
; SGPRBlocks: 0
; VGPRBlocks: 0
; NumSGPRsForWavesPerEU: 1
; NumVGPRsForWavesPerEU: 1
; Occupancy: 16
; WaveLimiterHint : 0
; COMPUTE_PGM_RSRC2:SCRATCH_EN: 0
; COMPUTE_PGM_RSRC2:USER_SGPR: 15
; COMPUTE_PGM_RSRC2:TRAP_HANDLER: 0
; COMPUTE_PGM_RSRC2:TGID_X_EN: 1
; COMPUTE_PGM_RSRC2:TGID_Y_EN: 0
; COMPUTE_PGM_RSRC2:TGID_Z_EN: 0
; COMPUTE_PGM_RSRC2:TIDIG_COMP_CNT: 0
	.section	.text._ZN7rocprim17ROCPRIM_400000_NS6detail17trampoline_kernelINS0_14default_configENS1_35adjacent_difference_config_selectorILb1EiEEZNS1_24adjacent_difference_implIS3_Lb1ELb0EPiS7_N6thrust23THRUST_200600_302600_NS5minusIiEEEE10hipError_tPvRmT2_T3_mT4_P12ihipStream_tbEUlT_E_NS1_11comp_targetILNS1_3genE2ELNS1_11target_archE906ELNS1_3gpuE6ELNS1_3repE0EEENS1_30default_config_static_selectorELNS0_4arch9wavefront6targetE0EEEvT1_,"axG",@progbits,_ZN7rocprim17ROCPRIM_400000_NS6detail17trampoline_kernelINS0_14default_configENS1_35adjacent_difference_config_selectorILb1EiEEZNS1_24adjacent_difference_implIS3_Lb1ELb0EPiS7_N6thrust23THRUST_200600_302600_NS5minusIiEEEE10hipError_tPvRmT2_T3_mT4_P12ihipStream_tbEUlT_E_NS1_11comp_targetILNS1_3genE2ELNS1_11target_archE906ELNS1_3gpuE6ELNS1_3repE0EEENS1_30default_config_static_selectorELNS0_4arch9wavefront6targetE0EEEvT1_,comdat
	.protected	_ZN7rocprim17ROCPRIM_400000_NS6detail17trampoline_kernelINS0_14default_configENS1_35adjacent_difference_config_selectorILb1EiEEZNS1_24adjacent_difference_implIS3_Lb1ELb0EPiS7_N6thrust23THRUST_200600_302600_NS5minusIiEEEE10hipError_tPvRmT2_T3_mT4_P12ihipStream_tbEUlT_E_NS1_11comp_targetILNS1_3genE2ELNS1_11target_archE906ELNS1_3gpuE6ELNS1_3repE0EEENS1_30default_config_static_selectorELNS0_4arch9wavefront6targetE0EEEvT1_ ; -- Begin function _ZN7rocprim17ROCPRIM_400000_NS6detail17trampoline_kernelINS0_14default_configENS1_35adjacent_difference_config_selectorILb1EiEEZNS1_24adjacent_difference_implIS3_Lb1ELb0EPiS7_N6thrust23THRUST_200600_302600_NS5minusIiEEEE10hipError_tPvRmT2_T3_mT4_P12ihipStream_tbEUlT_E_NS1_11comp_targetILNS1_3genE2ELNS1_11target_archE906ELNS1_3gpuE6ELNS1_3repE0EEENS1_30default_config_static_selectorELNS0_4arch9wavefront6targetE0EEEvT1_
	.globl	_ZN7rocprim17ROCPRIM_400000_NS6detail17trampoline_kernelINS0_14default_configENS1_35adjacent_difference_config_selectorILb1EiEEZNS1_24adjacent_difference_implIS3_Lb1ELb0EPiS7_N6thrust23THRUST_200600_302600_NS5minusIiEEEE10hipError_tPvRmT2_T3_mT4_P12ihipStream_tbEUlT_E_NS1_11comp_targetILNS1_3genE2ELNS1_11target_archE906ELNS1_3gpuE6ELNS1_3repE0EEENS1_30default_config_static_selectorELNS0_4arch9wavefront6targetE0EEEvT1_
	.p2align	8
	.type	_ZN7rocprim17ROCPRIM_400000_NS6detail17trampoline_kernelINS0_14default_configENS1_35adjacent_difference_config_selectorILb1EiEEZNS1_24adjacent_difference_implIS3_Lb1ELb0EPiS7_N6thrust23THRUST_200600_302600_NS5minusIiEEEE10hipError_tPvRmT2_T3_mT4_P12ihipStream_tbEUlT_E_NS1_11comp_targetILNS1_3genE2ELNS1_11target_archE906ELNS1_3gpuE6ELNS1_3repE0EEENS1_30default_config_static_selectorELNS0_4arch9wavefront6targetE0EEEvT1_,@function
_ZN7rocprim17ROCPRIM_400000_NS6detail17trampoline_kernelINS0_14default_configENS1_35adjacent_difference_config_selectorILb1EiEEZNS1_24adjacent_difference_implIS3_Lb1ELb0EPiS7_N6thrust23THRUST_200600_302600_NS5minusIiEEEE10hipError_tPvRmT2_T3_mT4_P12ihipStream_tbEUlT_E_NS1_11comp_targetILNS1_3genE2ELNS1_11target_archE906ELNS1_3gpuE6ELNS1_3repE0EEENS1_30default_config_static_selectorELNS0_4arch9wavefront6targetE0EEEvT1_: ; @_ZN7rocprim17ROCPRIM_400000_NS6detail17trampoline_kernelINS0_14default_configENS1_35adjacent_difference_config_selectorILb1EiEEZNS1_24adjacent_difference_implIS3_Lb1ELb0EPiS7_N6thrust23THRUST_200600_302600_NS5minusIiEEEE10hipError_tPvRmT2_T3_mT4_P12ihipStream_tbEUlT_E_NS1_11comp_targetILNS1_3genE2ELNS1_11target_archE906ELNS1_3gpuE6ELNS1_3repE0EEENS1_30default_config_static_selectorELNS0_4arch9wavefront6targetE0EEEvT1_
; %bb.0:
	.section	.rodata,"a",@progbits
	.p2align	6, 0x0
	.amdhsa_kernel _ZN7rocprim17ROCPRIM_400000_NS6detail17trampoline_kernelINS0_14default_configENS1_35adjacent_difference_config_selectorILb1EiEEZNS1_24adjacent_difference_implIS3_Lb1ELb0EPiS7_N6thrust23THRUST_200600_302600_NS5minusIiEEEE10hipError_tPvRmT2_T3_mT4_P12ihipStream_tbEUlT_E_NS1_11comp_targetILNS1_3genE2ELNS1_11target_archE906ELNS1_3gpuE6ELNS1_3repE0EEENS1_30default_config_static_selectorELNS0_4arch9wavefront6targetE0EEEvT1_
		.amdhsa_group_segment_fixed_size 0
		.amdhsa_private_segment_fixed_size 0
		.amdhsa_kernarg_size 56
		.amdhsa_user_sgpr_count 15
		.amdhsa_user_sgpr_dispatch_ptr 0
		.amdhsa_user_sgpr_queue_ptr 0
		.amdhsa_user_sgpr_kernarg_segment_ptr 1
		.amdhsa_user_sgpr_dispatch_id 0
		.amdhsa_user_sgpr_private_segment_size 0
		.amdhsa_wavefront_size32 1
		.amdhsa_uses_dynamic_stack 0
		.amdhsa_enable_private_segment 0
		.amdhsa_system_sgpr_workgroup_id_x 1
		.amdhsa_system_sgpr_workgroup_id_y 0
		.amdhsa_system_sgpr_workgroup_id_z 0
		.amdhsa_system_sgpr_workgroup_info 0
		.amdhsa_system_vgpr_workitem_id 0
		.amdhsa_next_free_vgpr 1
		.amdhsa_next_free_sgpr 1
		.amdhsa_reserve_vcc 0
		.amdhsa_float_round_mode_32 0
		.amdhsa_float_round_mode_16_64 0
		.amdhsa_float_denorm_mode_32 3
		.amdhsa_float_denorm_mode_16_64 3
		.amdhsa_dx10_clamp 1
		.amdhsa_ieee_mode 1
		.amdhsa_fp16_overflow 0
		.amdhsa_workgroup_processor_mode 1
		.amdhsa_memory_ordered 1
		.amdhsa_forward_progress 0
		.amdhsa_shared_vgpr_count 0
		.amdhsa_exception_fp_ieee_invalid_op 0
		.amdhsa_exception_fp_denorm_src 0
		.amdhsa_exception_fp_ieee_div_zero 0
		.amdhsa_exception_fp_ieee_overflow 0
		.amdhsa_exception_fp_ieee_underflow 0
		.amdhsa_exception_fp_ieee_inexact 0
		.amdhsa_exception_int_div_zero 0
	.end_amdhsa_kernel
	.section	.text._ZN7rocprim17ROCPRIM_400000_NS6detail17trampoline_kernelINS0_14default_configENS1_35adjacent_difference_config_selectorILb1EiEEZNS1_24adjacent_difference_implIS3_Lb1ELb0EPiS7_N6thrust23THRUST_200600_302600_NS5minusIiEEEE10hipError_tPvRmT2_T3_mT4_P12ihipStream_tbEUlT_E_NS1_11comp_targetILNS1_3genE2ELNS1_11target_archE906ELNS1_3gpuE6ELNS1_3repE0EEENS1_30default_config_static_selectorELNS0_4arch9wavefront6targetE0EEEvT1_,"axG",@progbits,_ZN7rocprim17ROCPRIM_400000_NS6detail17trampoline_kernelINS0_14default_configENS1_35adjacent_difference_config_selectorILb1EiEEZNS1_24adjacent_difference_implIS3_Lb1ELb0EPiS7_N6thrust23THRUST_200600_302600_NS5minusIiEEEE10hipError_tPvRmT2_T3_mT4_P12ihipStream_tbEUlT_E_NS1_11comp_targetILNS1_3genE2ELNS1_11target_archE906ELNS1_3gpuE6ELNS1_3repE0EEENS1_30default_config_static_selectorELNS0_4arch9wavefront6targetE0EEEvT1_,comdat
.Lfunc_end329:
	.size	_ZN7rocprim17ROCPRIM_400000_NS6detail17trampoline_kernelINS0_14default_configENS1_35adjacent_difference_config_selectorILb1EiEEZNS1_24adjacent_difference_implIS3_Lb1ELb0EPiS7_N6thrust23THRUST_200600_302600_NS5minusIiEEEE10hipError_tPvRmT2_T3_mT4_P12ihipStream_tbEUlT_E_NS1_11comp_targetILNS1_3genE2ELNS1_11target_archE906ELNS1_3gpuE6ELNS1_3repE0EEENS1_30default_config_static_selectorELNS0_4arch9wavefront6targetE0EEEvT1_, .Lfunc_end329-_ZN7rocprim17ROCPRIM_400000_NS6detail17trampoline_kernelINS0_14default_configENS1_35adjacent_difference_config_selectorILb1EiEEZNS1_24adjacent_difference_implIS3_Lb1ELb0EPiS7_N6thrust23THRUST_200600_302600_NS5minusIiEEEE10hipError_tPvRmT2_T3_mT4_P12ihipStream_tbEUlT_E_NS1_11comp_targetILNS1_3genE2ELNS1_11target_archE906ELNS1_3gpuE6ELNS1_3repE0EEENS1_30default_config_static_selectorELNS0_4arch9wavefront6targetE0EEEvT1_
                                        ; -- End function
	.section	.AMDGPU.csdata,"",@progbits
; Kernel info:
; codeLenInByte = 0
; NumSgprs: 0
; NumVgprs: 0
; ScratchSize: 0
; MemoryBound: 0
; FloatMode: 240
; IeeeMode: 1
; LDSByteSize: 0 bytes/workgroup (compile time only)
; SGPRBlocks: 0
; VGPRBlocks: 0
; NumSGPRsForWavesPerEU: 1
; NumVGPRsForWavesPerEU: 1
; Occupancy: 16
; WaveLimiterHint : 0
; COMPUTE_PGM_RSRC2:SCRATCH_EN: 0
; COMPUTE_PGM_RSRC2:USER_SGPR: 15
; COMPUTE_PGM_RSRC2:TRAP_HANDLER: 0
; COMPUTE_PGM_RSRC2:TGID_X_EN: 1
; COMPUTE_PGM_RSRC2:TGID_Y_EN: 0
; COMPUTE_PGM_RSRC2:TGID_Z_EN: 0
; COMPUTE_PGM_RSRC2:TIDIG_COMP_CNT: 0
	.section	.text._ZN7rocprim17ROCPRIM_400000_NS6detail17trampoline_kernelINS0_14default_configENS1_35adjacent_difference_config_selectorILb1EiEEZNS1_24adjacent_difference_implIS3_Lb1ELb0EPiS7_N6thrust23THRUST_200600_302600_NS5minusIiEEEE10hipError_tPvRmT2_T3_mT4_P12ihipStream_tbEUlT_E_NS1_11comp_targetILNS1_3genE9ELNS1_11target_archE1100ELNS1_3gpuE3ELNS1_3repE0EEENS1_30default_config_static_selectorELNS0_4arch9wavefront6targetE0EEEvT1_,"axG",@progbits,_ZN7rocprim17ROCPRIM_400000_NS6detail17trampoline_kernelINS0_14default_configENS1_35adjacent_difference_config_selectorILb1EiEEZNS1_24adjacent_difference_implIS3_Lb1ELb0EPiS7_N6thrust23THRUST_200600_302600_NS5minusIiEEEE10hipError_tPvRmT2_T3_mT4_P12ihipStream_tbEUlT_E_NS1_11comp_targetILNS1_3genE9ELNS1_11target_archE1100ELNS1_3gpuE3ELNS1_3repE0EEENS1_30default_config_static_selectorELNS0_4arch9wavefront6targetE0EEEvT1_,comdat
	.protected	_ZN7rocprim17ROCPRIM_400000_NS6detail17trampoline_kernelINS0_14default_configENS1_35adjacent_difference_config_selectorILb1EiEEZNS1_24adjacent_difference_implIS3_Lb1ELb0EPiS7_N6thrust23THRUST_200600_302600_NS5minusIiEEEE10hipError_tPvRmT2_T3_mT4_P12ihipStream_tbEUlT_E_NS1_11comp_targetILNS1_3genE9ELNS1_11target_archE1100ELNS1_3gpuE3ELNS1_3repE0EEENS1_30default_config_static_selectorELNS0_4arch9wavefront6targetE0EEEvT1_ ; -- Begin function _ZN7rocprim17ROCPRIM_400000_NS6detail17trampoline_kernelINS0_14default_configENS1_35adjacent_difference_config_selectorILb1EiEEZNS1_24adjacent_difference_implIS3_Lb1ELb0EPiS7_N6thrust23THRUST_200600_302600_NS5minusIiEEEE10hipError_tPvRmT2_T3_mT4_P12ihipStream_tbEUlT_E_NS1_11comp_targetILNS1_3genE9ELNS1_11target_archE1100ELNS1_3gpuE3ELNS1_3repE0EEENS1_30default_config_static_selectorELNS0_4arch9wavefront6targetE0EEEvT1_
	.globl	_ZN7rocprim17ROCPRIM_400000_NS6detail17trampoline_kernelINS0_14default_configENS1_35adjacent_difference_config_selectorILb1EiEEZNS1_24adjacent_difference_implIS3_Lb1ELb0EPiS7_N6thrust23THRUST_200600_302600_NS5minusIiEEEE10hipError_tPvRmT2_T3_mT4_P12ihipStream_tbEUlT_E_NS1_11comp_targetILNS1_3genE9ELNS1_11target_archE1100ELNS1_3gpuE3ELNS1_3repE0EEENS1_30default_config_static_selectorELNS0_4arch9wavefront6targetE0EEEvT1_
	.p2align	8
	.type	_ZN7rocprim17ROCPRIM_400000_NS6detail17trampoline_kernelINS0_14default_configENS1_35adjacent_difference_config_selectorILb1EiEEZNS1_24adjacent_difference_implIS3_Lb1ELb0EPiS7_N6thrust23THRUST_200600_302600_NS5minusIiEEEE10hipError_tPvRmT2_T3_mT4_P12ihipStream_tbEUlT_E_NS1_11comp_targetILNS1_3genE9ELNS1_11target_archE1100ELNS1_3gpuE3ELNS1_3repE0EEENS1_30default_config_static_selectorELNS0_4arch9wavefront6targetE0EEEvT1_,@function
_ZN7rocprim17ROCPRIM_400000_NS6detail17trampoline_kernelINS0_14default_configENS1_35adjacent_difference_config_selectorILb1EiEEZNS1_24adjacent_difference_implIS3_Lb1ELb0EPiS7_N6thrust23THRUST_200600_302600_NS5minusIiEEEE10hipError_tPvRmT2_T3_mT4_P12ihipStream_tbEUlT_E_NS1_11comp_targetILNS1_3genE9ELNS1_11target_archE1100ELNS1_3gpuE3ELNS1_3repE0EEENS1_30default_config_static_selectorELNS0_4arch9wavefront6targetE0EEEvT1_: ; @_ZN7rocprim17ROCPRIM_400000_NS6detail17trampoline_kernelINS0_14default_configENS1_35adjacent_difference_config_selectorILb1EiEEZNS1_24adjacent_difference_implIS3_Lb1ELb0EPiS7_N6thrust23THRUST_200600_302600_NS5minusIiEEEE10hipError_tPvRmT2_T3_mT4_P12ihipStream_tbEUlT_E_NS1_11comp_targetILNS1_3genE9ELNS1_11target_archE1100ELNS1_3gpuE3ELNS1_3repE0EEENS1_30default_config_static_selectorELNS0_4arch9wavefront6targetE0EEEvT1_
; %bb.0:
	s_load_b256 s[36:43], s[0:1], 0x0
	s_mov_b32 s2, 0x411a7a30
	s_mov_b32 s8, s15
	s_delay_alu instid0(SALU_CYCLE_1) | instskip(SKIP_2) | instid1(SALU_CYCLE_1)
	s_mul_i32 s30, s8, 0xe80
	s_waitcnt lgkmcnt(0)
	s_lshl_b64 s[34:35], s[38:39], 2
	s_add_u32 s14, s36, s34
	s_addc_u32 s15, s37, s35
	s_add_u32 s2, 0x76, s2
	s_addc_u32 s3, 0, 0
	v_add_co_u32 v1, s2, 0x20000000, s2
	s_delay_alu instid0(VALU_DEP_1) | instskip(SKIP_1) | instid1(VALU_DEP_1)
	s_cmp_lg_u32 s2, 0
	s_addc_u32 s3, s3, 0x11a7b9
	v_readfirstlane_b32 s2, v1
	s_mul_i32 s4, s3, 0xfffff180
	s_delay_alu instid0(VALU_DEP_1)
	s_mul_hi_u32 s5, s2, 0xfffff180
	s_mul_i32 s6, s2, 0xfffff180
	s_sub_i32 s5, s5, s2
	s_mul_hi_u32 s7, s2, s6
	s_add_i32 s5, s5, s4
	s_mul_hi_u32 s9, s3, s6
	s_mul_i32 s4, s3, s6
	s_mul_hi_u32 s6, s2, s5
	s_mul_i32 s2, s2, s5
	s_mul_hi_u32 s10, s3, s5
	s_add_u32 s2, s7, s2
	s_addc_u32 s6, 0, s6
	s_add_u32 s2, s2, s4
	s_mul_i32 s5, s3, s5
	s_addc_u32 s2, s6, s9
	s_addc_u32 s4, s10, 0
	s_add_u32 s2, s2, s5
	s_addc_u32 s4, 0, s4
	v_add_co_u32 v1, s2, v1, s2
	s_delay_alu instid0(VALU_DEP_1) | instskip(SKIP_1) | instid1(VALU_DEP_1)
	s_cmp_lg_u32 s2, 0
	s_addc_u32 s2, s3, s4
	v_readfirstlane_b32 s3, v1
	s_mul_i32 s5, s42, s2
	s_mul_hi_u32 s4, s42, s2
	s_mul_hi_u32 s6, s43, s2
	s_mul_i32 s2, s43, s2
	s_mul_hi_u32 s7, s42, s3
	s_mul_hi_u32 s9, s43, s3
	s_mul_i32 s3, s43, s3
	s_add_u32 s5, s7, s5
	s_addc_u32 s4, 0, s4
	s_add_u32 s3, s5, s3
	s_addc_u32 s3, s4, s9
	s_addc_u32 s4, s6, 0
	s_add_u32 s5, s3, s2
	s_addc_u32 s4, 0, s4
	s_mul_i32 s3, s5, 0xe80
	s_add_u32 s2, s5, 1
	v_sub_co_u32 v1, s3, s42, s3
	s_mul_hi_u32 s6, s5, 0xe80
	s_addc_u32 s7, s4, 0
	s_mul_i32 s9, s4, 0xe80
	s_delay_alu instid0(VALU_DEP_1)
	v_subrev_co_u32 v2, s10, 0xe80, v1
	s_add_u32 s11, s5, 2
	s_addc_u32 s12, s4, 0
	s_add_i32 s6, s6, s9
	s_cmp_lg_u32 s3, 0
	v_readfirstlane_b32 s3, v2
	s_subb_u32 s6, s43, s6
	s_cmp_lg_u32 s10, 0
	s_subb_u32 s9, s6, 0
	s_delay_alu instid0(VALU_DEP_1) | instskip(SKIP_4) | instid1(SALU_CYCLE_1)
	s_cmpk_gt_u32 s3, 0xe7f
	s_cselect_b32 s3, -1, 0
	s_cmp_eq_u32 s9, 0
	v_readfirstlane_b32 s9, v1
	s_cselect_b32 s3, s3, -1
	s_cmp_lg_u32 s3, 0
	s_cselect_b32 s10, s11, s2
	s_cselect_b32 s7, s12, s7
	s_cmpk_gt_u32 s9, 0xe7f
	s_mov_b32 s12, -1
	s_cselect_b32 s2, -1, 0
	s_cmp_eq_u32 s6, 0
	s_cselect_b32 s2, s2, -1
	s_delay_alu instid0(SALU_CYCLE_1)
	s_cmp_lg_u32 s2, 0
	s_load_b128 s[0:3], s[0:1], 0x28
	s_cselect_b32 s6, s7, s4
	s_cselect_b32 s7, s10, s5
	s_mul_i32 s4, s6, 0xe80
	s_mul_hi_u32 s5, s7, 0xe80
	s_mul_i32 s9, s7, 0xe80
	s_add_i32 s5, s5, s4
	s_sub_u32 s4, s42, s9
	s_subb_u32 s5, s43, s5
	s_mov_b32 s9, 0
	s_cmp_lg_u64 s[4:5], 0
	s_cselect_b32 s4, -1, 0
	s_delay_alu instid0(SALU_CYCLE_1) | instskip(NEXT) | instid1(VALU_DEP_1)
	v_cndmask_b32_e64 v1, 0, 1, s4
	v_readfirstlane_b32 s4, v1
	s_delay_alu instid0(VALU_DEP_1)
	s_add_u32 s4, s7, s4
	s_addc_u32 s5, s6, 0
	s_waitcnt lgkmcnt(0)
	s_add_u32 s6, s2, s8
	s_addc_u32 s7, s3, 0
	s_add_u32 s10, s4, -1
	s_addc_u32 s11, s5, -1
	s_mul_i32 s29, s10, 0xfffff180
	v_cmp_ge_u64_e64 s33, s[6:7], s[10:11]
	s_delay_alu instid0(VALU_DEP_1)
	s_and_b32 vcc_lo, exec_lo, s33
	s_cbranch_vccz .LBB330_60
; %bb.1:
	s_mov_b32 s31, s9
	s_add_i32 s16, s29, s42
	s_lshl_b64 s[12:13], s[30:31], 2
	s_mov_b32 s17, exec_lo
	s_add_u32 s12, s14, s12
	s_addc_u32 s13, s15, s13
                                        ; implicit-def: $vgpr1
	v_cmpx_gt_u32_e64 s16, v0
	s_cbranch_execz .LBB330_3
; %bb.2:
	v_lshlrev_b32_e32 v1, 2, v0
	global_load_b32 v1, v1, s[12:13]
.LBB330_3:
	s_or_b32 exec_lo, exec_lo, s17
	v_or_b32_e32 v2, 0x80, v0
	s_delay_alu instid0(VALU_DEP_1)
	v_cmp_gt_u32_e32 vcc_lo, s16, v2
                                        ; implicit-def: $vgpr2
	s_and_saveexec_b32 s17, vcc_lo
	s_cbranch_execz .LBB330_5
; %bb.4:
	v_lshlrev_b32_e32 v2, 2, v0
	global_load_b32 v2, v2, s[12:13] offset:512
.LBB330_5:
	s_or_b32 exec_lo, exec_lo, s17
	v_or_b32_e32 v3, 0x100, v0
	s_delay_alu instid0(VALU_DEP_1)
	v_cmp_gt_u32_e32 vcc_lo, s16, v3
                                        ; implicit-def: $vgpr3
	s_and_saveexec_b32 s17, vcc_lo
	s_cbranch_execz .LBB330_7
; %bb.6:
	v_lshlrev_b32_e32 v3, 2, v0
	global_load_b32 v3, v3, s[12:13] offset:1024
.LBB330_7:
	s_or_b32 exec_lo, exec_lo, s17
	v_or_b32_e32 v4, 0x180, v0
	s_delay_alu instid0(VALU_DEP_1)
	v_cmp_gt_u32_e32 vcc_lo, s16, v4
                                        ; implicit-def: $vgpr4
	s_and_saveexec_b32 s17, vcc_lo
	s_cbranch_execz .LBB330_9
; %bb.8:
	v_lshlrev_b32_e32 v4, 2, v0
	global_load_b32 v4, v4, s[12:13] offset:1536
.LBB330_9:
	s_or_b32 exec_lo, exec_lo, s17
	v_or_b32_e32 v5, 0x200, v0
	s_delay_alu instid0(VALU_DEP_1)
	v_cmp_gt_u32_e32 vcc_lo, s16, v5
                                        ; implicit-def: $vgpr5
	s_and_saveexec_b32 s17, vcc_lo
	s_cbranch_execz .LBB330_11
; %bb.10:
	v_lshlrev_b32_e32 v5, 2, v0
	global_load_b32 v5, v5, s[12:13] offset:2048
.LBB330_11:
	s_or_b32 exec_lo, exec_lo, s17
	v_or_b32_e32 v6, 0x280, v0
	s_delay_alu instid0(VALU_DEP_1)
	v_cmp_gt_u32_e32 vcc_lo, s16, v6
                                        ; implicit-def: $vgpr6
	s_and_saveexec_b32 s17, vcc_lo
	s_cbranch_execz .LBB330_13
; %bb.12:
	v_lshlrev_b32_e32 v6, 2, v0
	global_load_b32 v6, v6, s[12:13] offset:2560
.LBB330_13:
	s_or_b32 exec_lo, exec_lo, s17
	v_or_b32_e32 v7, 0x300, v0
	s_delay_alu instid0(VALU_DEP_1)
	v_cmp_gt_u32_e32 vcc_lo, s16, v7
                                        ; implicit-def: $vgpr7
	s_and_saveexec_b32 s17, vcc_lo
	s_cbranch_execz .LBB330_15
; %bb.14:
	v_lshlrev_b32_e32 v7, 2, v0
	global_load_b32 v7, v7, s[12:13] offset:3072
.LBB330_15:
	s_or_b32 exec_lo, exec_lo, s17
	v_or_b32_e32 v8, 0x380, v0
	s_delay_alu instid0(VALU_DEP_1)
	v_cmp_gt_u32_e32 vcc_lo, s16, v8
                                        ; implicit-def: $vgpr8
	s_and_saveexec_b32 s17, vcc_lo
	s_cbranch_execz .LBB330_17
; %bb.16:
	v_lshlrev_b32_e32 v8, 2, v0
	global_load_b32 v8, v8, s[12:13] offset:3584
.LBB330_17:
	s_or_b32 exec_lo, exec_lo, s17
	v_or_b32_e32 v10, 0x400, v0
	s_mov_b32 s17, exec_lo
                                        ; implicit-def: $vgpr9
	s_delay_alu instid0(VALU_DEP_1)
	v_cmpx_gt_u32_e64 s16, v10
	s_cbranch_execz .LBB330_19
; %bb.18:
	v_lshlrev_b32_e32 v9, 2, v10
	global_load_b32 v9, v9, s[12:13]
.LBB330_19:
	s_or_b32 exec_lo, exec_lo, s17
	v_or_b32_e32 v11, 0x480, v0
	s_mov_b32 s17, exec_lo
                                        ; implicit-def: $vgpr10
	s_delay_alu instid0(VALU_DEP_1)
	v_cmpx_gt_u32_e64 s16, v11
	s_cbranch_execz .LBB330_21
; %bb.20:
	v_lshlrev_b32_e32 v10, 2, v11
	global_load_b32 v10, v10, s[12:13]
.LBB330_21:
	s_or_b32 exec_lo, exec_lo, s17
	v_or_b32_e32 v12, 0x500, v0
	s_mov_b32 s17, exec_lo
                                        ; implicit-def: $vgpr11
	s_delay_alu instid0(VALU_DEP_1)
	v_cmpx_gt_u32_e64 s16, v12
	s_cbranch_execz .LBB330_23
; %bb.22:
	v_lshlrev_b32_e32 v11, 2, v12
	global_load_b32 v11, v11, s[12:13]
.LBB330_23:
	s_or_b32 exec_lo, exec_lo, s17
	v_or_b32_e32 v13, 0x580, v0
	s_mov_b32 s17, exec_lo
                                        ; implicit-def: $vgpr12
	s_delay_alu instid0(VALU_DEP_1)
	v_cmpx_gt_u32_e64 s16, v13
	s_cbranch_execz .LBB330_25
; %bb.24:
	v_lshlrev_b32_e32 v12, 2, v13
	global_load_b32 v12, v12, s[12:13]
.LBB330_25:
	s_or_b32 exec_lo, exec_lo, s17
	v_or_b32_e32 v14, 0x600, v0
	s_mov_b32 s17, exec_lo
                                        ; implicit-def: $vgpr13
	s_delay_alu instid0(VALU_DEP_1)
	v_cmpx_gt_u32_e64 s16, v14
	s_cbranch_execz .LBB330_27
; %bb.26:
	v_lshlrev_b32_e32 v13, 2, v14
	global_load_b32 v13, v13, s[12:13]
.LBB330_27:
	s_or_b32 exec_lo, exec_lo, s17
	v_or_b32_e32 v15, 0x680, v0
	s_mov_b32 s17, exec_lo
                                        ; implicit-def: $vgpr14
	s_delay_alu instid0(VALU_DEP_1)
	v_cmpx_gt_u32_e64 s16, v15
	s_cbranch_execz .LBB330_29
; %bb.28:
	v_lshlrev_b32_e32 v14, 2, v15
	global_load_b32 v14, v14, s[12:13]
.LBB330_29:
	s_or_b32 exec_lo, exec_lo, s17
	v_or_b32_e32 v16, 0x700, v0
	s_mov_b32 s17, exec_lo
                                        ; implicit-def: $vgpr15
	s_delay_alu instid0(VALU_DEP_1)
	v_cmpx_gt_u32_e64 s16, v16
	s_cbranch_execz .LBB330_31
; %bb.30:
	v_lshlrev_b32_e32 v15, 2, v16
	global_load_b32 v15, v15, s[12:13]
.LBB330_31:
	s_or_b32 exec_lo, exec_lo, s17
	v_or_b32_e32 v17, 0x780, v0
	s_mov_b32 s17, exec_lo
                                        ; implicit-def: $vgpr16
	s_delay_alu instid0(VALU_DEP_1)
	v_cmpx_gt_u32_e64 s16, v17
	s_cbranch_execz .LBB330_33
; %bb.32:
	v_lshlrev_b32_e32 v16, 2, v17
	global_load_b32 v16, v16, s[12:13]
.LBB330_33:
	s_or_b32 exec_lo, exec_lo, s17
	v_or_b32_e32 v18, 0x800, v0
	s_mov_b32 s17, exec_lo
                                        ; implicit-def: $vgpr17
	s_delay_alu instid0(VALU_DEP_1)
	v_cmpx_gt_u32_e64 s16, v18
	s_cbranch_execz .LBB330_35
; %bb.34:
	v_lshlrev_b32_e32 v17, 2, v18
	global_load_b32 v17, v17, s[12:13]
.LBB330_35:
	s_or_b32 exec_lo, exec_lo, s17
	v_or_b32_e32 v19, 0x880, v0
	s_mov_b32 s17, exec_lo
                                        ; implicit-def: $vgpr18
	s_delay_alu instid0(VALU_DEP_1)
	v_cmpx_gt_u32_e64 s16, v19
	s_cbranch_execz .LBB330_37
; %bb.36:
	v_lshlrev_b32_e32 v18, 2, v19
	global_load_b32 v18, v18, s[12:13]
.LBB330_37:
	s_or_b32 exec_lo, exec_lo, s17
	v_or_b32_e32 v20, 0x900, v0
	s_mov_b32 s17, exec_lo
                                        ; implicit-def: $vgpr19
	s_delay_alu instid0(VALU_DEP_1)
	v_cmpx_gt_u32_e64 s16, v20
	s_cbranch_execz .LBB330_39
; %bb.38:
	v_lshlrev_b32_e32 v19, 2, v20
	global_load_b32 v19, v19, s[12:13]
.LBB330_39:
	s_or_b32 exec_lo, exec_lo, s17
	v_or_b32_e32 v21, 0x980, v0
	s_mov_b32 s17, exec_lo
                                        ; implicit-def: $vgpr20
	s_delay_alu instid0(VALU_DEP_1)
	v_cmpx_gt_u32_e64 s16, v21
	s_cbranch_execz .LBB330_41
; %bb.40:
	v_lshlrev_b32_e32 v20, 2, v21
	global_load_b32 v20, v20, s[12:13]
.LBB330_41:
	s_or_b32 exec_lo, exec_lo, s17
	v_or_b32_e32 v22, 0xa00, v0
	s_mov_b32 s17, exec_lo
                                        ; implicit-def: $vgpr21
	s_delay_alu instid0(VALU_DEP_1)
	v_cmpx_gt_u32_e64 s16, v22
	s_cbranch_execz .LBB330_43
; %bb.42:
	v_lshlrev_b32_e32 v21, 2, v22
	global_load_b32 v21, v21, s[12:13]
.LBB330_43:
	s_or_b32 exec_lo, exec_lo, s17
	v_or_b32_e32 v23, 0xa80, v0
	s_mov_b32 s17, exec_lo
                                        ; implicit-def: $vgpr22
	s_delay_alu instid0(VALU_DEP_1)
	v_cmpx_gt_u32_e64 s16, v23
	s_cbranch_execz .LBB330_45
; %bb.44:
	v_lshlrev_b32_e32 v22, 2, v23
	global_load_b32 v22, v22, s[12:13]
.LBB330_45:
	s_or_b32 exec_lo, exec_lo, s17
	v_or_b32_e32 v24, 0xb00, v0
	s_mov_b32 s17, exec_lo
                                        ; implicit-def: $vgpr23
	s_delay_alu instid0(VALU_DEP_1)
	v_cmpx_gt_u32_e64 s16, v24
	s_cbranch_execz .LBB330_47
; %bb.46:
	v_lshlrev_b32_e32 v23, 2, v24
	global_load_b32 v23, v23, s[12:13]
.LBB330_47:
	s_or_b32 exec_lo, exec_lo, s17
	v_or_b32_e32 v25, 0xb80, v0
	s_mov_b32 s17, exec_lo
                                        ; implicit-def: $vgpr24
	s_delay_alu instid0(VALU_DEP_1)
	v_cmpx_gt_u32_e64 s16, v25
	s_cbranch_execz .LBB330_49
; %bb.48:
	v_lshlrev_b32_e32 v24, 2, v25
	global_load_b32 v24, v24, s[12:13]
.LBB330_49:
	s_or_b32 exec_lo, exec_lo, s17
	v_or_b32_e32 v26, 0xc00, v0
	s_mov_b32 s17, exec_lo
                                        ; implicit-def: $vgpr25
	s_delay_alu instid0(VALU_DEP_1)
	v_cmpx_gt_u32_e64 s16, v26
	s_cbranch_execz .LBB330_51
; %bb.50:
	v_lshlrev_b32_e32 v25, 2, v26
	global_load_b32 v25, v25, s[12:13]
.LBB330_51:
	s_or_b32 exec_lo, exec_lo, s17
	v_or_b32_e32 v27, 0xc80, v0
	s_mov_b32 s17, exec_lo
                                        ; implicit-def: $vgpr26
	s_delay_alu instid0(VALU_DEP_1)
	v_cmpx_gt_u32_e64 s16, v27
	s_cbranch_execz .LBB330_53
; %bb.52:
	v_lshlrev_b32_e32 v26, 2, v27
	global_load_b32 v26, v26, s[12:13]
.LBB330_53:
	s_or_b32 exec_lo, exec_lo, s17
	v_or_b32_e32 v28, 0xd00, v0
	s_mov_b32 s17, exec_lo
                                        ; implicit-def: $vgpr27
	s_delay_alu instid0(VALU_DEP_1)
	v_cmpx_gt_u32_e64 s16, v28
	s_cbranch_execz .LBB330_55
; %bb.54:
	v_lshlrev_b32_e32 v27, 2, v28
	global_load_b32 v27, v27, s[12:13]
.LBB330_55:
	s_or_b32 exec_lo, exec_lo, s17
	v_or_b32_e32 v29, 0xd80, v0
	s_mov_b32 s17, exec_lo
                                        ; implicit-def: $vgpr28
	s_delay_alu instid0(VALU_DEP_1)
	v_cmpx_gt_u32_e64 s16, v29
	s_cbranch_execz .LBB330_57
; %bb.56:
	v_lshlrev_b32_e32 v28, 2, v29
	global_load_b32 v28, v28, s[12:13]
.LBB330_57:
	s_or_b32 exec_lo, exec_lo, s17
	v_or_b32_e32 v30, 0xe00, v0
                                        ; implicit-def: $vgpr29
	s_delay_alu instid0(VALU_DEP_1)
	v_cmp_gt_u32_e32 vcc_lo, s16, v30
	s_and_saveexec_b32 s16, vcc_lo
	s_cbranch_execz .LBB330_59
; %bb.58:
	v_lshlrev_b32_e32 v29, 2, v30
	global_load_b32 v29, v29, s[12:13]
.LBB330_59:
	s_or_b32 exec_lo, exec_lo, s16
	v_lshlrev_b32_e32 v30, 2, v0
	s_mov_b32 s12, 0
	s_waitcnt vmcnt(0)
	ds_store_2addr_stride64_b32 v30, v1, v2 offset1:2
	ds_store_2addr_stride64_b32 v30, v3, v4 offset0:4 offset1:6
	ds_store_2addr_stride64_b32 v30, v5, v6 offset0:8 offset1:10
	;; [unrolled: 1-line block ×13, first 2 shown]
	ds_store_b32 v30, v29 offset:14336
	s_waitcnt lgkmcnt(0)
	s_barrier
.LBB330_60:
	v_lshlrev_b32_e32 v31, 2, v0
	s_and_b32 vcc_lo, exec_lo, s12
	s_cbranch_vccz .LBB330_62
; %bb.61:
	s_mov_b32 s31, 0
	s_delay_alu instid0(SALU_CYCLE_1) | instskip(NEXT) | instid1(SALU_CYCLE_1)
	s_lshl_b64 s[12:13], s[30:31], 2
	s_add_u32 s12, s14, s12
	s_addc_u32 s13, s15, s13
	v_add_co_u32 v7, s14, s12, v31
	s_delay_alu instid0(VALU_DEP_1)
	v_add_co_ci_u32_e64 v8, null, s13, 0, s14
	s_clause 0x6
	global_load_b32 v9, v31, s[12:13] offset:512
	global_load_b32 v10, v31, s[12:13] offset:1024
	;; [unrolled: 1-line block ×7, first 2 shown]
	v_add_co_u32 v1, vcc_lo, v7, 0x2000
	v_add_co_ci_u32_e32 v2, vcc_lo, 0, v8, vcc_lo
	v_add_co_u32 v3, vcc_lo, 0x1000, v7
	v_add_co_ci_u32_e32 v4, vcc_lo, 0, v8, vcc_lo
	;; [unrolled: 2-line block ×3, first 2 shown]
	s_clause 0xa
	global_load_b32 v16, v[1:2], off offset:-4096
	global_load_b32 v17, v31, s[12:13]
	global_load_b32 v18, v[1:2], off
	global_load_b32 v19, v[3:4], off offset:512
	global_load_b32 v20, v[3:4], off offset:1024
	;; [unrolled: 1-line block ×8, first 2 shown]
	v_add_co_u32 v1, vcc_lo, 0x3000, v7
	v_add_co_ci_u32_e32 v2, vcc_lo, 0, v8, vcc_lo
	s_clause 0xa
	global_load_b32 v7, v[5:6], off offset:1024
	global_load_b32 v8, v[5:6], off offset:1536
	;; [unrolled: 1-line block ×6, first 2 shown]
	global_load_b32 v6, v[1:2], off
	global_load_b32 v28, v[1:2], off offset:512
	global_load_b32 v29, v[1:2], off offset:1024
	;; [unrolled: 1-line block ×4, first 2 shown]
	s_waitcnt vmcnt(20)
	ds_store_2addr_stride64_b32 v31, v17, v9 offset1:2
	ds_store_2addr_stride64_b32 v31, v10, v11 offset0:4 offset1:6
	ds_store_2addr_stride64_b32 v31, v12, v13 offset0:8 offset1:10
	;; [unrolled: 1-line block ×3, first 2 shown]
	s_waitcnt vmcnt(18)
	ds_store_2addr_stride64_b32 v31, v16, v19 offset0:16 offset1:18
	s_waitcnt vmcnt(16)
	ds_store_2addr_stride64_b32 v31, v20, v21 offset0:20 offset1:22
	;; [unrolled: 2-line block ×10, first 2 shown]
	s_waitcnt vmcnt(0)
	ds_store_b32 v31, v1 offset:14336
	s_waitcnt lgkmcnt(0)
	s_barrier
.LBB330_62:
	v_mul_u32_u24_e32 v1, 29, v0
	buffer_gl0_inv
	s_cmp_eq_u64 s[6:7], 0
	v_lshlrev_b32_e32 v27, 2, v1
	ds_load_b32 v29, v27 offset:112
	ds_load_2addr_b32 v[1:2], v27 offset0:26 offset1:27
	ds_load_2addr_b32 v[3:4], v27 offset0:24 offset1:25
	ds_load_2addr_b32 v[5:6], v27 offset1:1
	ds_load_2addr_b32 v[7:8], v27 offset0:2 offset1:3
	ds_load_2addr_b32 v[9:10], v27 offset0:4 offset1:5
	ds_load_2addr_b32 v[11:12], v27 offset0:6 offset1:7
	ds_load_2addr_b32 v[13:14], v27 offset0:8 offset1:9
	ds_load_2addr_b32 v[15:16], v27 offset0:10 offset1:11
	ds_load_2addr_b32 v[17:18], v27 offset0:12 offset1:13
	ds_load_2addr_b32 v[19:20], v27 offset0:14 offset1:15
	ds_load_2addr_b32 v[21:22], v27 offset0:16 offset1:17
	ds_load_2addr_b32 v[23:24], v27 offset0:18 offset1:19
	ds_load_2addr_b32 v[25:26], v27 offset0:20 offset1:21
	ds_load_2addr_b32 v[27:28], v27 offset0:22 offset1:23
	s_waitcnt lgkmcnt(0)
	s_barrier
	buffer_gl0_inv
	s_cbranch_scc1 .LBB330_67
; %bb.63:
	s_lshl_b64 s[2:3], s[2:3], 2
	s_delay_alu instid0(SALU_CYCLE_1) | instskip(SKIP_2) | instid1(SALU_CYCLE_1)
	s_add_u32 s2, s0, s2
	s_addc_u32 s3, s1, s3
	s_lshl_b64 s[0:1], s[8:9], 2
	s_add_u32 s0, s2, s0
	s_addc_u32 s1, s3, s1
	s_add_u32 s0, s0, -4
	s_addc_u32 s1, s1, -1
	s_cmp_eq_u64 s[6:7], s[10:11]
	s_load_b32 s0, s[0:1], 0x0
	s_cbranch_scc1 .LBB330_68
; %bb.64:
	s_waitcnt lgkmcnt(0)
	v_mov_b32_e32 v30, s0
	s_mov_b32 s1, 0
	s_mov_b32 s2, exec_lo
	ds_store_b32 v31, v29
	s_waitcnt lgkmcnt(0)
	s_barrier
	buffer_gl0_inv
	v_cmpx_ne_u32_e32 0, v0
	s_cbranch_execz .LBB330_66
; %bb.65:
	v_add_nc_u32_e32 v30, -4, v31
	ds_load_b32 v30, v30
.LBB330_66:
	s_or_b32 exec_lo, exec_lo, s2
	s_waitcnt lgkmcnt(0)
	v_sub_nc_u32_e32 v32, v5, v30
	s_branch .LBB330_69
.LBB330_67:
                                        ; implicit-def: $vgpr32
                                        ; implicit-def: $vgpr33
                                        ; implicit-def: $vgpr34
                                        ; implicit-def: $vgpr35
                                        ; implicit-def: $vgpr36
                                        ; implicit-def: $vgpr37
                                        ; implicit-def: $vgpr38
                                        ; implicit-def: $vgpr39
                                        ; implicit-def: $vgpr40
                                        ; implicit-def: $vgpr41
                                        ; implicit-def: $vgpr42
                                        ; implicit-def: $vgpr44
                                        ; implicit-def: $vgpr45
                                        ; implicit-def: $vgpr48
                                        ; implicit-def: $vgpr49
                                        ; implicit-def: $vgpr52
                                        ; implicit-def: $vgpr53
                                        ; implicit-def: $vgpr54
                                        ; implicit-def: $vgpr55
                                        ; implicit-def: $vgpr56
                                        ; implicit-def: $vgpr57
                                        ; implicit-def: $vgpr58
                                        ; implicit-def: $vgpr59
                                        ; implicit-def: $vgpr51
                                        ; implicit-def: $vgpr43
                                        ; implicit-def: $vgpr46
                                        ; implicit-def: $vgpr47
                                        ; implicit-def: $vgpr50
                                        ; implicit-def: $vgpr30
	s_branch .LBB330_74
.LBB330_68:
	s_mov_b32 s1, -1
                                        ; implicit-def: $vgpr32
.LBB330_69:
	v_dual_mov_b32 v33, v5 :: v_dual_mov_b32 v34, v6
	v_dual_mov_b32 v35, v7 :: v_dual_mov_b32 v36, v8
	;; [unrolled: 1-line block ×14, first 2 shown]
	s_and_b32 vcc_lo, exec_lo, s1
	s_cbranch_vccz .LBB330_73
; %bb.70:
	v_mul_u32_u24_e32 v32, 29, v0
	s_waitcnt lgkmcnt(0)
	v_mov_b32_e32 v33, s0
	s_mov_b32 s0, exec_lo
	ds_store_b32 v31, v29
	s_waitcnt lgkmcnt(0)
	s_barrier
	buffer_gl0_inv
	v_cmpx_ne_u32_e32 0, v0
	s_cbranch_execz .LBB330_72
; %bb.71:
	v_add_nc_u32_e32 v30, -4, v31
	ds_load_b32 v33, v30
.LBB330_72:
	s_or_b32 exec_lo, exec_lo, s0
	v_add_nc_u32_e32 v30, 28, v32
	s_mul_i32 s0, s6, 0xfffff180
	v_add_nc_u32_e32 v34, 27, v32
	s_add_i32 s0, s0, s42
	v_add_nc_u32_e32 v36, 24, v32
	v_cmp_gt_u32_e32 vcc_lo, s0, v30
	v_add_nc_u32_e32 v60, 2, v32
	v_add_nc_u32_e32 v61, 1, v32
	v_dual_cndmask_b32 v30, 0, v2 :: v_dual_add_nc_u32 v35, 26, v32
	v_cmp_gt_u32_e32 vcc_lo, s0, v34
	v_add_nc_u32_e32 v34, 25, v32
	v_cndmask_b32_e32 v50, 0, v1, vcc_lo
	s_delay_alu instid0(VALU_DEP_4) | instskip(SKIP_1) | instid1(VALU_DEP_4)
	v_cmp_gt_u32_e32 vcc_lo, s0, v35
	v_cndmask_b32_e32 v47, 0, v4, vcc_lo
	v_cmp_gt_u32_e32 vcc_lo, s0, v34
	v_add_nc_u32_e32 v35, 23, v32
	v_add_nc_u32_e32 v34, 22, v32
	v_cndmask_b32_e32 v46, 0, v3, vcc_lo
	v_cmp_gt_u32_e32 vcc_lo, s0, v36
	v_add_nc_u32_e32 v36, 20, v32
	v_cndmask_b32_e32 v43, 0, v28, vcc_lo
	v_cmp_gt_u32_e32 vcc_lo, s0, v35
	;; [unrolled: 3-line block ×3, first 2 shown]
	v_dual_cndmask_b32 v59, 0, v26 :: v_dual_add_nc_u32 v34, 19, v32
	s_delay_alu instid0(VALU_DEP_4)
	v_cmp_gt_u32_e32 vcc_lo, s0, v35
	v_dual_cndmask_b32 v58, 0, v25 :: v_dual_add_nc_u32 v35, 18, v32
	v_cmp_gt_u32_e32 vcc_lo, s0, v36
	v_add_nc_u32_e32 v36, 16, v32
	v_cndmask_b32_e32 v57, 0, v24, vcc_lo
	v_cmp_gt_u32_e32 vcc_lo, s0, v34
	v_add_nc_u32_e32 v34, 17, v32
	v_cndmask_b32_e32 v56, 0, v23, vcc_lo
	;; [unrolled: 3-line block ×5, first 2 shown]
	v_cmp_gt_u32_e32 vcc_lo, s0, v35
	v_dual_cndmask_b32 v52, 0, v19 :: v_dual_add_nc_u32 v35, 13, v32
	v_cmp_gt_u32_e32 vcc_lo, s0, v34
	v_dual_cndmask_b32 v49, 0, v18 :: v_dual_add_nc_u32 v34, 11, v32
	s_delay_alu instid0(VALU_DEP_3)
	v_cmp_gt_u32_e32 vcc_lo, s0, v35
	v_dual_cndmask_b32 v48, 0, v17 :: v_dual_add_nc_u32 v35, 10, v32
	v_cmp_gt_u32_e32 vcc_lo, s0, v36
	v_add_nc_u32_e32 v36, 8, v32
	v_cndmask_b32_e32 v45, 0, v16, vcc_lo
	v_cmp_gt_u32_e32 vcc_lo, s0, v34
	v_add_nc_u32_e32 v34, 9, v32
	v_cndmask_b32_e32 v44, 0, v15, vcc_lo
	v_cmp_gt_u32_e32 vcc_lo, s0, v35
	v_dual_cndmask_b32 v42, 0, v14 :: v_dual_add_nc_u32 v35, 7, v32
	s_delay_alu instid0(VALU_DEP_4)
	v_cmp_gt_u32_e32 vcc_lo, s0, v34
	v_dual_cndmask_b32 v41, 0, v13 :: v_dual_add_nc_u32 v34, 6, v32
	v_cmp_gt_u32_e32 vcc_lo, s0, v36
	v_add_nc_u32_e32 v36, 4, v32
	v_cndmask_b32_e32 v40, 0, v12, vcc_lo
	v_cmp_gt_u32_e32 vcc_lo, s0, v35
	v_add_nc_u32_e32 v35, 5, v32
	v_cndmask_b32_e32 v39, 0, v11, vcc_lo
	;; [unrolled: 3-line block ×3, first 2 shown]
	v_cmp_gt_u32_e32 vcc_lo, s0, v35
	v_cndmask_b32_e32 v37, 0, v9, vcc_lo
	v_cmp_gt_u32_e32 vcc_lo, s0, v36
	v_cndmask_b32_e32 v36, 0, v8, vcc_lo
	;; [unrolled: 2-line block ×3, first 2 shown]
	v_cmp_gt_u32_e32 vcc_lo, s0, v32
	s_waitcnt lgkmcnt(0)
	v_cndmask_b32_e32 v32, 0, v33, vcc_lo
	v_cmp_gt_u32_e32 vcc_lo, s0, v60
	s_delay_alu instid0(VALU_DEP_2)
	v_sub_nc_u32_e32 v32, v5, v32
	v_cndmask_b32_e32 v34, 0, v6, vcc_lo
	v_cmp_gt_u32_e32 vcc_lo, s0, v61
	v_cndmask_b32_e32 v33, 0, v5, vcc_lo
.LBB330_73:
	s_waitcnt lgkmcnt(0)
	s_cbranch_execnz .LBB330_84
.LBB330_74:
	v_cmp_ne_u32_e32 vcc_lo, 0, v0
	s_cmp_eq_u64 s[4:5], 1
	s_cbranch_scc1 .LBB330_78
; %bb.75:
	v_mov_b32_e32 v32, v5
	s_mov_b32 s0, 0
	ds_store_b32 v31, v29
	s_waitcnt lgkmcnt(0)
	s_barrier
	buffer_gl0_inv
	s_and_saveexec_b32 s1, vcc_lo
	s_cbranch_execz .LBB330_77
; %bb.76:
	v_add_nc_u32_e32 v30, -4, v31
	ds_load_b32 v30, v30
	s_waitcnt lgkmcnt(0)
	v_sub_nc_u32_e32 v32, v5, v30
.LBB330_77:
	s_or_b32 exec_lo, exec_lo, s1
	s_branch .LBB330_79
.LBB330_78:
	s_mov_b32 s0, -1
                                        ; implicit-def: $vgpr32
.LBB330_79:
	v_dual_mov_b32 v34, v6 :: v_dual_mov_b32 v35, v7
	v_dual_mov_b32 v36, v8 :: v_dual_mov_b32 v37, v9
	;; [unrolled: 1-line block ×13, first 2 shown]
	v_mov_b32_e32 v30, v2
	s_and_not1_b32 vcc_lo, exec_lo, s0
	s_cbranch_vccnz .LBB330_83
; %bb.80:
	v_mad_u32_u24 v30, v0, 29, 28
	v_mad_u32_u24 v32, v0, 29, 27
	;; [unrolled: 1-line block ×4, first 2 shown]
	v_mul_u32_u24_e32 v33, 29, v0
	v_cmp_gt_u32_e32 vcc_lo, s42, v30
	v_mad_u32_u24 v30, v0, 29, 25
	v_cmp_gt_u32_e64 s0, s42, v32
	v_mad_u32_u24 v32, v0, 29, 24
	v_cmp_gt_u32_e64 s1, s42, v34
	;; [unrolled: 2-line block ×5, first 2 shown]
	v_cmp_gt_u32_e64 s5, s42, v35
	v_cmp_gt_u32_e64 s6, s42, v30
	v_mad_u32_u24 v30, v0, 29, 18
	v_cmp_gt_u32_e64 s7, s42, v32
	v_mad_u32_u24 v32, v0, 29, 16
	v_mad_u32_u24 v34, v0, 29, 19
	;; [unrolled: 1-line block ×3, first 2 shown]
	v_cmp_gt_u32_e64 s9, s42, v30
	v_mad_u32_u24 v30, v0, 29, 15
	v_cmp_gt_u32_e64 s11, s42, v32
	v_mad_u32_u24 v32, v0, 29, 13
	v_cmp_gt_u32_e64 s8, s42, v34
	v_cmp_gt_u32_e64 s10, s42, v35
	;; [unrolled: 1-line block ×3, first 2 shown]
	v_mad_u32_u24 v30, v0, 29, 11
	v_mad_u32_u24 v34, v0, 29, 14
	;; [unrolled: 1-line block ×3, first 2 shown]
	v_cmp_gt_u32_e64 s14, s42, v32
	v_mad_u32_u24 v32, v0, 29, 10
	v_cmp_gt_u32_e64 s16, s42, v30
	v_mad_u32_u24 v30, v0, 29, 8
	v_cmp_gt_u32_e64 s13, s42, v34
	v_cmp_gt_u32_e64 s15, s42, v35
	v_mad_u32_u24 v34, v0, 29, 9
	v_mad_u32_u24 v35, v0, 29, 7
	v_cmp_gt_u32_e64 s17, s42, v32
	v_mad_u32_u24 v32, v0, 29, 6
	v_cmp_gt_u32_e64 s19, s42, v30
	;; [unrolled: 2-line block ×3, first 2 shown]
	v_cmp_gt_u32_e64 s20, s42, v35
	v_mad_u32_u24 v34, v0, 29, 4
	v_cmp_gt_u32_e64 s21, s42, v32
	v_mad_u32_u24 v32, v0, 29, 3
	v_mad_u32_u24 v35, v0, 29, 2
	v_cmp_gt_u32_e64 s22, s42, v30
	v_mad_u32_u24 v30, v0, 29, 1
	v_cmp_ne_u32_e64 s27, 0, v0
	v_cmp_gt_u32_e64 s28, s42, v33
	v_cmp_gt_u32_e64 s23, s42, v34
	;; [unrolled: 1-line block ×5, first 2 shown]
	v_mov_b32_e32 v32, v5
	s_and_b32 s28, s27, s28
	ds_store_b32 v31, v29
	s_waitcnt lgkmcnt(0)
	s_barrier
	buffer_gl0_inv
	s_and_saveexec_b32 s27, s28
	s_cbranch_execz .LBB330_82
; %bb.81:
	v_add_nc_u32_e32 v30, -4, v31
	ds_load_b32 v30, v30
	s_waitcnt lgkmcnt(0)
	v_sub_nc_u32_e32 v32, v5, v30
.LBB330_82:
	s_or_b32 exec_lo, exec_lo, s27
	v_cndmask_b32_e32 v30, 0, v2, vcc_lo
	v_cndmask_b32_e64 v50, 0, v1, s0
	v_cndmask_b32_e64 v47, 0, v4, s1
	;; [unrolled: 1-line block ×27, first 2 shown]
.LBB330_83:
	s_delay_alu instid0(VALU_DEP_1)
	v_mov_b32_e32 v33, v5
.LBB330_84:
	s_delay_alu instid0(VALU_DEP_1) | instskip(NEXT) | instid1(VALU_DEP_4)
	v_sub_nc_u32_e32 v33, v6, v33
	v_sub_nc_u32_e32 v34, v7, v34
	;; [unrolled: 1-line block ×28, first 2 shown]
	v_mul_u32_u24_e32 v61, 0x74, v0
	v_mul_i32_i24_e32 v62, 0xffffff90, v0
	s_add_u32 s1, s40, s34
	s_addc_u32 s0, s41, s35
	s_and_b32 vcc_lo, exec_lo, s33
	s_barrier
	buffer_gl0_inv
	s_cbranch_vccz .LBB330_142
; %bb.85:
	v_mad_u32_u24 v1, 0x74, v0, v62
	ds_store_2addr_b32 v61, v32, v33 offset1:1
	ds_store_2addr_b32 v61, v34, v35 offset0:2 offset1:3
	ds_store_2addr_b32 v61, v36, v37 offset0:4 offset1:5
	ds_store_2addr_b32 v61, v38, v39 offset0:6 offset1:7
	ds_store_2addr_b32 v61, v40, v41 offset0:8 offset1:9
	ds_store_2addr_b32 v61, v42, v44 offset0:10 offset1:11
	ds_store_2addr_b32 v61, v45, v48 offset0:12 offset1:13
	ds_store_2addr_b32 v61, v49, v52 offset0:14 offset1:15
	ds_store_2addr_b32 v61, v53, v54 offset0:16 offset1:17
	ds_store_2addr_b32 v61, v55, v56 offset0:18 offset1:19
	ds_store_2addr_b32 v61, v57, v58 offset0:20 offset1:21
	ds_store_2addr_b32 v61, v59, v60 offset0:22 offset1:23
	ds_store_2addr_b32 v61, v43, v46 offset0:24 offset1:25
	ds_store_2addr_b32 v61, v47, v50 offset0:26 offset1:27
	ds_store_b32 v61, v51 offset:112
	s_waitcnt lgkmcnt(0)
	s_barrier
	buffer_gl0_inv
	ds_load_2addr_stride64_b32 v[29:30], v1 offset0:2 offset1:4
	ds_load_2addr_stride64_b32 v[27:28], v1 offset0:6 offset1:8
	;; [unrolled: 1-line block ×14, first 2 shown]
	s_mov_b32 s31, 0
	s_add_i32 s29, s29, s42
	s_lshl_b64 s[2:3], s[30:31], 2
	s_delay_alu instid0(SALU_CYCLE_1) | instskip(SKIP_2) | instid1(VALU_DEP_1)
	s_add_u32 s2, s1, s2
	s_addc_u32 s3, s0, s3
	v_add_co_u32 v3, s2, s2, v31
	v_add_co_ci_u32_e64 v4, null, s3, 0, s2
	s_mov_b32 s2, exec_lo
	v_cmpx_gt_u32_e64 s29, v0
	s_cbranch_execz .LBB330_87
; %bb.86:
	v_add_nc_u32_e32 v63, v61, v62
	ds_load_b32 v63, v63
	s_waitcnt lgkmcnt(0)
	global_store_b32 v[3:4], v63, off
.LBB330_87:
	s_or_b32 exec_lo, exec_lo, s2
	v_or_b32_e32 v63, 0x80, v0
	s_mov_b32 s2, exec_lo
	s_delay_alu instid0(VALU_DEP_1)
	v_cmpx_gt_u32_e64 s29, v63
	s_cbranch_execz .LBB330_89
; %bb.88:
	s_waitcnt lgkmcnt(13)
	global_store_b32 v[3:4], v29, off offset:512
.LBB330_89:
	s_or_b32 exec_lo, exec_lo, s2
	s_waitcnt lgkmcnt(13)
	v_or_b32_e32 v29, 0x100, v0
	s_mov_b32 s2, exec_lo
	s_delay_alu instid0(VALU_DEP_1)
	v_cmpx_gt_u32_e64 s29, v29
	s_cbranch_execz .LBB330_91
; %bb.90:
	global_store_b32 v[3:4], v30, off offset:1024
.LBB330_91:
	s_or_b32 exec_lo, exec_lo, s2
	v_or_b32_e32 v29, 0x180, v0
	s_mov_b32 s2, exec_lo
	s_delay_alu instid0(VALU_DEP_1)
	v_cmpx_gt_u32_e64 s29, v29
	s_cbranch_execz .LBB330_93
; %bb.92:
	s_waitcnt lgkmcnt(12)
	global_store_b32 v[3:4], v27, off offset:1536
.LBB330_93:
	s_or_b32 exec_lo, exec_lo, s2
	s_waitcnt lgkmcnt(12)
	v_or_b32_e32 v27, 0x200, v0
	s_mov_b32 s2, exec_lo
	s_delay_alu instid0(VALU_DEP_1)
	v_cmpx_gt_u32_e64 s29, v27
	s_cbranch_execz .LBB330_95
; %bb.94:
	global_store_b32 v[3:4], v28, off offset:2048
.LBB330_95:
	;; [unrolled: 20-line block ×3, first 2 shown]
	s_or_b32 exec_lo, exec_lo, s2
	v_or_b32_e32 v25, 0x380, v0
	s_mov_b32 s2, exec_lo
	s_delay_alu instid0(VALU_DEP_1)
	v_cmpx_gt_u32_e64 s29, v25
	s_cbranch_execz .LBB330_101
; %bb.100:
	s_waitcnt lgkmcnt(10)
	global_store_b32 v[3:4], v23, off offset:3584
.LBB330_101:
	s_or_b32 exec_lo, exec_lo, s2
	s_waitcnt lgkmcnt(10)
	v_or_b32_e32 v23, 0x400, v0
	s_mov_b32 s2, exec_lo
	s_delay_alu instid0(VALU_DEP_1)
	v_cmpx_gt_u32_e64 s29, v23
	s_cbranch_execz .LBB330_103
; %bb.102:
	v_add_co_u32 v25, vcc_lo, 0x1000, v3
	v_add_co_ci_u32_e32 v26, vcc_lo, 0, v4, vcc_lo
	global_store_b32 v[25:26], v24, off
.LBB330_103:
	s_or_b32 exec_lo, exec_lo, s2
	v_or_b32_e32 v23, 0x480, v0
	s_mov_b32 s2, exec_lo
	s_delay_alu instid0(VALU_DEP_1)
	v_cmpx_gt_u32_e64 s29, v23
	s_cbranch_execz .LBB330_105
; %bb.104:
	v_add_co_u32 v23, vcc_lo, 0x1000, v3
	v_add_co_ci_u32_e32 v24, vcc_lo, 0, v4, vcc_lo
	s_waitcnt lgkmcnt(9)
	global_store_b32 v[23:24], v21, off offset:512
.LBB330_105:
	s_or_b32 exec_lo, exec_lo, s2
	s_waitcnt lgkmcnt(9)
	v_or_b32_e32 v21, 0x500, v0
	s_mov_b32 s2, exec_lo
	s_delay_alu instid0(VALU_DEP_1)
	v_cmpx_gt_u32_e64 s29, v21
	s_cbranch_execz .LBB330_107
; %bb.106:
	v_add_co_u32 v23, vcc_lo, 0x1000, v3
	v_add_co_ci_u32_e32 v24, vcc_lo, 0, v4, vcc_lo
	global_store_b32 v[23:24], v22, off offset:1024
.LBB330_107:
	s_or_b32 exec_lo, exec_lo, s2
	v_or_b32_e32 v21, 0x580, v0
	s_mov_b32 s2, exec_lo
	s_delay_alu instid0(VALU_DEP_1)
	v_cmpx_gt_u32_e64 s29, v21
	s_cbranch_execz .LBB330_109
; %bb.108:
	v_add_co_u32 v21, vcc_lo, 0x1000, v3
	v_add_co_ci_u32_e32 v22, vcc_lo, 0, v4, vcc_lo
	s_waitcnt lgkmcnt(8)
	global_store_b32 v[21:22], v19, off offset:1536
.LBB330_109:
	s_or_b32 exec_lo, exec_lo, s2
	s_waitcnt lgkmcnt(8)
	v_or_b32_e32 v19, 0x600, v0
	s_mov_b32 s2, exec_lo
	s_delay_alu instid0(VALU_DEP_1)
	v_cmpx_gt_u32_e64 s29, v19
	s_cbranch_execz .LBB330_111
; %bb.110:
	v_add_co_u32 v21, vcc_lo, 0x1000, v3
	v_add_co_ci_u32_e32 v22, vcc_lo, 0, v4, vcc_lo
	global_store_b32 v[21:22], v20, off offset:2048
.LBB330_111:
	s_or_b32 exec_lo, exec_lo, s2
	v_or_b32_e32 v19, 0x680, v0
	s_mov_b32 s2, exec_lo
	s_delay_alu instid0(VALU_DEP_1)
	v_cmpx_gt_u32_e64 s29, v19
	s_cbranch_execz .LBB330_113
; %bb.112:
	v_add_co_u32 v19, vcc_lo, 0x1000, v3
	v_add_co_ci_u32_e32 v20, vcc_lo, 0, v4, vcc_lo
	s_waitcnt lgkmcnt(7)
	global_store_b32 v[19:20], v17, off offset:2560
.LBB330_113:
	s_or_b32 exec_lo, exec_lo, s2
	s_waitcnt lgkmcnt(7)
	v_or_b32_e32 v17, 0x700, v0
	s_mov_b32 s2, exec_lo
	s_delay_alu instid0(VALU_DEP_1)
	v_cmpx_gt_u32_e64 s29, v17
	s_cbranch_execz .LBB330_115
; %bb.114:
	v_add_co_u32 v19, vcc_lo, 0x1000, v3
	v_add_co_ci_u32_e32 v20, vcc_lo, 0, v4, vcc_lo
	global_store_b32 v[19:20], v18, off offset:3072
.LBB330_115:
	s_or_b32 exec_lo, exec_lo, s2
	v_or_b32_e32 v17, 0x780, v0
	s_mov_b32 s2, exec_lo
	s_delay_alu instid0(VALU_DEP_1)
	v_cmpx_gt_u32_e64 s29, v17
	s_cbranch_execz .LBB330_117
; %bb.116:
	v_add_co_u32 v17, vcc_lo, 0x1000, v3
	v_add_co_ci_u32_e32 v18, vcc_lo, 0, v4, vcc_lo
	s_waitcnt lgkmcnt(6)
	global_store_b32 v[17:18], v15, off offset:3584
.LBB330_117:
	s_or_b32 exec_lo, exec_lo, s2
	s_waitcnt lgkmcnt(6)
	v_or_b32_e32 v15, 0x800, v0
	s_mov_b32 s2, exec_lo
	s_delay_alu instid0(VALU_DEP_1)
	v_cmpx_gt_u32_e64 s29, v15
	s_cbranch_execz .LBB330_119
; %bb.118:
	v_add_co_u32 v17, vcc_lo, 0x2000, v3
	v_add_co_ci_u32_e32 v18, vcc_lo, 0, v4, vcc_lo
	global_store_b32 v[17:18], v16, off
.LBB330_119:
	s_or_b32 exec_lo, exec_lo, s2
	v_or_b32_e32 v15, 0x880, v0
	s_mov_b32 s2, exec_lo
	s_delay_alu instid0(VALU_DEP_1)
	v_cmpx_gt_u32_e64 s29, v15
	s_cbranch_execz .LBB330_121
; %bb.120:
	v_add_co_u32 v15, vcc_lo, 0x2000, v3
	v_add_co_ci_u32_e32 v16, vcc_lo, 0, v4, vcc_lo
	s_waitcnt lgkmcnt(5)
	global_store_b32 v[15:16], v13, off offset:512
.LBB330_121:
	s_or_b32 exec_lo, exec_lo, s2
	s_waitcnt lgkmcnt(5)
	v_or_b32_e32 v13, 0x900, v0
	s_mov_b32 s2, exec_lo
	s_delay_alu instid0(VALU_DEP_1)
	v_cmpx_gt_u32_e64 s29, v13
	s_cbranch_execz .LBB330_123
; %bb.122:
	v_add_co_u32 v15, vcc_lo, 0x2000, v3
	v_add_co_ci_u32_e32 v16, vcc_lo, 0, v4, vcc_lo
	global_store_b32 v[15:16], v14, off offset:1024
.LBB330_123:
	s_or_b32 exec_lo, exec_lo, s2
	v_or_b32_e32 v13, 0x980, v0
	s_mov_b32 s2, exec_lo
	s_delay_alu instid0(VALU_DEP_1)
	v_cmpx_gt_u32_e64 s29, v13
	s_cbranch_execz .LBB330_125
; %bb.124:
	v_add_co_u32 v13, vcc_lo, 0x2000, v3
	v_add_co_ci_u32_e32 v14, vcc_lo, 0, v4, vcc_lo
	s_waitcnt lgkmcnt(4)
	global_store_b32 v[13:14], v11, off offset:1536
.LBB330_125:
	s_or_b32 exec_lo, exec_lo, s2
	s_waitcnt lgkmcnt(4)
	v_or_b32_e32 v11, 0xa00, v0
	s_mov_b32 s2, exec_lo
	s_delay_alu instid0(VALU_DEP_1)
	v_cmpx_gt_u32_e64 s29, v11
	s_cbranch_execz .LBB330_127
; %bb.126:
	v_add_co_u32 v13, vcc_lo, 0x2000, v3
	v_add_co_ci_u32_e32 v14, vcc_lo, 0, v4, vcc_lo
	global_store_b32 v[13:14], v12, off offset:2048
.LBB330_127:
	;; [unrolled: 24-line block ×3, first 2 shown]
	s_or_b32 exec_lo, exec_lo, s2
	v_or_b32_e32 v9, 0xb80, v0
	s_mov_b32 s2, exec_lo
	s_delay_alu instid0(VALU_DEP_1)
	v_cmpx_gt_u32_e64 s29, v9
	s_cbranch_execz .LBB330_133
; %bb.132:
	v_add_co_u32 v9, vcc_lo, 0x2000, v3
	v_add_co_ci_u32_e32 v10, vcc_lo, 0, v4, vcc_lo
	s_waitcnt lgkmcnt(2)
	global_store_b32 v[9:10], v7, off offset:3584
.LBB330_133:
	s_or_b32 exec_lo, exec_lo, s2
	s_waitcnt lgkmcnt(2)
	v_or_b32_e32 v7, 0xc00, v0
	s_mov_b32 s2, exec_lo
	s_delay_alu instid0(VALU_DEP_1)
	v_cmpx_gt_u32_e64 s29, v7
	s_cbranch_execz .LBB330_135
; %bb.134:
	v_add_co_u32 v9, vcc_lo, 0x3000, v3
	v_add_co_ci_u32_e32 v10, vcc_lo, 0, v4, vcc_lo
	global_store_b32 v[9:10], v8, off
.LBB330_135:
	s_or_b32 exec_lo, exec_lo, s2
	v_or_b32_e32 v7, 0xc80, v0
	s_mov_b32 s2, exec_lo
	s_delay_alu instid0(VALU_DEP_1)
	v_cmpx_gt_u32_e64 s29, v7
	s_cbranch_execz .LBB330_137
; %bb.136:
	v_add_co_u32 v7, vcc_lo, 0x3000, v3
	v_add_co_ci_u32_e32 v8, vcc_lo, 0, v4, vcc_lo
	s_waitcnt lgkmcnt(1)
	global_store_b32 v[7:8], v5, off offset:512
.LBB330_137:
	s_or_b32 exec_lo, exec_lo, s2
	s_waitcnt lgkmcnt(1)
	v_or_b32_e32 v5, 0xd00, v0
	s_mov_b32 s2, exec_lo
	s_delay_alu instid0(VALU_DEP_1)
	v_cmpx_gt_u32_e64 s29, v5
	s_cbranch_execz .LBB330_139
; %bb.138:
	v_add_co_u32 v7, vcc_lo, 0x3000, v3
	v_add_co_ci_u32_e32 v8, vcc_lo, 0, v4, vcc_lo
	global_store_b32 v[7:8], v6, off offset:1024
.LBB330_139:
	s_or_b32 exec_lo, exec_lo, s2
	v_or_b32_e32 v5, 0xd80, v0
	s_mov_b32 s2, exec_lo
	s_delay_alu instid0(VALU_DEP_1)
	v_cmpx_gt_u32_e64 s29, v5
	s_cbranch_execz .LBB330_141
; %bb.140:
	v_add_co_u32 v5, vcc_lo, 0x3000, v3
	v_add_co_ci_u32_e32 v6, vcc_lo, 0, v4, vcc_lo
	s_waitcnt lgkmcnt(0)
	global_store_b32 v[5:6], v1, off offset:1536
.LBB330_141:
	s_or_b32 exec_lo, exec_lo, s2
	s_waitcnt lgkmcnt(0)
	v_or_b32_e32 v1, 0xe00, v0
	s_delay_alu instid0(VALU_DEP_1)
	v_cmp_gt_u32_e64 s2, s29, v1
	s_branch .LBB330_144
.LBB330_142:
	s_mov_b32 s2, 0
                                        ; implicit-def: $vgpr2
                                        ; implicit-def: $vgpr3_vgpr4
	s_cbranch_execz .LBB330_144
; %bb.143:
	v_mad_u32_u24 v2, 0x74, v0, v62
	ds_store_2addr_b32 v61, v32, v33 offset1:1
	ds_store_2addr_b32 v61, v34, v35 offset0:2 offset1:3
	ds_store_2addr_b32 v61, v36, v37 offset0:4 offset1:5
	;; [unrolled: 1-line block ×13, first 2 shown]
	ds_store_b32 v61, v51 offset:112
	s_waitcnt lgkmcnt(0)
	s_waitcnt_vscnt null, 0x0
	s_barrier
	buffer_gl0_inv
	ds_load_2addr_stride64_b32 v[0:1], v2 offset1:2
	ds_load_2addr_stride64_b32 v[5:6], v2 offset0:4 offset1:6
	s_mov_b32 s31, 0
	ds_load_2addr_stride64_b32 v[7:8], v2 offset0:8 offset1:10
	ds_load_2addr_stride64_b32 v[9:10], v2 offset0:12 offset1:14
	;; [unrolled: 1-line block ×12, first 2 shown]
	ds_load_b32 v2, v2 offset:14336
	s_lshl_b64 s[4:5], s[30:31], 2
	s_delay_alu instid0(SALU_CYCLE_1) | instskip(SKIP_2) | instid1(VALU_DEP_1)
	s_add_u32 s4, s1, s4
	s_addc_u32 s5, s0, s5
	v_add_co_u32 v3, s0, s4, v31
	v_add_co_ci_u32_e64 v4, null, s5, 0, s0
	s_or_b32 s2, s2, exec_lo
	s_waitcnt lgkmcnt(14)
	global_store_b32 v31, v1, s[4:5] offset:512
	s_waitcnt lgkmcnt(13)
	s_clause 0x1
	global_store_b32 v31, v5, s[4:5] offset:1024
	global_store_b32 v31, v6, s[4:5] offset:1536
	s_waitcnt lgkmcnt(12)
	s_clause 0x1
	global_store_b32 v31, v7, s[4:5] offset:2048
	;; [unrolled: 4-line block ×3, first 2 shown]
	global_store_b32 v31, v10, s[4:5] offset:3584
	v_add_co_u32 v5, vcc_lo, v3, 0x2000
	v_add_co_ci_u32_e32 v6, vcc_lo, 0, v4, vcc_lo
	v_add_co_u32 v7, vcc_lo, 0x3000, v3
	v_add_co_ci_u32_e32 v8, vcc_lo, 0, v4, vcc_lo
	;; [unrolled: 2-line block ×3, first 2 shown]
	v_add_co_u32 v32, vcc_lo, 0x2000, v3
	s_waitcnt lgkmcnt(1)
	s_clause 0x1
	global_store_b32 v[7:8], v29, off offset:1024
	global_store_b32 v[5:6], v11, off offset:-4096
	v_add_co_ci_u32_e32 v33, vcc_lo, 0, v4, vcc_lo
	s_clause 0x12
	global_store_b32 v31, v0, s[4:5]
	global_store_b32 v[5:6], v19, off
	global_store_b32 v[9:10], v12, off offset:512
	global_store_b32 v[9:10], v13, off offset:1024
	;; [unrolled: 1-line block ×14, first 2 shown]
	global_store_b32 v[7:8], v27, off
	global_store_b32 v[7:8], v28, off offset:512
	global_store_b32 v[7:8], v30, off offset:1536
.LBB330_144:
	s_delay_alu instid0(VALU_DEP_1)
	s_and_saveexec_b32 s0, s2
	s_cbranch_execnz .LBB330_146
; %bb.145:
	s_nop 0
	s_sendmsg sendmsg(MSG_DEALLOC_VGPRS)
	s_endpgm
.LBB330_146:
	v_add_co_u32 v0, vcc_lo, 0x3000, v3
	v_add_co_ci_u32_e32 v1, vcc_lo, 0, v4, vcc_lo
	s_waitcnt lgkmcnt(0)
	global_store_b32 v[0:1], v2, off offset:2048
	s_nop 0
	s_sendmsg sendmsg(MSG_DEALLOC_VGPRS)
	s_endpgm
	.section	.rodata,"a",@progbits
	.p2align	6, 0x0
	.amdhsa_kernel _ZN7rocprim17ROCPRIM_400000_NS6detail17trampoline_kernelINS0_14default_configENS1_35adjacent_difference_config_selectorILb1EiEEZNS1_24adjacent_difference_implIS3_Lb1ELb0EPiS7_N6thrust23THRUST_200600_302600_NS5minusIiEEEE10hipError_tPvRmT2_T3_mT4_P12ihipStream_tbEUlT_E_NS1_11comp_targetILNS1_3genE9ELNS1_11target_archE1100ELNS1_3gpuE3ELNS1_3repE0EEENS1_30default_config_static_selectorELNS0_4arch9wavefront6targetE0EEEvT1_
		.amdhsa_group_segment_fixed_size 14848
		.amdhsa_private_segment_fixed_size 0
		.amdhsa_kernarg_size 56
		.amdhsa_user_sgpr_count 15
		.amdhsa_user_sgpr_dispatch_ptr 0
		.amdhsa_user_sgpr_queue_ptr 0
		.amdhsa_user_sgpr_kernarg_segment_ptr 1
		.amdhsa_user_sgpr_dispatch_id 0
		.amdhsa_user_sgpr_private_segment_size 0
		.amdhsa_wavefront_size32 1
		.amdhsa_uses_dynamic_stack 0
		.amdhsa_enable_private_segment 0
		.amdhsa_system_sgpr_workgroup_id_x 1
		.amdhsa_system_sgpr_workgroup_id_y 0
		.amdhsa_system_sgpr_workgroup_id_z 0
		.amdhsa_system_sgpr_workgroup_info 0
		.amdhsa_system_vgpr_workitem_id 0
		.amdhsa_next_free_vgpr 64
		.amdhsa_next_free_sgpr 44
		.amdhsa_reserve_vcc 1
		.amdhsa_float_round_mode_32 0
		.amdhsa_float_round_mode_16_64 0
		.amdhsa_float_denorm_mode_32 3
		.amdhsa_float_denorm_mode_16_64 3
		.amdhsa_dx10_clamp 1
		.amdhsa_ieee_mode 1
		.amdhsa_fp16_overflow 0
		.amdhsa_workgroup_processor_mode 1
		.amdhsa_memory_ordered 1
		.amdhsa_forward_progress 0
		.amdhsa_shared_vgpr_count 0
		.amdhsa_exception_fp_ieee_invalid_op 0
		.amdhsa_exception_fp_denorm_src 0
		.amdhsa_exception_fp_ieee_div_zero 0
		.amdhsa_exception_fp_ieee_overflow 0
		.amdhsa_exception_fp_ieee_underflow 0
		.amdhsa_exception_fp_ieee_inexact 0
		.amdhsa_exception_int_div_zero 0
	.end_amdhsa_kernel
	.section	.text._ZN7rocprim17ROCPRIM_400000_NS6detail17trampoline_kernelINS0_14default_configENS1_35adjacent_difference_config_selectorILb1EiEEZNS1_24adjacent_difference_implIS3_Lb1ELb0EPiS7_N6thrust23THRUST_200600_302600_NS5minusIiEEEE10hipError_tPvRmT2_T3_mT4_P12ihipStream_tbEUlT_E_NS1_11comp_targetILNS1_3genE9ELNS1_11target_archE1100ELNS1_3gpuE3ELNS1_3repE0EEENS1_30default_config_static_selectorELNS0_4arch9wavefront6targetE0EEEvT1_,"axG",@progbits,_ZN7rocprim17ROCPRIM_400000_NS6detail17trampoline_kernelINS0_14default_configENS1_35adjacent_difference_config_selectorILb1EiEEZNS1_24adjacent_difference_implIS3_Lb1ELb0EPiS7_N6thrust23THRUST_200600_302600_NS5minusIiEEEE10hipError_tPvRmT2_T3_mT4_P12ihipStream_tbEUlT_E_NS1_11comp_targetILNS1_3genE9ELNS1_11target_archE1100ELNS1_3gpuE3ELNS1_3repE0EEENS1_30default_config_static_selectorELNS0_4arch9wavefront6targetE0EEEvT1_,comdat
.Lfunc_end330:
	.size	_ZN7rocprim17ROCPRIM_400000_NS6detail17trampoline_kernelINS0_14default_configENS1_35adjacent_difference_config_selectorILb1EiEEZNS1_24adjacent_difference_implIS3_Lb1ELb0EPiS7_N6thrust23THRUST_200600_302600_NS5minusIiEEEE10hipError_tPvRmT2_T3_mT4_P12ihipStream_tbEUlT_E_NS1_11comp_targetILNS1_3genE9ELNS1_11target_archE1100ELNS1_3gpuE3ELNS1_3repE0EEENS1_30default_config_static_selectorELNS0_4arch9wavefront6targetE0EEEvT1_, .Lfunc_end330-_ZN7rocprim17ROCPRIM_400000_NS6detail17trampoline_kernelINS0_14default_configENS1_35adjacent_difference_config_selectorILb1EiEEZNS1_24adjacent_difference_implIS3_Lb1ELb0EPiS7_N6thrust23THRUST_200600_302600_NS5minusIiEEEE10hipError_tPvRmT2_T3_mT4_P12ihipStream_tbEUlT_E_NS1_11comp_targetILNS1_3genE9ELNS1_11target_archE1100ELNS1_3gpuE3ELNS1_3repE0EEENS1_30default_config_static_selectorELNS0_4arch9wavefront6targetE0EEEvT1_
                                        ; -- End function
	.section	.AMDGPU.csdata,"",@progbits
; Kernel info:
; codeLenInByte = 7064
; NumSgprs: 46
; NumVgprs: 64
; ScratchSize: 0
; MemoryBound: 0
; FloatMode: 240
; IeeeMode: 1
; LDSByteSize: 14848 bytes/workgroup (compile time only)
; SGPRBlocks: 5
; VGPRBlocks: 7
; NumSGPRsForWavesPerEU: 46
; NumVGPRsForWavesPerEU: 64
; Occupancy: 8
; WaveLimiterHint : 1
; COMPUTE_PGM_RSRC2:SCRATCH_EN: 0
; COMPUTE_PGM_RSRC2:USER_SGPR: 15
; COMPUTE_PGM_RSRC2:TRAP_HANDLER: 0
; COMPUTE_PGM_RSRC2:TGID_X_EN: 1
; COMPUTE_PGM_RSRC2:TGID_Y_EN: 0
; COMPUTE_PGM_RSRC2:TGID_Z_EN: 0
; COMPUTE_PGM_RSRC2:TIDIG_COMP_CNT: 0
	.section	.text._ZN7rocprim17ROCPRIM_400000_NS6detail17trampoline_kernelINS0_14default_configENS1_35adjacent_difference_config_selectorILb1EiEEZNS1_24adjacent_difference_implIS3_Lb1ELb0EPiS7_N6thrust23THRUST_200600_302600_NS5minusIiEEEE10hipError_tPvRmT2_T3_mT4_P12ihipStream_tbEUlT_E_NS1_11comp_targetILNS1_3genE8ELNS1_11target_archE1030ELNS1_3gpuE2ELNS1_3repE0EEENS1_30default_config_static_selectorELNS0_4arch9wavefront6targetE0EEEvT1_,"axG",@progbits,_ZN7rocprim17ROCPRIM_400000_NS6detail17trampoline_kernelINS0_14default_configENS1_35adjacent_difference_config_selectorILb1EiEEZNS1_24adjacent_difference_implIS3_Lb1ELb0EPiS7_N6thrust23THRUST_200600_302600_NS5minusIiEEEE10hipError_tPvRmT2_T3_mT4_P12ihipStream_tbEUlT_E_NS1_11comp_targetILNS1_3genE8ELNS1_11target_archE1030ELNS1_3gpuE2ELNS1_3repE0EEENS1_30default_config_static_selectorELNS0_4arch9wavefront6targetE0EEEvT1_,comdat
	.protected	_ZN7rocprim17ROCPRIM_400000_NS6detail17trampoline_kernelINS0_14default_configENS1_35adjacent_difference_config_selectorILb1EiEEZNS1_24adjacent_difference_implIS3_Lb1ELb0EPiS7_N6thrust23THRUST_200600_302600_NS5minusIiEEEE10hipError_tPvRmT2_T3_mT4_P12ihipStream_tbEUlT_E_NS1_11comp_targetILNS1_3genE8ELNS1_11target_archE1030ELNS1_3gpuE2ELNS1_3repE0EEENS1_30default_config_static_selectorELNS0_4arch9wavefront6targetE0EEEvT1_ ; -- Begin function _ZN7rocprim17ROCPRIM_400000_NS6detail17trampoline_kernelINS0_14default_configENS1_35adjacent_difference_config_selectorILb1EiEEZNS1_24adjacent_difference_implIS3_Lb1ELb0EPiS7_N6thrust23THRUST_200600_302600_NS5minusIiEEEE10hipError_tPvRmT2_T3_mT4_P12ihipStream_tbEUlT_E_NS1_11comp_targetILNS1_3genE8ELNS1_11target_archE1030ELNS1_3gpuE2ELNS1_3repE0EEENS1_30default_config_static_selectorELNS0_4arch9wavefront6targetE0EEEvT1_
	.globl	_ZN7rocprim17ROCPRIM_400000_NS6detail17trampoline_kernelINS0_14default_configENS1_35adjacent_difference_config_selectorILb1EiEEZNS1_24adjacent_difference_implIS3_Lb1ELb0EPiS7_N6thrust23THRUST_200600_302600_NS5minusIiEEEE10hipError_tPvRmT2_T3_mT4_P12ihipStream_tbEUlT_E_NS1_11comp_targetILNS1_3genE8ELNS1_11target_archE1030ELNS1_3gpuE2ELNS1_3repE0EEENS1_30default_config_static_selectorELNS0_4arch9wavefront6targetE0EEEvT1_
	.p2align	8
	.type	_ZN7rocprim17ROCPRIM_400000_NS6detail17trampoline_kernelINS0_14default_configENS1_35adjacent_difference_config_selectorILb1EiEEZNS1_24adjacent_difference_implIS3_Lb1ELb0EPiS7_N6thrust23THRUST_200600_302600_NS5minusIiEEEE10hipError_tPvRmT2_T3_mT4_P12ihipStream_tbEUlT_E_NS1_11comp_targetILNS1_3genE8ELNS1_11target_archE1030ELNS1_3gpuE2ELNS1_3repE0EEENS1_30default_config_static_selectorELNS0_4arch9wavefront6targetE0EEEvT1_,@function
_ZN7rocprim17ROCPRIM_400000_NS6detail17trampoline_kernelINS0_14default_configENS1_35adjacent_difference_config_selectorILb1EiEEZNS1_24adjacent_difference_implIS3_Lb1ELb0EPiS7_N6thrust23THRUST_200600_302600_NS5minusIiEEEE10hipError_tPvRmT2_T3_mT4_P12ihipStream_tbEUlT_E_NS1_11comp_targetILNS1_3genE8ELNS1_11target_archE1030ELNS1_3gpuE2ELNS1_3repE0EEENS1_30default_config_static_selectorELNS0_4arch9wavefront6targetE0EEEvT1_: ; @_ZN7rocprim17ROCPRIM_400000_NS6detail17trampoline_kernelINS0_14default_configENS1_35adjacent_difference_config_selectorILb1EiEEZNS1_24adjacent_difference_implIS3_Lb1ELb0EPiS7_N6thrust23THRUST_200600_302600_NS5minusIiEEEE10hipError_tPvRmT2_T3_mT4_P12ihipStream_tbEUlT_E_NS1_11comp_targetILNS1_3genE8ELNS1_11target_archE1030ELNS1_3gpuE2ELNS1_3repE0EEENS1_30default_config_static_selectorELNS0_4arch9wavefront6targetE0EEEvT1_
; %bb.0:
	.section	.rodata,"a",@progbits
	.p2align	6, 0x0
	.amdhsa_kernel _ZN7rocprim17ROCPRIM_400000_NS6detail17trampoline_kernelINS0_14default_configENS1_35adjacent_difference_config_selectorILb1EiEEZNS1_24adjacent_difference_implIS3_Lb1ELb0EPiS7_N6thrust23THRUST_200600_302600_NS5minusIiEEEE10hipError_tPvRmT2_T3_mT4_P12ihipStream_tbEUlT_E_NS1_11comp_targetILNS1_3genE8ELNS1_11target_archE1030ELNS1_3gpuE2ELNS1_3repE0EEENS1_30default_config_static_selectorELNS0_4arch9wavefront6targetE0EEEvT1_
		.amdhsa_group_segment_fixed_size 0
		.amdhsa_private_segment_fixed_size 0
		.amdhsa_kernarg_size 56
		.amdhsa_user_sgpr_count 15
		.amdhsa_user_sgpr_dispatch_ptr 0
		.amdhsa_user_sgpr_queue_ptr 0
		.amdhsa_user_sgpr_kernarg_segment_ptr 1
		.amdhsa_user_sgpr_dispatch_id 0
		.amdhsa_user_sgpr_private_segment_size 0
		.amdhsa_wavefront_size32 1
		.amdhsa_uses_dynamic_stack 0
		.amdhsa_enable_private_segment 0
		.amdhsa_system_sgpr_workgroup_id_x 1
		.amdhsa_system_sgpr_workgroup_id_y 0
		.amdhsa_system_sgpr_workgroup_id_z 0
		.amdhsa_system_sgpr_workgroup_info 0
		.amdhsa_system_vgpr_workitem_id 0
		.amdhsa_next_free_vgpr 1
		.amdhsa_next_free_sgpr 1
		.amdhsa_reserve_vcc 0
		.amdhsa_float_round_mode_32 0
		.amdhsa_float_round_mode_16_64 0
		.amdhsa_float_denorm_mode_32 3
		.amdhsa_float_denorm_mode_16_64 3
		.amdhsa_dx10_clamp 1
		.amdhsa_ieee_mode 1
		.amdhsa_fp16_overflow 0
		.amdhsa_workgroup_processor_mode 1
		.amdhsa_memory_ordered 1
		.amdhsa_forward_progress 0
		.amdhsa_shared_vgpr_count 0
		.amdhsa_exception_fp_ieee_invalid_op 0
		.amdhsa_exception_fp_denorm_src 0
		.amdhsa_exception_fp_ieee_div_zero 0
		.amdhsa_exception_fp_ieee_overflow 0
		.amdhsa_exception_fp_ieee_underflow 0
		.amdhsa_exception_fp_ieee_inexact 0
		.amdhsa_exception_int_div_zero 0
	.end_amdhsa_kernel
	.section	.text._ZN7rocprim17ROCPRIM_400000_NS6detail17trampoline_kernelINS0_14default_configENS1_35adjacent_difference_config_selectorILb1EiEEZNS1_24adjacent_difference_implIS3_Lb1ELb0EPiS7_N6thrust23THRUST_200600_302600_NS5minusIiEEEE10hipError_tPvRmT2_T3_mT4_P12ihipStream_tbEUlT_E_NS1_11comp_targetILNS1_3genE8ELNS1_11target_archE1030ELNS1_3gpuE2ELNS1_3repE0EEENS1_30default_config_static_selectorELNS0_4arch9wavefront6targetE0EEEvT1_,"axG",@progbits,_ZN7rocprim17ROCPRIM_400000_NS6detail17trampoline_kernelINS0_14default_configENS1_35adjacent_difference_config_selectorILb1EiEEZNS1_24adjacent_difference_implIS3_Lb1ELb0EPiS7_N6thrust23THRUST_200600_302600_NS5minusIiEEEE10hipError_tPvRmT2_T3_mT4_P12ihipStream_tbEUlT_E_NS1_11comp_targetILNS1_3genE8ELNS1_11target_archE1030ELNS1_3gpuE2ELNS1_3repE0EEENS1_30default_config_static_selectorELNS0_4arch9wavefront6targetE0EEEvT1_,comdat
.Lfunc_end331:
	.size	_ZN7rocprim17ROCPRIM_400000_NS6detail17trampoline_kernelINS0_14default_configENS1_35adjacent_difference_config_selectorILb1EiEEZNS1_24adjacent_difference_implIS3_Lb1ELb0EPiS7_N6thrust23THRUST_200600_302600_NS5minusIiEEEE10hipError_tPvRmT2_T3_mT4_P12ihipStream_tbEUlT_E_NS1_11comp_targetILNS1_3genE8ELNS1_11target_archE1030ELNS1_3gpuE2ELNS1_3repE0EEENS1_30default_config_static_selectorELNS0_4arch9wavefront6targetE0EEEvT1_, .Lfunc_end331-_ZN7rocprim17ROCPRIM_400000_NS6detail17trampoline_kernelINS0_14default_configENS1_35adjacent_difference_config_selectorILb1EiEEZNS1_24adjacent_difference_implIS3_Lb1ELb0EPiS7_N6thrust23THRUST_200600_302600_NS5minusIiEEEE10hipError_tPvRmT2_T3_mT4_P12ihipStream_tbEUlT_E_NS1_11comp_targetILNS1_3genE8ELNS1_11target_archE1030ELNS1_3gpuE2ELNS1_3repE0EEENS1_30default_config_static_selectorELNS0_4arch9wavefront6targetE0EEEvT1_
                                        ; -- End function
	.section	.AMDGPU.csdata,"",@progbits
; Kernel info:
; codeLenInByte = 0
; NumSgprs: 0
; NumVgprs: 0
; ScratchSize: 0
; MemoryBound: 0
; FloatMode: 240
; IeeeMode: 1
; LDSByteSize: 0 bytes/workgroup (compile time only)
; SGPRBlocks: 0
; VGPRBlocks: 0
; NumSGPRsForWavesPerEU: 1
; NumVGPRsForWavesPerEU: 1
; Occupancy: 16
; WaveLimiterHint : 0
; COMPUTE_PGM_RSRC2:SCRATCH_EN: 0
; COMPUTE_PGM_RSRC2:USER_SGPR: 15
; COMPUTE_PGM_RSRC2:TRAP_HANDLER: 0
; COMPUTE_PGM_RSRC2:TGID_X_EN: 1
; COMPUTE_PGM_RSRC2:TGID_Y_EN: 0
; COMPUTE_PGM_RSRC2:TGID_Z_EN: 0
; COMPUTE_PGM_RSRC2:TIDIG_COMP_CNT: 0
	.section	.text._ZN7rocprim17ROCPRIM_400000_NS6detail17trampoline_kernelINS0_14default_configENS1_35adjacent_difference_config_selectorILb0EiEEZNS1_24adjacent_difference_implIS3_Lb0ELb0EPiS7_N6thrust23THRUST_200600_302600_NS4plusIiEEEE10hipError_tPvRmT2_T3_mT4_P12ihipStream_tbEUlT_E_NS1_11comp_targetILNS1_3genE0ELNS1_11target_archE4294967295ELNS1_3gpuE0ELNS1_3repE0EEENS1_30default_config_static_selectorELNS0_4arch9wavefront6targetE0EEEvT1_,"axG",@progbits,_ZN7rocprim17ROCPRIM_400000_NS6detail17trampoline_kernelINS0_14default_configENS1_35adjacent_difference_config_selectorILb0EiEEZNS1_24adjacent_difference_implIS3_Lb0ELb0EPiS7_N6thrust23THRUST_200600_302600_NS4plusIiEEEE10hipError_tPvRmT2_T3_mT4_P12ihipStream_tbEUlT_E_NS1_11comp_targetILNS1_3genE0ELNS1_11target_archE4294967295ELNS1_3gpuE0ELNS1_3repE0EEENS1_30default_config_static_selectorELNS0_4arch9wavefront6targetE0EEEvT1_,comdat
	.protected	_ZN7rocprim17ROCPRIM_400000_NS6detail17trampoline_kernelINS0_14default_configENS1_35adjacent_difference_config_selectorILb0EiEEZNS1_24adjacent_difference_implIS3_Lb0ELb0EPiS7_N6thrust23THRUST_200600_302600_NS4plusIiEEEE10hipError_tPvRmT2_T3_mT4_P12ihipStream_tbEUlT_E_NS1_11comp_targetILNS1_3genE0ELNS1_11target_archE4294967295ELNS1_3gpuE0ELNS1_3repE0EEENS1_30default_config_static_selectorELNS0_4arch9wavefront6targetE0EEEvT1_ ; -- Begin function _ZN7rocprim17ROCPRIM_400000_NS6detail17trampoline_kernelINS0_14default_configENS1_35adjacent_difference_config_selectorILb0EiEEZNS1_24adjacent_difference_implIS3_Lb0ELb0EPiS7_N6thrust23THRUST_200600_302600_NS4plusIiEEEE10hipError_tPvRmT2_T3_mT4_P12ihipStream_tbEUlT_E_NS1_11comp_targetILNS1_3genE0ELNS1_11target_archE4294967295ELNS1_3gpuE0ELNS1_3repE0EEENS1_30default_config_static_selectorELNS0_4arch9wavefront6targetE0EEEvT1_
	.globl	_ZN7rocprim17ROCPRIM_400000_NS6detail17trampoline_kernelINS0_14default_configENS1_35adjacent_difference_config_selectorILb0EiEEZNS1_24adjacent_difference_implIS3_Lb0ELb0EPiS7_N6thrust23THRUST_200600_302600_NS4plusIiEEEE10hipError_tPvRmT2_T3_mT4_P12ihipStream_tbEUlT_E_NS1_11comp_targetILNS1_3genE0ELNS1_11target_archE4294967295ELNS1_3gpuE0ELNS1_3repE0EEENS1_30default_config_static_selectorELNS0_4arch9wavefront6targetE0EEEvT1_
	.p2align	8
	.type	_ZN7rocprim17ROCPRIM_400000_NS6detail17trampoline_kernelINS0_14default_configENS1_35adjacent_difference_config_selectorILb0EiEEZNS1_24adjacent_difference_implIS3_Lb0ELb0EPiS7_N6thrust23THRUST_200600_302600_NS4plusIiEEEE10hipError_tPvRmT2_T3_mT4_P12ihipStream_tbEUlT_E_NS1_11comp_targetILNS1_3genE0ELNS1_11target_archE4294967295ELNS1_3gpuE0ELNS1_3repE0EEENS1_30default_config_static_selectorELNS0_4arch9wavefront6targetE0EEEvT1_,@function
_ZN7rocprim17ROCPRIM_400000_NS6detail17trampoline_kernelINS0_14default_configENS1_35adjacent_difference_config_selectorILb0EiEEZNS1_24adjacent_difference_implIS3_Lb0ELb0EPiS7_N6thrust23THRUST_200600_302600_NS4plusIiEEEE10hipError_tPvRmT2_T3_mT4_P12ihipStream_tbEUlT_E_NS1_11comp_targetILNS1_3genE0ELNS1_11target_archE4294967295ELNS1_3gpuE0ELNS1_3repE0EEENS1_30default_config_static_selectorELNS0_4arch9wavefront6targetE0EEEvT1_: ; @_ZN7rocprim17ROCPRIM_400000_NS6detail17trampoline_kernelINS0_14default_configENS1_35adjacent_difference_config_selectorILb0EiEEZNS1_24adjacent_difference_implIS3_Lb0ELb0EPiS7_N6thrust23THRUST_200600_302600_NS4plusIiEEEE10hipError_tPvRmT2_T3_mT4_P12ihipStream_tbEUlT_E_NS1_11comp_targetILNS1_3genE0ELNS1_11target_archE4294967295ELNS1_3gpuE0ELNS1_3repE0EEENS1_30default_config_static_selectorELNS0_4arch9wavefront6targetE0EEEvT1_
; %bb.0:
	.section	.rodata,"a",@progbits
	.p2align	6, 0x0
	.amdhsa_kernel _ZN7rocprim17ROCPRIM_400000_NS6detail17trampoline_kernelINS0_14default_configENS1_35adjacent_difference_config_selectorILb0EiEEZNS1_24adjacent_difference_implIS3_Lb0ELb0EPiS7_N6thrust23THRUST_200600_302600_NS4plusIiEEEE10hipError_tPvRmT2_T3_mT4_P12ihipStream_tbEUlT_E_NS1_11comp_targetILNS1_3genE0ELNS1_11target_archE4294967295ELNS1_3gpuE0ELNS1_3repE0EEENS1_30default_config_static_selectorELNS0_4arch9wavefront6targetE0EEEvT1_
		.amdhsa_group_segment_fixed_size 0
		.amdhsa_private_segment_fixed_size 0
		.amdhsa_kernarg_size 56
		.amdhsa_user_sgpr_count 15
		.amdhsa_user_sgpr_dispatch_ptr 0
		.amdhsa_user_sgpr_queue_ptr 0
		.amdhsa_user_sgpr_kernarg_segment_ptr 1
		.amdhsa_user_sgpr_dispatch_id 0
		.amdhsa_user_sgpr_private_segment_size 0
		.amdhsa_wavefront_size32 1
		.amdhsa_uses_dynamic_stack 0
		.amdhsa_enable_private_segment 0
		.amdhsa_system_sgpr_workgroup_id_x 1
		.amdhsa_system_sgpr_workgroup_id_y 0
		.amdhsa_system_sgpr_workgroup_id_z 0
		.amdhsa_system_sgpr_workgroup_info 0
		.amdhsa_system_vgpr_workitem_id 0
		.amdhsa_next_free_vgpr 1
		.amdhsa_next_free_sgpr 1
		.amdhsa_reserve_vcc 0
		.amdhsa_float_round_mode_32 0
		.amdhsa_float_round_mode_16_64 0
		.amdhsa_float_denorm_mode_32 3
		.amdhsa_float_denorm_mode_16_64 3
		.amdhsa_dx10_clamp 1
		.amdhsa_ieee_mode 1
		.amdhsa_fp16_overflow 0
		.amdhsa_workgroup_processor_mode 1
		.amdhsa_memory_ordered 1
		.amdhsa_forward_progress 0
		.amdhsa_shared_vgpr_count 0
		.amdhsa_exception_fp_ieee_invalid_op 0
		.amdhsa_exception_fp_denorm_src 0
		.amdhsa_exception_fp_ieee_div_zero 0
		.amdhsa_exception_fp_ieee_overflow 0
		.amdhsa_exception_fp_ieee_underflow 0
		.amdhsa_exception_fp_ieee_inexact 0
		.amdhsa_exception_int_div_zero 0
	.end_amdhsa_kernel
	.section	.text._ZN7rocprim17ROCPRIM_400000_NS6detail17trampoline_kernelINS0_14default_configENS1_35adjacent_difference_config_selectorILb0EiEEZNS1_24adjacent_difference_implIS3_Lb0ELb0EPiS7_N6thrust23THRUST_200600_302600_NS4plusIiEEEE10hipError_tPvRmT2_T3_mT4_P12ihipStream_tbEUlT_E_NS1_11comp_targetILNS1_3genE0ELNS1_11target_archE4294967295ELNS1_3gpuE0ELNS1_3repE0EEENS1_30default_config_static_selectorELNS0_4arch9wavefront6targetE0EEEvT1_,"axG",@progbits,_ZN7rocprim17ROCPRIM_400000_NS6detail17trampoline_kernelINS0_14default_configENS1_35adjacent_difference_config_selectorILb0EiEEZNS1_24adjacent_difference_implIS3_Lb0ELb0EPiS7_N6thrust23THRUST_200600_302600_NS4plusIiEEEE10hipError_tPvRmT2_T3_mT4_P12ihipStream_tbEUlT_E_NS1_11comp_targetILNS1_3genE0ELNS1_11target_archE4294967295ELNS1_3gpuE0ELNS1_3repE0EEENS1_30default_config_static_selectorELNS0_4arch9wavefront6targetE0EEEvT1_,comdat
.Lfunc_end332:
	.size	_ZN7rocprim17ROCPRIM_400000_NS6detail17trampoline_kernelINS0_14default_configENS1_35adjacent_difference_config_selectorILb0EiEEZNS1_24adjacent_difference_implIS3_Lb0ELb0EPiS7_N6thrust23THRUST_200600_302600_NS4plusIiEEEE10hipError_tPvRmT2_T3_mT4_P12ihipStream_tbEUlT_E_NS1_11comp_targetILNS1_3genE0ELNS1_11target_archE4294967295ELNS1_3gpuE0ELNS1_3repE0EEENS1_30default_config_static_selectorELNS0_4arch9wavefront6targetE0EEEvT1_, .Lfunc_end332-_ZN7rocprim17ROCPRIM_400000_NS6detail17trampoline_kernelINS0_14default_configENS1_35adjacent_difference_config_selectorILb0EiEEZNS1_24adjacent_difference_implIS3_Lb0ELb0EPiS7_N6thrust23THRUST_200600_302600_NS4plusIiEEEE10hipError_tPvRmT2_T3_mT4_P12ihipStream_tbEUlT_E_NS1_11comp_targetILNS1_3genE0ELNS1_11target_archE4294967295ELNS1_3gpuE0ELNS1_3repE0EEENS1_30default_config_static_selectorELNS0_4arch9wavefront6targetE0EEEvT1_
                                        ; -- End function
	.section	.AMDGPU.csdata,"",@progbits
; Kernel info:
; codeLenInByte = 0
; NumSgprs: 0
; NumVgprs: 0
; ScratchSize: 0
; MemoryBound: 0
; FloatMode: 240
; IeeeMode: 1
; LDSByteSize: 0 bytes/workgroup (compile time only)
; SGPRBlocks: 0
; VGPRBlocks: 0
; NumSGPRsForWavesPerEU: 1
; NumVGPRsForWavesPerEU: 1
; Occupancy: 16
; WaveLimiterHint : 0
; COMPUTE_PGM_RSRC2:SCRATCH_EN: 0
; COMPUTE_PGM_RSRC2:USER_SGPR: 15
; COMPUTE_PGM_RSRC2:TRAP_HANDLER: 0
; COMPUTE_PGM_RSRC2:TGID_X_EN: 1
; COMPUTE_PGM_RSRC2:TGID_Y_EN: 0
; COMPUTE_PGM_RSRC2:TGID_Z_EN: 0
; COMPUTE_PGM_RSRC2:TIDIG_COMP_CNT: 0
	.section	.text._ZN7rocprim17ROCPRIM_400000_NS6detail17trampoline_kernelINS0_14default_configENS1_35adjacent_difference_config_selectorILb0EiEEZNS1_24adjacent_difference_implIS3_Lb0ELb0EPiS7_N6thrust23THRUST_200600_302600_NS4plusIiEEEE10hipError_tPvRmT2_T3_mT4_P12ihipStream_tbEUlT_E_NS1_11comp_targetILNS1_3genE10ELNS1_11target_archE1201ELNS1_3gpuE5ELNS1_3repE0EEENS1_30default_config_static_selectorELNS0_4arch9wavefront6targetE0EEEvT1_,"axG",@progbits,_ZN7rocprim17ROCPRIM_400000_NS6detail17trampoline_kernelINS0_14default_configENS1_35adjacent_difference_config_selectorILb0EiEEZNS1_24adjacent_difference_implIS3_Lb0ELb0EPiS7_N6thrust23THRUST_200600_302600_NS4plusIiEEEE10hipError_tPvRmT2_T3_mT4_P12ihipStream_tbEUlT_E_NS1_11comp_targetILNS1_3genE10ELNS1_11target_archE1201ELNS1_3gpuE5ELNS1_3repE0EEENS1_30default_config_static_selectorELNS0_4arch9wavefront6targetE0EEEvT1_,comdat
	.protected	_ZN7rocprim17ROCPRIM_400000_NS6detail17trampoline_kernelINS0_14default_configENS1_35adjacent_difference_config_selectorILb0EiEEZNS1_24adjacent_difference_implIS3_Lb0ELb0EPiS7_N6thrust23THRUST_200600_302600_NS4plusIiEEEE10hipError_tPvRmT2_T3_mT4_P12ihipStream_tbEUlT_E_NS1_11comp_targetILNS1_3genE10ELNS1_11target_archE1201ELNS1_3gpuE5ELNS1_3repE0EEENS1_30default_config_static_selectorELNS0_4arch9wavefront6targetE0EEEvT1_ ; -- Begin function _ZN7rocprim17ROCPRIM_400000_NS6detail17trampoline_kernelINS0_14default_configENS1_35adjacent_difference_config_selectorILb0EiEEZNS1_24adjacent_difference_implIS3_Lb0ELb0EPiS7_N6thrust23THRUST_200600_302600_NS4plusIiEEEE10hipError_tPvRmT2_T3_mT4_P12ihipStream_tbEUlT_E_NS1_11comp_targetILNS1_3genE10ELNS1_11target_archE1201ELNS1_3gpuE5ELNS1_3repE0EEENS1_30default_config_static_selectorELNS0_4arch9wavefront6targetE0EEEvT1_
	.globl	_ZN7rocprim17ROCPRIM_400000_NS6detail17trampoline_kernelINS0_14default_configENS1_35adjacent_difference_config_selectorILb0EiEEZNS1_24adjacent_difference_implIS3_Lb0ELb0EPiS7_N6thrust23THRUST_200600_302600_NS4plusIiEEEE10hipError_tPvRmT2_T3_mT4_P12ihipStream_tbEUlT_E_NS1_11comp_targetILNS1_3genE10ELNS1_11target_archE1201ELNS1_3gpuE5ELNS1_3repE0EEENS1_30default_config_static_selectorELNS0_4arch9wavefront6targetE0EEEvT1_
	.p2align	8
	.type	_ZN7rocprim17ROCPRIM_400000_NS6detail17trampoline_kernelINS0_14default_configENS1_35adjacent_difference_config_selectorILb0EiEEZNS1_24adjacent_difference_implIS3_Lb0ELb0EPiS7_N6thrust23THRUST_200600_302600_NS4plusIiEEEE10hipError_tPvRmT2_T3_mT4_P12ihipStream_tbEUlT_E_NS1_11comp_targetILNS1_3genE10ELNS1_11target_archE1201ELNS1_3gpuE5ELNS1_3repE0EEENS1_30default_config_static_selectorELNS0_4arch9wavefront6targetE0EEEvT1_,@function
_ZN7rocprim17ROCPRIM_400000_NS6detail17trampoline_kernelINS0_14default_configENS1_35adjacent_difference_config_selectorILb0EiEEZNS1_24adjacent_difference_implIS3_Lb0ELb0EPiS7_N6thrust23THRUST_200600_302600_NS4plusIiEEEE10hipError_tPvRmT2_T3_mT4_P12ihipStream_tbEUlT_E_NS1_11comp_targetILNS1_3genE10ELNS1_11target_archE1201ELNS1_3gpuE5ELNS1_3repE0EEENS1_30default_config_static_selectorELNS0_4arch9wavefront6targetE0EEEvT1_: ; @_ZN7rocprim17ROCPRIM_400000_NS6detail17trampoline_kernelINS0_14default_configENS1_35adjacent_difference_config_selectorILb0EiEEZNS1_24adjacent_difference_implIS3_Lb0ELb0EPiS7_N6thrust23THRUST_200600_302600_NS4plusIiEEEE10hipError_tPvRmT2_T3_mT4_P12ihipStream_tbEUlT_E_NS1_11comp_targetILNS1_3genE10ELNS1_11target_archE1201ELNS1_3gpuE5ELNS1_3repE0EEENS1_30default_config_static_selectorELNS0_4arch9wavefront6targetE0EEEvT1_
; %bb.0:
	.section	.rodata,"a",@progbits
	.p2align	6, 0x0
	.amdhsa_kernel _ZN7rocprim17ROCPRIM_400000_NS6detail17trampoline_kernelINS0_14default_configENS1_35adjacent_difference_config_selectorILb0EiEEZNS1_24adjacent_difference_implIS3_Lb0ELb0EPiS7_N6thrust23THRUST_200600_302600_NS4plusIiEEEE10hipError_tPvRmT2_T3_mT4_P12ihipStream_tbEUlT_E_NS1_11comp_targetILNS1_3genE10ELNS1_11target_archE1201ELNS1_3gpuE5ELNS1_3repE0EEENS1_30default_config_static_selectorELNS0_4arch9wavefront6targetE0EEEvT1_
		.amdhsa_group_segment_fixed_size 0
		.amdhsa_private_segment_fixed_size 0
		.amdhsa_kernarg_size 56
		.amdhsa_user_sgpr_count 15
		.amdhsa_user_sgpr_dispatch_ptr 0
		.amdhsa_user_sgpr_queue_ptr 0
		.amdhsa_user_sgpr_kernarg_segment_ptr 1
		.amdhsa_user_sgpr_dispatch_id 0
		.amdhsa_user_sgpr_private_segment_size 0
		.amdhsa_wavefront_size32 1
		.amdhsa_uses_dynamic_stack 0
		.amdhsa_enable_private_segment 0
		.amdhsa_system_sgpr_workgroup_id_x 1
		.amdhsa_system_sgpr_workgroup_id_y 0
		.amdhsa_system_sgpr_workgroup_id_z 0
		.amdhsa_system_sgpr_workgroup_info 0
		.amdhsa_system_vgpr_workitem_id 0
		.amdhsa_next_free_vgpr 1
		.amdhsa_next_free_sgpr 1
		.amdhsa_reserve_vcc 0
		.amdhsa_float_round_mode_32 0
		.amdhsa_float_round_mode_16_64 0
		.amdhsa_float_denorm_mode_32 3
		.amdhsa_float_denorm_mode_16_64 3
		.amdhsa_dx10_clamp 1
		.amdhsa_ieee_mode 1
		.amdhsa_fp16_overflow 0
		.amdhsa_workgroup_processor_mode 1
		.amdhsa_memory_ordered 1
		.amdhsa_forward_progress 0
		.amdhsa_shared_vgpr_count 0
		.amdhsa_exception_fp_ieee_invalid_op 0
		.amdhsa_exception_fp_denorm_src 0
		.amdhsa_exception_fp_ieee_div_zero 0
		.amdhsa_exception_fp_ieee_overflow 0
		.amdhsa_exception_fp_ieee_underflow 0
		.amdhsa_exception_fp_ieee_inexact 0
		.amdhsa_exception_int_div_zero 0
	.end_amdhsa_kernel
	.section	.text._ZN7rocprim17ROCPRIM_400000_NS6detail17trampoline_kernelINS0_14default_configENS1_35adjacent_difference_config_selectorILb0EiEEZNS1_24adjacent_difference_implIS3_Lb0ELb0EPiS7_N6thrust23THRUST_200600_302600_NS4plusIiEEEE10hipError_tPvRmT2_T3_mT4_P12ihipStream_tbEUlT_E_NS1_11comp_targetILNS1_3genE10ELNS1_11target_archE1201ELNS1_3gpuE5ELNS1_3repE0EEENS1_30default_config_static_selectorELNS0_4arch9wavefront6targetE0EEEvT1_,"axG",@progbits,_ZN7rocprim17ROCPRIM_400000_NS6detail17trampoline_kernelINS0_14default_configENS1_35adjacent_difference_config_selectorILb0EiEEZNS1_24adjacent_difference_implIS3_Lb0ELb0EPiS7_N6thrust23THRUST_200600_302600_NS4plusIiEEEE10hipError_tPvRmT2_T3_mT4_P12ihipStream_tbEUlT_E_NS1_11comp_targetILNS1_3genE10ELNS1_11target_archE1201ELNS1_3gpuE5ELNS1_3repE0EEENS1_30default_config_static_selectorELNS0_4arch9wavefront6targetE0EEEvT1_,comdat
.Lfunc_end333:
	.size	_ZN7rocprim17ROCPRIM_400000_NS6detail17trampoline_kernelINS0_14default_configENS1_35adjacent_difference_config_selectorILb0EiEEZNS1_24adjacent_difference_implIS3_Lb0ELb0EPiS7_N6thrust23THRUST_200600_302600_NS4plusIiEEEE10hipError_tPvRmT2_T3_mT4_P12ihipStream_tbEUlT_E_NS1_11comp_targetILNS1_3genE10ELNS1_11target_archE1201ELNS1_3gpuE5ELNS1_3repE0EEENS1_30default_config_static_selectorELNS0_4arch9wavefront6targetE0EEEvT1_, .Lfunc_end333-_ZN7rocprim17ROCPRIM_400000_NS6detail17trampoline_kernelINS0_14default_configENS1_35adjacent_difference_config_selectorILb0EiEEZNS1_24adjacent_difference_implIS3_Lb0ELb0EPiS7_N6thrust23THRUST_200600_302600_NS4plusIiEEEE10hipError_tPvRmT2_T3_mT4_P12ihipStream_tbEUlT_E_NS1_11comp_targetILNS1_3genE10ELNS1_11target_archE1201ELNS1_3gpuE5ELNS1_3repE0EEENS1_30default_config_static_selectorELNS0_4arch9wavefront6targetE0EEEvT1_
                                        ; -- End function
	.section	.AMDGPU.csdata,"",@progbits
; Kernel info:
; codeLenInByte = 0
; NumSgprs: 0
; NumVgprs: 0
; ScratchSize: 0
; MemoryBound: 0
; FloatMode: 240
; IeeeMode: 1
; LDSByteSize: 0 bytes/workgroup (compile time only)
; SGPRBlocks: 0
; VGPRBlocks: 0
; NumSGPRsForWavesPerEU: 1
; NumVGPRsForWavesPerEU: 1
; Occupancy: 16
; WaveLimiterHint : 0
; COMPUTE_PGM_RSRC2:SCRATCH_EN: 0
; COMPUTE_PGM_RSRC2:USER_SGPR: 15
; COMPUTE_PGM_RSRC2:TRAP_HANDLER: 0
; COMPUTE_PGM_RSRC2:TGID_X_EN: 1
; COMPUTE_PGM_RSRC2:TGID_Y_EN: 0
; COMPUTE_PGM_RSRC2:TGID_Z_EN: 0
; COMPUTE_PGM_RSRC2:TIDIG_COMP_CNT: 0
	.section	.text._ZN7rocprim17ROCPRIM_400000_NS6detail17trampoline_kernelINS0_14default_configENS1_35adjacent_difference_config_selectorILb0EiEEZNS1_24adjacent_difference_implIS3_Lb0ELb0EPiS7_N6thrust23THRUST_200600_302600_NS4plusIiEEEE10hipError_tPvRmT2_T3_mT4_P12ihipStream_tbEUlT_E_NS1_11comp_targetILNS1_3genE5ELNS1_11target_archE942ELNS1_3gpuE9ELNS1_3repE0EEENS1_30default_config_static_selectorELNS0_4arch9wavefront6targetE0EEEvT1_,"axG",@progbits,_ZN7rocprim17ROCPRIM_400000_NS6detail17trampoline_kernelINS0_14default_configENS1_35adjacent_difference_config_selectorILb0EiEEZNS1_24adjacent_difference_implIS3_Lb0ELb0EPiS7_N6thrust23THRUST_200600_302600_NS4plusIiEEEE10hipError_tPvRmT2_T3_mT4_P12ihipStream_tbEUlT_E_NS1_11comp_targetILNS1_3genE5ELNS1_11target_archE942ELNS1_3gpuE9ELNS1_3repE0EEENS1_30default_config_static_selectorELNS0_4arch9wavefront6targetE0EEEvT1_,comdat
	.protected	_ZN7rocprim17ROCPRIM_400000_NS6detail17trampoline_kernelINS0_14default_configENS1_35adjacent_difference_config_selectorILb0EiEEZNS1_24adjacent_difference_implIS3_Lb0ELb0EPiS7_N6thrust23THRUST_200600_302600_NS4plusIiEEEE10hipError_tPvRmT2_T3_mT4_P12ihipStream_tbEUlT_E_NS1_11comp_targetILNS1_3genE5ELNS1_11target_archE942ELNS1_3gpuE9ELNS1_3repE0EEENS1_30default_config_static_selectorELNS0_4arch9wavefront6targetE0EEEvT1_ ; -- Begin function _ZN7rocprim17ROCPRIM_400000_NS6detail17trampoline_kernelINS0_14default_configENS1_35adjacent_difference_config_selectorILb0EiEEZNS1_24adjacent_difference_implIS3_Lb0ELb0EPiS7_N6thrust23THRUST_200600_302600_NS4plusIiEEEE10hipError_tPvRmT2_T3_mT4_P12ihipStream_tbEUlT_E_NS1_11comp_targetILNS1_3genE5ELNS1_11target_archE942ELNS1_3gpuE9ELNS1_3repE0EEENS1_30default_config_static_selectorELNS0_4arch9wavefront6targetE0EEEvT1_
	.globl	_ZN7rocprim17ROCPRIM_400000_NS6detail17trampoline_kernelINS0_14default_configENS1_35adjacent_difference_config_selectorILb0EiEEZNS1_24adjacent_difference_implIS3_Lb0ELb0EPiS7_N6thrust23THRUST_200600_302600_NS4plusIiEEEE10hipError_tPvRmT2_T3_mT4_P12ihipStream_tbEUlT_E_NS1_11comp_targetILNS1_3genE5ELNS1_11target_archE942ELNS1_3gpuE9ELNS1_3repE0EEENS1_30default_config_static_selectorELNS0_4arch9wavefront6targetE0EEEvT1_
	.p2align	8
	.type	_ZN7rocprim17ROCPRIM_400000_NS6detail17trampoline_kernelINS0_14default_configENS1_35adjacent_difference_config_selectorILb0EiEEZNS1_24adjacent_difference_implIS3_Lb0ELb0EPiS7_N6thrust23THRUST_200600_302600_NS4plusIiEEEE10hipError_tPvRmT2_T3_mT4_P12ihipStream_tbEUlT_E_NS1_11comp_targetILNS1_3genE5ELNS1_11target_archE942ELNS1_3gpuE9ELNS1_3repE0EEENS1_30default_config_static_selectorELNS0_4arch9wavefront6targetE0EEEvT1_,@function
_ZN7rocprim17ROCPRIM_400000_NS6detail17trampoline_kernelINS0_14default_configENS1_35adjacent_difference_config_selectorILb0EiEEZNS1_24adjacent_difference_implIS3_Lb0ELb0EPiS7_N6thrust23THRUST_200600_302600_NS4plusIiEEEE10hipError_tPvRmT2_T3_mT4_P12ihipStream_tbEUlT_E_NS1_11comp_targetILNS1_3genE5ELNS1_11target_archE942ELNS1_3gpuE9ELNS1_3repE0EEENS1_30default_config_static_selectorELNS0_4arch9wavefront6targetE0EEEvT1_: ; @_ZN7rocprim17ROCPRIM_400000_NS6detail17trampoline_kernelINS0_14default_configENS1_35adjacent_difference_config_selectorILb0EiEEZNS1_24adjacent_difference_implIS3_Lb0ELb0EPiS7_N6thrust23THRUST_200600_302600_NS4plusIiEEEE10hipError_tPvRmT2_T3_mT4_P12ihipStream_tbEUlT_E_NS1_11comp_targetILNS1_3genE5ELNS1_11target_archE942ELNS1_3gpuE9ELNS1_3repE0EEENS1_30default_config_static_selectorELNS0_4arch9wavefront6targetE0EEEvT1_
; %bb.0:
	.section	.rodata,"a",@progbits
	.p2align	6, 0x0
	.amdhsa_kernel _ZN7rocprim17ROCPRIM_400000_NS6detail17trampoline_kernelINS0_14default_configENS1_35adjacent_difference_config_selectorILb0EiEEZNS1_24adjacent_difference_implIS3_Lb0ELb0EPiS7_N6thrust23THRUST_200600_302600_NS4plusIiEEEE10hipError_tPvRmT2_T3_mT4_P12ihipStream_tbEUlT_E_NS1_11comp_targetILNS1_3genE5ELNS1_11target_archE942ELNS1_3gpuE9ELNS1_3repE0EEENS1_30default_config_static_selectorELNS0_4arch9wavefront6targetE0EEEvT1_
		.amdhsa_group_segment_fixed_size 0
		.amdhsa_private_segment_fixed_size 0
		.amdhsa_kernarg_size 56
		.amdhsa_user_sgpr_count 15
		.amdhsa_user_sgpr_dispatch_ptr 0
		.amdhsa_user_sgpr_queue_ptr 0
		.amdhsa_user_sgpr_kernarg_segment_ptr 1
		.amdhsa_user_sgpr_dispatch_id 0
		.amdhsa_user_sgpr_private_segment_size 0
		.amdhsa_wavefront_size32 1
		.amdhsa_uses_dynamic_stack 0
		.amdhsa_enable_private_segment 0
		.amdhsa_system_sgpr_workgroup_id_x 1
		.amdhsa_system_sgpr_workgroup_id_y 0
		.amdhsa_system_sgpr_workgroup_id_z 0
		.amdhsa_system_sgpr_workgroup_info 0
		.amdhsa_system_vgpr_workitem_id 0
		.amdhsa_next_free_vgpr 1
		.amdhsa_next_free_sgpr 1
		.amdhsa_reserve_vcc 0
		.amdhsa_float_round_mode_32 0
		.amdhsa_float_round_mode_16_64 0
		.amdhsa_float_denorm_mode_32 3
		.amdhsa_float_denorm_mode_16_64 3
		.amdhsa_dx10_clamp 1
		.amdhsa_ieee_mode 1
		.amdhsa_fp16_overflow 0
		.amdhsa_workgroup_processor_mode 1
		.amdhsa_memory_ordered 1
		.amdhsa_forward_progress 0
		.amdhsa_shared_vgpr_count 0
		.amdhsa_exception_fp_ieee_invalid_op 0
		.amdhsa_exception_fp_denorm_src 0
		.amdhsa_exception_fp_ieee_div_zero 0
		.amdhsa_exception_fp_ieee_overflow 0
		.amdhsa_exception_fp_ieee_underflow 0
		.amdhsa_exception_fp_ieee_inexact 0
		.amdhsa_exception_int_div_zero 0
	.end_amdhsa_kernel
	.section	.text._ZN7rocprim17ROCPRIM_400000_NS6detail17trampoline_kernelINS0_14default_configENS1_35adjacent_difference_config_selectorILb0EiEEZNS1_24adjacent_difference_implIS3_Lb0ELb0EPiS7_N6thrust23THRUST_200600_302600_NS4plusIiEEEE10hipError_tPvRmT2_T3_mT4_P12ihipStream_tbEUlT_E_NS1_11comp_targetILNS1_3genE5ELNS1_11target_archE942ELNS1_3gpuE9ELNS1_3repE0EEENS1_30default_config_static_selectorELNS0_4arch9wavefront6targetE0EEEvT1_,"axG",@progbits,_ZN7rocprim17ROCPRIM_400000_NS6detail17trampoline_kernelINS0_14default_configENS1_35adjacent_difference_config_selectorILb0EiEEZNS1_24adjacent_difference_implIS3_Lb0ELb0EPiS7_N6thrust23THRUST_200600_302600_NS4plusIiEEEE10hipError_tPvRmT2_T3_mT4_P12ihipStream_tbEUlT_E_NS1_11comp_targetILNS1_3genE5ELNS1_11target_archE942ELNS1_3gpuE9ELNS1_3repE0EEENS1_30default_config_static_selectorELNS0_4arch9wavefront6targetE0EEEvT1_,comdat
.Lfunc_end334:
	.size	_ZN7rocprim17ROCPRIM_400000_NS6detail17trampoline_kernelINS0_14default_configENS1_35adjacent_difference_config_selectorILb0EiEEZNS1_24adjacent_difference_implIS3_Lb0ELb0EPiS7_N6thrust23THRUST_200600_302600_NS4plusIiEEEE10hipError_tPvRmT2_T3_mT4_P12ihipStream_tbEUlT_E_NS1_11comp_targetILNS1_3genE5ELNS1_11target_archE942ELNS1_3gpuE9ELNS1_3repE0EEENS1_30default_config_static_selectorELNS0_4arch9wavefront6targetE0EEEvT1_, .Lfunc_end334-_ZN7rocprim17ROCPRIM_400000_NS6detail17trampoline_kernelINS0_14default_configENS1_35adjacent_difference_config_selectorILb0EiEEZNS1_24adjacent_difference_implIS3_Lb0ELb0EPiS7_N6thrust23THRUST_200600_302600_NS4plusIiEEEE10hipError_tPvRmT2_T3_mT4_P12ihipStream_tbEUlT_E_NS1_11comp_targetILNS1_3genE5ELNS1_11target_archE942ELNS1_3gpuE9ELNS1_3repE0EEENS1_30default_config_static_selectorELNS0_4arch9wavefront6targetE0EEEvT1_
                                        ; -- End function
	.section	.AMDGPU.csdata,"",@progbits
; Kernel info:
; codeLenInByte = 0
; NumSgprs: 0
; NumVgprs: 0
; ScratchSize: 0
; MemoryBound: 0
; FloatMode: 240
; IeeeMode: 1
; LDSByteSize: 0 bytes/workgroup (compile time only)
; SGPRBlocks: 0
; VGPRBlocks: 0
; NumSGPRsForWavesPerEU: 1
; NumVGPRsForWavesPerEU: 1
; Occupancy: 16
; WaveLimiterHint : 0
; COMPUTE_PGM_RSRC2:SCRATCH_EN: 0
; COMPUTE_PGM_RSRC2:USER_SGPR: 15
; COMPUTE_PGM_RSRC2:TRAP_HANDLER: 0
; COMPUTE_PGM_RSRC2:TGID_X_EN: 1
; COMPUTE_PGM_RSRC2:TGID_Y_EN: 0
; COMPUTE_PGM_RSRC2:TGID_Z_EN: 0
; COMPUTE_PGM_RSRC2:TIDIG_COMP_CNT: 0
	.section	.text._ZN7rocprim17ROCPRIM_400000_NS6detail17trampoline_kernelINS0_14default_configENS1_35adjacent_difference_config_selectorILb0EiEEZNS1_24adjacent_difference_implIS3_Lb0ELb0EPiS7_N6thrust23THRUST_200600_302600_NS4plusIiEEEE10hipError_tPvRmT2_T3_mT4_P12ihipStream_tbEUlT_E_NS1_11comp_targetILNS1_3genE4ELNS1_11target_archE910ELNS1_3gpuE8ELNS1_3repE0EEENS1_30default_config_static_selectorELNS0_4arch9wavefront6targetE0EEEvT1_,"axG",@progbits,_ZN7rocprim17ROCPRIM_400000_NS6detail17trampoline_kernelINS0_14default_configENS1_35adjacent_difference_config_selectorILb0EiEEZNS1_24adjacent_difference_implIS3_Lb0ELb0EPiS7_N6thrust23THRUST_200600_302600_NS4plusIiEEEE10hipError_tPvRmT2_T3_mT4_P12ihipStream_tbEUlT_E_NS1_11comp_targetILNS1_3genE4ELNS1_11target_archE910ELNS1_3gpuE8ELNS1_3repE0EEENS1_30default_config_static_selectorELNS0_4arch9wavefront6targetE0EEEvT1_,comdat
	.protected	_ZN7rocprim17ROCPRIM_400000_NS6detail17trampoline_kernelINS0_14default_configENS1_35adjacent_difference_config_selectorILb0EiEEZNS1_24adjacent_difference_implIS3_Lb0ELb0EPiS7_N6thrust23THRUST_200600_302600_NS4plusIiEEEE10hipError_tPvRmT2_T3_mT4_P12ihipStream_tbEUlT_E_NS1_11comp_targetILNS1_3genE4ELNS1_11target_archE910ELNS1_3gpuE8ELNS1_3repE0EEENS1_30default_config_static_selectorELNS0_4arch9wavefront6targetE0EEEvT1_ ; -- Begin function _ZN7rocprim17ROCPRIM_400000_NS6detail17trampoline_kernelINS0_14default_configENS1_35adjacent_difference_config_selectorILb0EiEEZNS1_24adjacent_difference_implIS3_Lb0ELb0EPiS7_N6thrust23THRUST_200600_302600_NS4plusIiEEEE10hipError_tPvRmT2_T3_mT4_P12ihipStream_tbEUlT_E_NS1_11comp_targetILNS1_3genE4ELNS1_11target_archE910ELNS1_3gpuE8ELNS1_3repE0EEENS1_30default_config_static_selectorELNS0_4arch9wavefront6targetE0EEEvT1_
	.globl	_ZN7rocprim17ROCPRIM_400000_NS6detail17trampoline_kernelINS0_14default_configENS1_35adjacent_difference_config_selectorILb0EiEEZNS1_24adjacent_difference_implIS3_Lb0ELb0EPiS7_N6thrust23THRUST_200600_302600_NS4plusIiEEEE10hipError_tPvRmT2_T3_mT4_P12ihipStream_tbEUlT_E_NS1_11comp_targetILNS1_3genE4ELNS1_11target_archE910ELNS1_3gpuE8ELNS1_3repE0EEENS1_30default_config_static_selectorELNS0_4arch9wavefront6targetE0EEEvT1_
	.p2align	8
	.type	_ZN7rocprim17ROCPRIM_400000_NS6detail17trampoline_kernelINS0_14default_configENS1_35adjacent_difference_config_selectorILb0EiEEZNS1_24adjacent_difference_implIS3_Lb0ELb0EPiS7_N6thrust23THRUST_200600_302600_NS4plusIiEEEE10hipError_tPvRmT2_T3_mT4_P12ihipStream_tbEUlT_E_NS1_11comp_targetILNS1_3genE4ELNS1_11target_archE910ELNS1_3gpuE8ELNS1_3repE0EEENS1_30default_config_static_selectorELNS0_4arch9wavefront6targetE0EEEvT1_,@function
_ZN7rocprim17ROCPRIM_400000_NS6detail17trampoline_kernelINS0_14default_configENS1_35adjacent_difference_config_selectorILb0EiEEZNS1_24adjacent_difference_implIS3_Lb0ELb0EPiS7_N6thrust23THRUST_200600_302600_NS4plusIiEEEE10hipError_tPvRmT2_T3_mT4_P12ihipStream_tbEUlT_E_NS1_11comp_targetILNS1_3genE4ELNS1_11target_archE910ELNS1_3gpuE8ELNS1_3repE0EEENS1_30default_config_static_selectorELNS0_4arch9wavefront6targetE0EEEvT1_: ; @_ZN7rocprim17ROCPRIM_400000_NS6detail17trampoline_kernelINS0_14default_configENS1_35adjacent_difference_config_selectorILb0EiEEZNS1_24adjacent_difference_implIS3_Lb0ELb0EPiS7_N6thrust23THRUST_200600_302600_NS4plusIiEEEE10hipError_tPvRmT2_T3_mT4_P12ihipStream_tbEUlT_E_NS1_11comp_targetILNS1_3genE4ELNS1_11target_archE910ELNS1_3gpuE8ELNS1_3repE0EEENS1_30default_config_static_selectorELNS0_4arch9wavefront6targetE0EEEvT1_
; %bb.0:
	.section	.rodata,"a",@progbits
	.p2align	6, 0x0
	.amdhsa_kernel _ZN7rocprim17ROCPRIM_400000_NS6detail17trampoline_kernelINS0_14default_configENS1_35adjacent_difference_config_selectorILb0EiEEZNS1_24adjacent_difference_implIS3_Lb0ELb0EPiS7_N6thrust23THRUST_200600_302600_NS4plusIiEEEE10hipError_tPvRmT2_T3_mT4_P12ihipStream_tbEUlT_E_NS1_11comp_targetILNS1_3genE4ELNS1_11target_archE910ELNS1_3gpuE8ELNS1_3repE0EEENS1_30default_config_static_selectorELNS0_4arch9wavefront6targetE0EEEvT1_
		.amdhsa_group_segment_fixed_size 0
		.amdhsa_private_segment_fixed_size 0
		.amdhsa_kernarg_size 56
		.amdhsa_user_sgpr_count 15
		.amdhsa_user_sgpr_dispatch_ptr 0
		.amdhsa_user_sgpr_queue_ptr 0
		.amdhsa_user_sgpr_kernarg_segment_ptr 1
		.amdhsa_user_sgpr_dispatch_id 0
		.amdhsa_user_sgpr_private_segment_size 0
		.amdhsa_wavefront_size32 1
		.amdhsa_uses_dynamic_stack 0
		.amdhsa_enable_private_segment 0
		.amdhsa_system_sgpr_workgroup_id_x 1
		.amdhsa_system_sgpr_workgroup_id_y 0
		.amdhsa_system_sgpr_workgroup_id_z 0
		.amdhsa_system_sgpr_workgroup_info 0
		.amdhsa_system_vgpr_workitem_id 0
		.amdhsa_next_free_vgpr 1
		.amdhsa_next_free_sgpr 1
		.amdhsa_reserve_vcc 0
		.amdhsa_float_round_mode_32 0
		.amdhsa_float_round_mode_16_64 0
		.amdhsa_float_denorm_mode_32 3
		.amdhsa_float_denorm_mode_16_64 3
		.amdhsa_dx10_clamp 1
		.amdhsa_ieee_mode 1
		.amdhsa_fp16_overflow 0
		.amdhsa_workgroup_processor_mode 1
		.amdhsa_memory_ordered 1
		.amdhsa_forward_progress 0
		.amdhsa_shared_vgpr_count 0
		.amdhsa_exception_fp_ieee_invalid_op 0
		.amdhsa_exception_fp_denorm_src 0
		.amdhsa_exception_fp_ieee_div_zero 0
		.amdhsa_exception_fp_ieee_overflow 0
		.amdhsa_exception_fp_ieee_underflow 0
		.amdhsa_exception_fp_ieee_inexact 0
		.amdhsa_exception_int_div_zero 0
	.end_amdhsa_kernel
	.section	.text._ZN7rocprim17ROCPRIM_400000_NS6detail17trampoline_kernelINS0_14default_configENS1_35adjacent_difference_config_selectorILb0EiEEZNS1_24adjacent_difference_implIS3_Lb0ELb0EPiS7_N6thrust23THRUST_200600_302600_NS4plusIiEEEE10hipError_tPvRmT2_T3_mT4_P12ihipStream_tbEUlT_E_NS1_11comp_targetILNS1_3genE4ELNS1_11target_archE910ELNS1_3gpuE8ELNS1_3repE0EEENS1_30default_config_static_selectorELNS0_4arch9wavefront6targetE0EEEvT1_,"axG",@progbits,_ZN7rocprim17ROCPRIM_400000_NS6detail17trampoline_kernelINS0_14default_configENS1_35adjacent_difference_config_selectorILb0EiEEZNS1_24adjacent_difference_implIS3_Lb0ELb0EPiS7_N6thrust23THRUST_200600_302600_NS4plusIiEEEE10hipError_tPvRmT2_T3_mT4_P12ihipStream_tbEUlT_E_NS1_11comp_targetILNS1_3genE4ELNS1_11target_archE910ELNS1_3gpuE8ELNS1_3repE0EEENS1_30default_config_static_selectorELNS0_4arch9wavefront6targetE0EEEvT1_,comdat
.Lfunc_end335:
	.size	_ZN7rocprim17ROCPRIM_400000_NS6detail17trampoline_kernelINS0_14default_configENS1_35adjacent_difference_config_selectorILb0EiEEZNS1_24adjacent_difference_implIS3_Lb0ELb0EPiS7_N6thrust23THRUST_200600_302600_NS4plusIiEEEE10hipError_tPvRmT2_T3_mT4_P12ihipStream_tbEUlT_E_NS1_11comp_targetILNS1_3genE4ELNS1_11target_archE910ELNS1_3gpuE8ELNS1_3repE0EEENS1_30default_config_static_selectorELNS0_4arch9wavefront6targetE0EEEvT1_, .Lfunc_end335-_ZN7rocprim17ROCPRIM_400000_NS6detail17trampoline_kernelINS0_14default_configENS1_35adjacent_difference_config_selectorILb0EiEEZNS1_24adjacent_difference_implIS3_Lb0ELb0EPiS7_N6thrust23THRUST_200600_302600_NS4plusIiEEEE10hipError_tPvRmT2_T3_mT4_P12ihipStream_tbEUlT_E_NS1_11comp_targetILNS1_3genE4ELNS1_11target_archE910ELNS1_3gpuE8ELNS1_3repE0EEENS1_30default_config_static_selectorELNS0_4arch9wavefront6targetE0EEEvT1_
                                        ; -- End function
	.section	.AMDGPU.csdata,"",@progbits
; Kernel info:
; codeLenInByte = 0
; NumSgprs: 0
; NumVgprs: 0
; ScratchSize: 0
; MemoryBound: 0
; FloatMode: 240
; IeeeMode: 1
; LDSByteSize: 0 bytes/workgroup (compile time only)
; SGPRBlocks: 0
; VGPRBlocks: 0
; NumSGPRsForWavesPerEU: 1
; NumVGPRsForWavesPerEU: 1
; Occupancy: 16
; WaveLimiterHint : 0
; COMPUTE_PGM_RSRC2:SCRATCH_EN: 0
; COMPUTE_PGM_RSRC2:USER_SGPR: 15
; COMPUTE_PGM_RSRC2:TRAP_HANDLER: 0
; COMPUTE_PGM_RSRC2:TGID_X_EN: 1
; COMPUTE_PGM_RSRC2:TGID_Y_EN: 0
; COMPUTE_PGM_RSRC2:TGID_Z_EN: 0
; COMPUTE_PGM_RSRC2:TIDIG_COMP_CNT: 0
	.section	.text._ZN7rocprim17ROCPRIM_400000_NS6detail17trampoline_kernelINS0_14default_configENS1_35adjacent_difference_config_selectorILb0EiEEZNS1_24adjacent_difference_implIS3_Lb0ELb0EPiS7_N6thrust23THRUST_200600_302600_NS4plusIiEEEE10hipError_tPvRmT2_T3_mT4_P12ihipStream_tbEUlT_E_NS1_11comp_targetILNS1_3genE3ELNS1_11target_archE908ELNS1_3gpuE7ELNS1_3repE0EEENS1_30default_config_static_selectorELNS0_4arch9wavefront6targetE0EEEvT1_,"axG",@progbits,_ZN7rocprim17ROCPRIM_400000_NS6detail17trampoline_kernelINS0_14default_configENS1_35adjacent_difference_config_selectorILb0EiEEZNS1_24adjacent_difference_implIS3_Lb0ELb0EPiS7_N6thrust23THRUST_200600_302600_NS4plusIiEEEE10hipError_tPvRmT2_T3_mT4_P12ihipStream_tbEUlT_E_NS1_11comp_targetILNS1_3genE3ELNS1_11target_archE908ELNS1_3gpuE7ELNS1_3repE0EEENS1_30default_config_static_selectorELNS0_4arch9wavefront6targetE0EEEvT1_,comdat
	.protected	_ZN7rocprim17ROCPRIM_400000_NS6detail17trampoline_kernelINS0_14default_configENS1_35adjacent_difference_config_selectorILb0EiEEZNS1_24adjacent_difference_implIS3_Lb0ELb0EPiS7_N6thrust23THRUST_200600_302600_NS4plusIiEEEE10hipError_tPvRmT2_T3_mT4_P12ihipStream_tbEUlT_E_NS1_11comp_targetILNS1_3genE3ELNS1_11target_archE908ELNS1_3gpuE7ELNS1_3repE0EEENS1_30default_config_static_selectorELNS0_4arch9wavefront6targetE0EEEvT1_ ; -- Begin function _ZN7rocprim17ROCPRIM_400000_NS6detail17trampoline_kernelINS0_14default_configENS1_35adjacent_difference_config_selectorILb0EiEEZNS1_24adjacent_difference_implIS3_Lb0ELb0EPiS7_N6thrust23THRUST_200600_302600_NS4plusIiEEEE10hipError_tPvRmT2_T3_mT4_P12ihipStream_tbEUlT_E_NS1_11comp_targetILNS1_3genE3ELNS1_11target_archE908ELNS1_3gpuE7ELNS1_3repE0EEENS1_30default_config_static_selectorELNS0_4arch9wavefront6targetE0EEEvT1_
	.globl	_ZN7rocprim17ROCPRIM_400000_NS6detail17trampoline_kernelINS0_14default_configENS1_35adjacent_difference_config_selectorILb0EiEEZNS1_24adjacent_difference_implIS3_Lb0ELb0EPiS7_N6thrust23THRUST_200600_302600_NS4plusIiEEEE10hipError_tPvRmT2_T3_mT4_P12ihipStream_tbEUlT_E_NS1_11comp_targetILNS1_3genE3ELNS1_11target_archE908ELNS1_3gpuE7ELNS1_3repE0EEENS1_30default_config_static_selectorELNS0_4arch9wavefront6targetE0EEEvT1_
	.p2align	8
	.type	_ZN7rocprim17ROCPRIM_400000_NS6detail17trampoline_kernelINS0_14default_configENS1_35adjacent_difference_config_selectorILb0EiEEZNS1_24adjacent_difference_implIS3_Lb0ELb0EPiS7_N6thrust23THRUST_200600_302600_NS4plusIiEEEE10hipError_tPvRmT2_T3_mT4_P12ihipStream_tbEUlT_E_NS1_11comp_targetILNS1_3genE3ELNS1_11target_archE908ELNS1_3gpuE7ELNS1_3repE0EEENS1_30default_config_static_selectorELNS0_4arch9wavefront6targetE0EEEvT1_,@function
_ZN7rocprim17ROCPRIM_400000_NS6detail17trampoline_kernelINS0_14default_configENS1_35adjacent_difference_config_selectorILb0EiEEZNS1_24adjacent_difference_implIS3_Lb0ELb0EPiS7_N6thrust23THRUST_200600_302600_NS4plusIiEEEE10hipError_tPvRmT2_T3_mT4_P12ihipStream_tbEUlT_E_NS1_11comp_targetILNS1_3genE3ELNS1_11target_archE908ELNS1_3gpuE7ELNS1_3repE0EEENS1_30default_config_static_selectorELNS0_4arch9wavefront6targetE0EEEvT1_: ; @_ZN7rocprim17ROCPRIM_400000_NS6detail17trampoline_kernelINS0_14default_configENS1_35adjacent_difference_config_selectorILb0EiEEZNS1_24adjacent_difference_implIS3_Lb0ELb0EPiS7_N6thrust23THRUST_200600_302600_NS4plusIiEEEE10hipError_tPvRmT2_T3_mT4_P12ihipStream_tbEUlT_E_NS1_11comp_targetILNS1_3genE3ELNS1_11target_archE908ELNS1_3gpuE7ELNS1_3repE0EEENS1_30default_config_static_selectorELNS0_4arch9wavefront6targetE0EEEvT1_
; %bb.0:
	.section	.rodata,"a",@progbits
	.p2align	6, 0x0
	.amdhsa_kernel _ZN7rocprim17ROCPRIM_400000_NS6detail17trampoline_kernelINS0_14default_configENS1_35adjacent_difference_config_selectorILb0EiEEZNS1_24adjacent_difference_implIS3_Lb0ELb0EPiS7_N6thrust23THRUST_200600_302600_NS4plusIiEEEE10hipError_tPvRmT2_T3_mT4_P12ihipStream_tbEUlT_E_NS1_11comp_targetILNS1_3genE3ELNS1_11target_archE908ELNS1_3gpuE7ELNS1_3repE0EEENS1_30default_config_static_selectorELNS0_4arch9wavefront6targetE0EEEvT1_
		.amdhsa_group_segment_fixed_size 0
		.amdhsa_private_segment_fixed_size 0
		.amdhsa_kernarg_size 56
		.amdhsa_user_sgpr_count 15
		.amdhsa_user_sgpr_dispatch_ptr 0
		.amdhsa_user_sgpr_queue_ptr 0
		.amdhsa_user_sgpr_kernarg_segment_ptr 1
		.amdhsa_user_sgpr_dispatch_id 0
		.amdhsa_user_sgpr_private_segment_size 0
		.amdhsa_wavefront_size32 1
		.amdhsa_uses_dynamic_stack 0
		.amdhsa_enable_private_segment 0
		.amdhsa_system_sgpr_workgroup_id_x 1
		.amdhsa_system_sgpr_workgroup_id_y 0
		.amdhsa_system_sgpr_workgroup_id_z 0
		.amdhsa_system_sgpr_workgroup_info 0
		.amdhsa_system_vgpr_workitem_id 0
		.amdhsa_next_free_vgpr 1
		.amdhsa_next_free_sgpr 1
		.amdhsa_reserve_vcc 0
		.amdhsa_float_round_mode_32 0
		.amdhsa_float_round_mode_16_64 0
		.amdhsa_float_denorm_mode_32 3
		.amdhsa_float_denorm_mode_16_64 3
		.amdhsa_dx10_clamp 1
		.amdhsa_ieee_mode 1
		.amdhsa_fp16_overflow 0
		.amdhsa_workgroup_processor_mode 1
		.amdhsa_memory_ordered 1
		.amdhsa_forward_progress 0
		.amdhsa_shared_vgpr_count 0
		.amdhsa_exception_fp_ieee_invalid_op 0
		.amdhsa_exception_fp_denorm_src 0
		.amdhsa_exception_fp_ieee_div_zero 0
		.amdhsa_exception_fp_ieee_overflow 0
		.amdhsa_exception_fp_ieee_underflow 0
		.amdhsa_exception_fp_ieee_inexact 0
		.amdhsa_exception_int_div_zero 0
	.end_amdhsa_kernel
	.section	.text._ZN7rocprim17ROCPRIM_400000_NS6detail17trampoline_kernelINS0_14default_configENS1_35adjacent_difference_config_selectorILb0EiEEZNS1_24adjacent_difference_implIS3_Lb0ELb0EPiS7_N6thrust23THRUST_200600_302600_NS4plusIiEEEE10hipError_tPvRmT2_T3_mT4_P12ihipStream_tbEUlT_E_NS1_11comp_targetILNS1_3genE3ELNS1_11target_archE908ELNS1_3gpuE7ELNS1_3repE0EEENS1_30default_config_static_selectorELNS0_4arch9wavefront6targetE0EEEvT1_,"axG",@progbits,_ZN7rocprim17ROCPRIM_400000_NS6detail17trampoline_kernelINS0_14default_configENS1_35adjacent_difference_config_selectorILb0EiEEZNS1_24adjacent_difference_implIS3_Lb0ELb0EPiS7_N6thrust23THRUST_200600_302600_NS4plusIiEEEE10hipError_tPvRmT2_T3_mT4_P12ihipStream_tbEUlT_E_NS1_11comp_targetILNS1_3genE3ELNS1_11target_archE908ELNS1_3gpuE7ELNS1_3repE0EEENS1_30default_config_static_selectorELNS0_4arch9wavefront6targetE0EEEvT1_,comdat
.Lfunc_end336:
	.size	_ZN7rocprim17ROCPRIM_400000_NS6detail17trampoline_kernelINS0_14default_configENS1_35adjacent_difference_config_selectorILb0EiEEZNS1_24adjacent_difference_implIS3_Lb0ELb0EPiS7_N6thrust23THRUST_200600_302600_NS4plusIiEEEE10hipError_tPvRmT2_T3_mT4_P12ihipStream_tbEUlT_E_NS1_11comp_targetILNS1_3genE3ELNS1_11target_archE908ELNS1_3gpuE7ELNS1_3repE0EEENS1_30default_config_static_selectorELNS0_4arch9wavefront6targetE0EEEvT1_, .Lfunc_end336-_ZN7rocprim17ROCPRIM_400000_NS6detail17trampoline_kernelINS0_14default_configENS1_35adjacent_difference_config_selectorILb0EiEEZNS1_24adjacent_difference_implIS3_Lb0ELb0EPiS7_N6thrust23THRUST_200600_302600_NS4plusIiEEEE10hipError_tPvRmT2_T3_mT4_P12ihipStream_tbEUlT_E_NS1_11comp_targetILNS1_3genE3ELNS1_11target_archE908ELNS1_3gpuE7ELNS1_3repE0EEENS1_30default_config_static_selectorELNS0_4arch9wavefront6targetE0EEEvT1_
                                        ; -- End function
	.section	.AMDGPU.csdata,"",@progbits
; Kernel info:
; codeLenInByte = 0
; NumSgprs: 0
; NumVgprs: 0
; ScratchSize: 0
; MemoryBound: 0
; FloatMode: 240
; IeeeMode: 1
; LDSByteSize: 0 bytes/workgroup (compile time only)
; SGPRBlocks: 0
; VGPRBlocks: 0
; NumSGPRsForWavesPerEU: 1
; NumVGPRsForWavesPerEU: 1
; Occupancy: 16
; WaveLimiterHint : 0
; COMPUTE_PGM_RSRC2:SCRATCH_EN: 0
; COMPUTE_PGM_RSRC2:USER_SGPR: 15
; COMPUTE_PGM_RSRC2:TRAP_HANDLER: 0
; COMPUTE_PGM_RSRC2:TGID_X_EN: 1
; COMPUTE_PGM_RSRC2:TGID_Y_EN: 0
; COMPUTE_PGM_RSRC2:TGID_Z_EN: 0
; COMPUTE_PGM_RSRC2:TIDIG_COMP_CNT: 0
	.section	.text._ZN7rocprim17ROCPRIM_400000_NS6detail17trampoline_kernelINS0_14default_configENS1_35adjacent_difference_config_selectorILb0EiEEZNS1_24adjacent_difference_implIS3_Lb0ELb0EPiS7_N6thrust23THRUST_200600_302600_NS4plusIiEEEE10hipError_tPvRmT2_T3_mT4_P12ihipStream_tbEUlT_E_NS1_11comp_targetILNS1_3genE2ELNS1_11target_archE906ELNS1_3gpuE6ELNS1_3repE0EEENS1_30default_config_static_selectorELNS0_4arch9wavefront6targetE0EEEvT1_,"axG",@progbits,_ZN7rocprim17ROCPRIM_400000_NS6detail17trampoline_kernelINS0_14default_configENS1_35adjacent_difference_config_selectorILb0EiEEZNS1_24adjacent_difference_implIS3_Lb0ELb0EPiS7_N6thrust23THRUST_200600_302600_NS4plusIiEEEE10hipError_tPvRmT2_T3_mT4_P12ihipStream_tbEUlT_E_NS1_11comp_targetILNS1_3genE2ELNS1_11target_archE906ELNS1_3gpuE6ELNS1_3repE0EEENS1_30default_config_static_selectorELNS0_4arch9wavefront6targetE0EEEvT1_,comdat
	.protected	_ZN7rocprim17ROCPRIM_400000_NS6detail17trampoline_kernelINS0_14default_configENS1_35adjacent_difference_config_selectorILb0EiEEZNS1_24adjacent_difference_implIS3_Lb0ELb0EPiS7_N6thrust23THRUST_200600_302600_NS4plusIiEEEE10hipError_tPvRmT2_T3_mT4_P12ihipStream_tbEUlT_E_NS1_11comp_targetILNS1_3genE2ELNS1_11target_archE906ELNS1_3gpuE6ELNS1_3repE0EEENS1_30default_config_static_selectorELNS0_4arch9wavefront6targetE0EEEvT1_ ; -- Begin function _ZN7rocprim17ROCPRIM_400000_NS6detail17trampoline_kernelINS0_14default_configENS1_35adjacent_difference_config_selectorILb0EiEEZNS1_24adjacent_difference_implIS3_Lb0ELb0EPiS7_N6thrust23THRUST_200600_302600_NS4plusIiEEEE10hipError_tPvRmT2_T3_mT4_P12ihipStream_tbEUlT_E_NS1_11comp_targetILNS1_3genE2ELNS1_11target_archE906ELNS1_3gpuE6ELNS1_3repE0EEENS1_30default_config_static_selectorELNS0_4arch9wavefront6targetE0EEEvT1_
	.globl	_ZN7rocprim17ROCPRIM_400000_NS6detail17trampoline_kernelINS0_14default_configENS1_35adjacent_difference_config_selectorILb0EiEEZNS1_24adjacent_difference_implIS3_Lb0ELb0EPiS7_N6thrust23THRUST_200600_302600_NS4plusIiEEEE10hipError_tPvRmT2_T3_mT4_P12ihipStream_tbEUlT_E_NS1_11comp_targetILNS1_3genE2ELNS1_11target_archE906ELNS1_3gpuE6ELNS1_3repE0EEENS1_30default_config_static_selectorELNS0_4arch9wavefront6targetE0EEEvT1_
	.p2align	8
	.type	_ZN7rocprim17ROCPRIM_400000_NS6detail17trampoline_kernelINS0_14default_configENS1_35adjacent_difference_config_selectorILb0EiEEZNS1_24adjacent_difference_implIS3_Lb0ELb0EPiS7_N6thrust23THRUST_200600_302600_NS4plusIiEEEE10hipError_tPvRmT2_T3_mT4_P12ihipStream_tbEUlT_E_NS1_11comp_targetILNS1_3genE2ELNS1_11target_archE906ELNS1_3gpuE6ELNS1_3repE0EEENS1_30default_config_static_selectorELNS0_4arch9wavefront6targetE0EEEvT1_,@function
_ZN7rocprim17ROCPRIM_400000_NS6detail17trampoline_kernelINS0_14default_configENS1_35adjacent_difference_config_selectorILb0EiEEZNS1_24adjacent_difference_implIS3_Lb0ELb0EPiS7_N6thrust23THRUST_200600_302600_NS4plusIiEEEE10hipError_tPvRmT2_T3_mT4_P12ihipStream_tbEUlT_E_NS1_11comp_targetILNS1_3genE2ELNS1_11target_archE906ELNS1_3gpuE6ELNS1_3repE0EEENS1_30default_config_static_selectorELNS0_4arch9wavefront6targetE0EEEvT1_: ; @_ZN7rocprim17ROCPRIM_400000_NS6detail17trampoline_kernelINS0_14default_configENS1_35adjacent_difference_config_selectorILb0EiEEZNS1_24adjacent_difference_implIS3_Lb0ELb0EPiS7_N6thrust23THRUST_200600_302600_NS4plusIiEEEE10hipError_tPvRmT2_T3_mT4_P12ihipStream_tbEUlT_E_NS1_11comp_targetILNS1_3genE2ELNS1_11target_archE906ELNS1_3gpuE6ELNS1_3repE0EEENS1_30default_config_static_selectorELNS0_4arch9wavefront6targetE0EEEvT1_
; %bb.0:
	.section	.rodata,"a",@progbits
	.p2align	6, 0x0
	.amdhsa_kernel _ZN7rocprim17ROCPRIM_400000_NS6detail17trampoline_kernelINS0_14default_configENS1_35adjacent_difference_config_selectorILb0EiEEZNS1_24adjacent_difference_implIS3_Lb0ELb0EPiS7_N6thrust23THRUST_200600_302600_NS4plusIiEEEE10hipError_tPvRmT2_T3_mT4_P12ihipStream_tbEUlT_E_NS1_11comp_targetILNS1_3genE2ELNS1_11target_archE906ELNS1_3gpuE6ELNS1_3repE0EEENS1_30default_config_static_selectorELNS0_4arch9wavefront6targetE0EEEvT1_
		.amdhsa_group_segment_fixed_size 0
		.amdhsa_private_segment_fixed_size 0
		.amdhsa_kernarg_size 56
		.amdhsa_user_sgpr_count 15
		.amdhsa_user_sgpr_dispatch_ptr 0
		.amdhsa_user_sgpr_queue_ptr 0
		.amdhsa_user_sgpr_kernarg_segment_ptr 1
		.amdhsa_user_sgpr_dispatch_id 0
		.amdhsa_user_sgpr_private_segment_size 0
		.amdhsa_wavefront_size32 1
		.amdhsa_uses_dynamic_stack 0
		.amdhsa_enable_private_segment 0
		.amdhsa_system_sgpr_workgroup_id_x 1
		.amdhsa_system_sgpr_workgroup_id_y 0
		.amdhsa_system_sgpr_workgroup_id_z 0
		.amdhsa_system_sgpr_workgroup_info 0
		.amdhsa_system_vgpr_workitem_id 0
		.amdhsa_next_free_vgpr 1
		.amdhsa_next_free_sgpr 1
		.amdhsa_reserve_vcc 0
		.amdhsa_float_round_mode_32 0
		.amdhsa_float_round_mode_16_64 0
		.amdhsa_float_denorm_mode_32 3
		.amdhsa_float_denorm_mode_16_64 3
		.amdhsa_dx10_clamp 1
		.amdhsa_ieee_mode 1
		.amdhsa_fp16_overflow 0
		.amdhsa_workgroup_processor_mode 1
		.amdhsa_memory_ordered 1
		.amdhsa_forward_progress 0
		.amdhsa_shared_vgpr_count 0
		.amdhsa_exception_fp_ieee_invalid_op 0
		.amdhsa_exception_fp_denorm_src 0
		.amdhsa_exception_fp_ieee_div_zero 0
		.amdhsa_exception_fp_ieee_overflow 0
		.amdhsa_exception_fp_ieee_underflow 0
		.amdhsa_exception_fp_ieee_inexact 0
		.amdhsa_exception_int_div_zero 0
	.end_amdhsa_kernel
	.section	.text._ZN7rocprim17ROCPRIM_400000_NS6detail17trampoline_kernelINS0_14default_configENS1_35adjacent_difference_config_selectorILb0EiEEZNS1_24adjacent_difference_implIS3_Lb0ELb0EPiS7_N6thrust23THRUST_200600_302600_NS4plusIiEEEE10hipError_tPvRmT2_T3_mT4_P12ihipStream_tbEUlT_E_NS1_11comp_targetILNS1_3genE2ELNS1_11target_archE906ELNS1_3gpuE6ELNS1_3repE0EEENS1_30default_config_static_selectorELNS0_4arch9wavefront6targetE0EEEvT1_,"axG",@progbits,_ZN7rocprim17ROCPRIM_400000_NS6detail17trampoline_kernelINS0_14default_configENS1_35adjacent_difference_config_selectorILb0EiEEZNS1_24adjacent_difference_implIS3_Lb0ELb0EPiS7_N6thrust23THRUST_200600_302600_NS4plusIiEEEE10hipError_tPvRmT2_T3_mT4_P12ihipStream_tbEUlT_E_NS1_11comp_targetILNS1_3genE2ELNS1_11target_archE906ELNS1_3gpuE6ELNS1_3repE0EEENS1_30default_config_static_selectorELNS0_4arch9wavefront6targetE0EEEvT1_,comdat
.Lfunc_end337:
	.size	_ZN7rocprim17ROCPRIM_400000_NS6detail17trampoline_kernelINS0_14default_configENS1_35adjacent_difference_config_selectorILb0EiEEZNS1_24adjacent_difference_implIS3_Lb0ELb0EPiS7_N6thrust23THRUST_200600_302600_NS4plusIiEEEE10hipError_tPvRmT2_T3_mT4_P12ihipStream_tbEUlT_E_NS1_11comp_targetILNS1_3genE2ELNS1_11target_archE906ELNS1_3gpuE6ELNS1_3repE0EEENS1_30default_config_static_selectorELNS0_4arch9wavefront6targetE0EEEvT1_, .Lfunc_end337-_ZN7rocprim17ROCPRIM_400000_NS6detail17trampoline_kernelINS0_14default_configENS1_35adjacent_difference_config_selectorILb0EiEEZNS1_24adjacent_difference_implIS3_Lb0ELb0EPiS7_N6thrust23THRUST_200600_302600_NS4plusIiEEEE10hipError_tPvRmT2_T3_mT4_P12ihipStream_tbEUlT_E_NS1_11comp_targetILNS1_3genE2ELNS1_11target_archE906ELNS1_3gpuE6ELNS1_3repE0EEENS1_30default_config_static_selectorELNS0_4arch9wavefront6targetE0EEEvT1_
                                        ; -- End function
	.section	.AMDGPU.csdata,"",@progbits
; Kernel info:
; codeLenInByte = 0
; NumSgprs: 0
; NumVgprs: 0
; ScratchSize: 0
; MemoryBound: 0
; FloatMode: 240
; IeeeMode: 1
; LDSByteSize: 0 bytes/workgroup (compile time only)
; SGPRBlocks: 0
; VGPRBlocks: 0
; NumSGPRsForWavesPerEU: 1
; NumVGPRsForWavesPerEU: 1
; Occupancy: 16
; WaveLimiterHint : 0
; COMPUTE_PGM_RSRC2:SCRATCH_EN: 0
; COMPUTE_PGM_RSRC2:USER_SGPR: 15
; COMPUTE_PGM_RSRC2:TRAP_HANDLER: 0
; COMPUTE_PGM_RSRC2:TGID_X_EN: 1
; COMPUTE_PGM_RSRC2:TGID_Y_EN: 0
; COMPUTE_PGM_RSRC2:TGID_Z_EN: 0
; COMPUTE_PGM_RSRC2:TIDIG_COMP_CNT: 0
	.section	.text._ZN7rocprim17ROCPRIM_400000_NS6detail17trampoline_kernelINS0_14default_configENS1_35adjacent_difference_config_selectorILb0EiEEZNS1_24adjacent_difference_implIS3_Lb0ELb0EPiS7_N6thrust23THRUST_200600_302600_NS4plusIiEEEE10hipError_tPvRmT2_T3_mT4_P12ihipStream_tbEUlT_E_NS1_11comp_targetILNS1_3genE9ELNS1_11target_archE1100ELNS1_3gpuE3ELNS1_3repE0EEENS1_30default_config_static_selectorELNS0_4arch9wavefront6targetE0EEEvT1_,"axG",@progbits,_ZN7rocprim17ROCPRIM_400000_NS6detail17trampoline_kernelINS0_14default_configENS1_35adjacent_difference_config_selectorILb0EiEEZNS1_24adjacent_difference_implIS3_Lb0ELb0EPiS7_N6thrust23THRUST_200600_302600_NS4plusIiEEEE10hipError_tPvRmT2_T3_mT4_P12ihipStream_tbEUlT_E_NS1_11comp_targetILNS1_3genE9ELNS1_11target_archE1100ELNS1_3gpuE3ELNS1_3repE0EEENS1_30default_config_static_selectorELNS0_4arch9wavefront6targetE0EEEvT1_,comdat
	.protected	_ZN7rocprim17ROCPRIM_400000_NS6detail17trampoline_kernelINS0_14default_configENS1_35adjacent_difference_config_selectorILb0EiEEZNS1_24adjacent_difference_implIS3_Lb0ELb0EPiS7_N6thrust23THRUST_200600_302600_NS4plusIiEEEE10hipError_tPvRmT2_T3_mT4_P12ihipStream_tbEUlT_E_NS1_11comp_targetILNS1_3genE9ELNS1_11target_archE1100ELNS1_3gpuE3ELNS1_3repE0EEENS1_30default_config_static_selectorELNS0_4arch9wavefront6targetE0EEEvT1_ ; -- Begin function _ZN7rocprim17ROCPRIM_400000_NS6detail17trampoline_kernelINS0_14default_configENS1_35adjacent_difference_config_selectorILb0EiEEZNS1_24adjacent_difference_implIS3_Lb0ELb0EPiS7_N6thrust23THRUST_200600_302600_NS4plusIiEEEE10hipError_tPvRmT2_T3_mT4_P12ihipStream_tbEUlT_E_NS1_11comp_targetILNS1_3genE9ELNS1_11target_archE1100ELNS1_3gpuE3ELNS1_3repE0EEENS1_30default_config_static_selectorELNS0_4arch9wavefront6targetE0EEEvT1_
	.globl	_ZN7rocprim17ROCPRIM_400000_NS6detail17trampoline_kernelINS0_14default_configENS1_35adjacent_difference_config_selectorILb0EiEEZNS1_24adjacent_difference_implIS3_Lb0ELb0EPiS7_N6thrust23THRUST_200600_302600_NS4plusIiEEEE10hipError_tPvRmT2_T3_mT4_P12ihipStream_tbEUlT_E_NS1_11comp_targetILNS1_3genE9ELNS1_11target_archE1100ELNS1_3gpuE3ELNS1_3repE0EEENS1_30default_config_static_selectorELNS0_4arch9wavefront6targetE0EEEvT1_
	.p2align	8
	.type	_ZN7rocprim17ROCPRIM_400000_NS6detail17trampoline_kernelINS0_14default_configENS1_35adjacent_difference_config_selectorILb0EiEEZNS1_24adjacent_difference_implIS3_Lb0ELb0EPiS7_N6thrust23THRUST_200600_302600_NS4plusIiEEEE10hipError_tPvRmT2_T3_mT4_P12ihipStream_tbEUlT_E_NS1_11comp_targetILNS1_3genE9ELNS1_11target_archE1100ELNS1_3gpuE3ELNS1_3repE0EEENS1_30default_config_static_selectorELNS0_4arch9wavefront6targetE0EEEvT1_,@function
_ZN7rocprim17ROCPRIM_400000_NS6detail17trampoline_kernelINS0_14default_configENS1_35adjacent_difference_config_selectorILb0EiEEZNS1_24adjacent_difference_implIS3_Lb0ELb0EPiS7_N6thrust23THRUST_200600_302600_NS4plusIiEEEE10hipError_tPvRmT2_T3_mT4_P12ihipStream_tbEUlT_E_NS1_11comp_targetILNS1_3genE9ELNS1_11target_archE1100ELNS1_3gpuE3ELNS1_3repE0EEENS1_30default_config_static_selectorELNS0_4arch9wavefront6targetE0EEEvT1_: ; @_ZN7rocprim17ROCPRIM_400000_NS6detail17trampoline_kernelINS0_14default_configENS1_35adjacent_difference_config_selectorILb0EiEEZNS1_24adjacent_difference_implIS3_Lb0ELb0EPiS7_N6thrust23THRUST_200600_302600_NS4plusIiEEEE10hipError_tPvRmT2_T3_mT4_P12ihipStream_tbEUlT_E_NS1_11comp_targetILNS1_3genE9ELNS1_11target_archE1100ELNS1_3gpuE3ELNS1_3repE0EEENS1_30default_config_static_selectorELNS0_4arch9wavefront6targetE0EEEvT1_
; %bb.0:
	s_load_b256 s[4:11], s[0:1], 0x0
	s_mov_b32 s2, 0x2cccca00
	s_waitcnt lgkmcnt(0)
	s_lshl_b64 s[6:7], s[6:7], 2
	s_delay_alu instid0(SALU_CYCLE_1) | instskip(SKIP_4) | instid1(VALU_DEP_1)
	s_add_u32 s17, s4, s6
	s_addc_u32 s18, s5, s7
	s_add_u32 s2, 0x230, s2
	s_addc_u32 s3, 0, 0
	v_add_co_u32 v1, s2, 0xa0000000, s2
	s_cmp_lg_u32 s2, 0
	s_addc_u32 s3, s3, 0xccccc
	s_delay_alu instid0(VALU_DEP_1) | instskip(SKIP_1) | instid1(VALU_DEP_1)
	v_readfirstlane_b32 s2, v1
	s_mul_i32 s4, s3, 0xffffec00
	s_mul_hi_u32 s5, s2, 0xffffec00
	s_mul_i32 s12, s2, 0xffffec00
	s_sub_i32 s5, s5, s2
	s_mul_hi_u32 s13, s2, s12
	s_add_i32 s5, s5, s4
	s_mul_hi_u32 s14, s3, s12
	s_mul_i32 s4, s3, s12
	s_mul_hi_u32 s12, s2, s5
	s_mul_i32 s2, s2, s5
	s_mul_hi_u32 s16, s3, s5
	s_add_u32 s2, s13, s2
	s_addc_u32 s12, 0, s12
	s_add_u32 s2, s2, s4
	s_mul_i32 s5, s3, s5
	s_addc_u32 s2, s12, s14
	s_addc_u32 s4, s16, 0
	s_add_u32 s2, s2, s5
	s_addc_u32 s4, 0, s4
	v_add_co_u32 v1, s2, v1, s2
	s_delay_alu instid0(VALU_DEP_1) | instskip(SKIP_1) | instid1(VALU_DEP_1)
	s_cmp_lg_u32 s2, 0
	s_addc_u32 s2, s3, s4
	v_readfirstlane_b32 s3, v1
	s_mul_i32 s5, s10, s2
	s_mul_hi_u32 s4, s10, s2
	s_mul_hi_u32 s12, s11, s2
	s_mul_i32 s2, s11, s2
	s_mul_hi_u32 s13, s10, s3
	s_mul_hi_u32 s14, s11, s3
	s_mul_i32 s3, s11, s3
	s_add_u32 s5, s13, s5
	s_addc_u32 s4, 0, s4
	s_add_u32 s3, s5, s3
	s_addc_u32 s3, s4, s14
	s_addc_u32 s4, s12, 0
	s_add_u32 s5, s3, s2
	s_addc_u32 s4, 0, s4
	s_mul_i32 s3, s5, 0x1400
	s_add_u32 s2, s5, 1
	v_sub_co_u32 v1, s3, s10, s3
	s_mul_hi_u32 s12, s5, 0x1400
	s_addc_u32 s13, s4, 0
	s_mul_i32 s14, s4, 0x1400
	s_delay_alu instid0(VALU_DEP_1)
	v_subrev_co_u32 v2, s16, 0x1400, v1
	s_add_u32 s19, s5, 2
	s_addc_u32 s20, s4, 0
	s_add_i32 s12, s12, s14
	s_cmp_lg_u32 s3, 0
	v_readfirstlane_b32 s3, v2
	s_subb_u32 s12, s11, s12
	s_cmp_lg_u32 s16, 0
	s_subb_u32 s14, s12, 0
	s_delay_alu instid0(VALU_DEP_1) | instskip(SKIP_4) | instid1(SALU_CYCLE_1)
	s_cmpk_gt_u32 s3, 0x13ff
	s_cselect_b32 s3, -1, 0
	s_cmp_eq_u32 s14, 0
	v_readfirstlane_b32 s14, v1
	s_cselect_b32 s3, s3, -1
	s_cmp_lg_u32 s3, 0
	s_cselect_b32 s16, s19, s2
	s_cselect_b32 s13, s20, s13
	s_cmpk_gt_u32 s14, 0x13ff
	s_mov_b32 s14, -1
	s_cselect_b32 s2, -1, 0
	s_cmp_eq_u32 s12, 0
	s_cselect_b32 s2, s2, -1
	s_delay_alu instid0(SALU_CYCLE_1)
	s_cmp_lg_u32 s2, 0
	s_load_b64 s[2:3], s[0:1], 0x30
	s_cselect_b32 s4, s13, s4
	s_cselect_b32 s5, s16, s5
	s_mul_i32 s0, s4, 0x1400
	s_mul_hi_u32 s1, s5, 0x1400
	s_mul_i32 s12, s5, 0x1400
	s_add_i32 s1, s1, s0
	s_sub_u32 s0, s10, s12
	s_subb_u32 s1, s11, s1
	s_delay_alu instid0(SALU_CYCLE_1) | instskip(SKIP_1) | instid1(SALU_CYCLE_1)
	s_cmp_lg_u64 s[0:1], 0
	s_cselect_b32 s0, -1, 0
	v_cndmask_b32_e64 v1, 0, 1, s0
	s_delay_alu instid0(VALU_DEP_1) | instskip(NEXT) | instid1(VALU_DEP_1)
	v_readfirstlane_b32 s0, v1
	s_add_u32 s0, s5, s0
	s_addc_u32 s1, s4, 0
	s_waitcnt lgkmcnt(0)
	s_add_u32 s4, s2, s15
	s_addc_u32 s5, s3, 0
	s_add_u32 s12, s0, -1
	s_addc_u32 s13, s1, -1
	s_mul_i32 s2, s15, 0x1400
	v_cmp_ge_u64_e64 s16, s[4:5], s[12:13]
	s_mov_b32 s3, 0
	s_mul_i32 s11, s12, 0xffffec00
	s_delay_alu instid0(VALU_DEP_1)
	s_and_b32 vcc_lo, exec_lo, s16
	s_cbranch_vccz .LBB338_12
; %bb.1:
	s_lshl_b64 s[14:15], s[2:3], 2
	s_add_i32 s19, s11, s10
	s_add_u32 s14, s17, s14
	s_addc_u32 s15, s18, s15
	s_mov_b32 s3, exec_lo
                                        ; implicit-def: $vgpr1_vgpr2_vgpr3_vgpr4_vgpr5
	v_cmpx_gt_u32_e64 s19, v0
	s_cbranch_execz .LBB338_3
; %bb.2:
	v_lshlrev_b32_e32 v1, 2, v0
	global_load_b32 v1, v1, s[14:15]
.LBB338_3:
	s_or_b32 exec_lo, exec_lo, s3
	v_or_b32_e32 v6, 0x400, v0
	s_mov_b32 s3, exec_lo
	s_delay_alu instid0(VALU_DEP_1)
	v_cmpx_gt_u32_e64 s19, v6
	s_cbranch_execz .LBB338_5
; %bb.4:
	v_lshlrev_b32_e32 v2, 2, v6
	global_load_b32 v2, v2, s[14:15]
.LBB338_5:
	s_or_b32 exec_lo, exec_lo, s3
	v_or_b32_e32 v6, 0x800, v0
	s_mov_b32 s3, exec_lo
	s_delay_alu instid0(VALU_DEP_1)
	;; [unrolled: 10-line block ×4, first 2 shown]
	v_cmpx_gt_u32_e64 s19, v6
	s_cbranch_execz .LBB338_11
; %bb.10:
	v_lshlrev_b32_e32 v5, 2, v6
	global_load_b32 v5, v5, s[14:15]
.LBB338_11:
	s_or_b32 exec_lo, exec_lo, s3
	v_lshlrev_b32_e32 v6, 2, v0
	s_mov_b32 s14, 0
	s_waitcnt vmcnt(0)
	ds_store_2addr_stride64_b32 v6, v1, v2 offset1:16
	ds_store_2addr_stride64_b32 v6, v3, v4 offset0:32 offset1:48
	ds_store_b32 v6, v5 offset:16384
	s_waitcnt lgkmcnt(0)
	s_barrier
.LBB338_12:
	v_lshlrev_b32_e32 v8, 2, v0
	s_and_b32 vcc_lo, exec_lo, s14
	s_cbranch_vccz .LBB338_14
; %bb.13:
	s_mov_b32 s3, 0
	s_delay_alu instid0(SALU_CYCLE_1) | instskip(NEXT) | instid1(SALU_CYCLE_1)
	s_lshl_b64 s[14:15], s[2:3], 2
	s_add_u32 s14, s17, s14
	s_addc_u32 s15, s18, s15
	v_add_co_u32 v3, s3, s14, v8
	s_delay_alu instid0(VALU_DEP_1) | instskip(NEXT) | instid1(VALU_DEP_2)
	v_add_co_ci_u32_e64 v4, null, s15, 0, s3
	v_add_co_u32 v1, vcc_lo, v3, 0x2000
	s_delay_alu instid0(VALU_DEP_2)
	v_add_co_ci_u32_e32 v2, vcc_lo, 0, v4, vcc_lo
	v_add_co_u32 v3, vcc_lo, v3, 0x4000
	v_add_co_ci_u32_e32 v4, vcc_lo, 0, v4, vcc_lo
	s_clause 0x4
	global_load_b32 v5, v8, s[14:15]
	global_load_b32 v6, v[1:2], off offset:-4096
	global_load_b32 v1, v[1:2], off
	global_load_b32 v2, v[3:4], off offset:-4096
	global_load_b32 v3, v[3:4], off
	s_waitcnt vmcnt(3)
	ds_store_2addr_stride64_b32 v8, v5, v6 offset1:16
	s_waitcnt vmcnt(1)
	ds_store_2addr_stride64_b32 v8, v1, v2 offset0:32 offset1:48
	s_waitcnt vmcnt(0)
	ds_store_b32 v8, v3 offset:16384
	s_waitcnt lgkmcnt(0)
	s_barrier
.LBB338_14:
	v_mul_u32_u24_e32 v1, 5, v0
	buffer_gl0_inv
	s_cmp_eq_u64 s[4:5], 0
	v_lshlrev_b32_e32 v5, 2, v1
	ds_load_2addr_b32 v[1:2], v5 offset1:1
	ds_load_2addr_b32 v[3:4], v5 offset0:2 offset1:3
	ds_load_b32 v5, v5 offset:16
	s_waitcnt lgkmcnt(0)
	s_barrier
	buffer_gl0_inv
	s_cbranch_scc1 .LBB338_19
; %bb.15:
	s_mov_b32 s3, 0
	s_delay_alu instid0(SALU_CYCLE_1) | instskip(NEXT) | instid1(SALU_CYCLE_1)
	s_lshl_b64 s[14:15], s[2:3], 2
	s_add_u32 s3, s17, s14
	s_addc_u32 s15, s18, s15
	s_add_u32 s14, s3, -4
	s_addc_u32 s15, s15, -1
	s_cmp_eq_u64 s[4:5], s[12:13]
	s_load_b32 s3, s[14:15], 0x0
	s_cbranch_scc1 .LBB338_20
; %bb.16:
	s_waitcnt lgkmcnt(0)
	v_mov_b32_e32 v6, s3
	s_mov_b32 s5, exec_lo
	ds_store_b32 v8, v5
	s_waitcnt lgkmcnt(0)
	s_barrier
	buffer_gl0_inv
	v_cmpx_ne_u32_e32 0, v0
	s_cbranch_execz .LBB338_18
; %bb.17:
	v_add_nc_u32_e32 v6, -4, v8
	ds_load_b32 v6, v6
.LBB338_18:
	s_or_b32 exec_lo, exec_lo, s5
	v_add_nc_u32_e32 v9, v5, v4
	v_add_nc_u32_e32 v10, v4, v3
	;; [unrolled: 1-line block ×4, first 2 shown]
	s_cbranch_execz .LBB338_21
	s_branch .LBB338_24
.LBB338_19:
	s_mov_b32 s3, 0
                                        ; implicit-def: $vgpr9
                                        ; implicit-def: $vgpr10
                                        ; implicit-def: $vgpr11
                                        ; implicit-def: $vgpr12
                                        ; implicit-def: $vgpr6
	s_branch .LBB338_25
.LBB338_20:
                                        ; implicit-def: $vgpr9
                                        ; implicit-def: $vgpr10
                                        ; implicit-def: $vgpr11
                                        ; implicit-def: $vgpr12
                                        ; implicit-def: $vgpr6
.LBB338_21:
	s_waitcnt lgkmcnt(0)
	v_mul_u32_u24_e32 v6, 5, v0
	v_mov_b32_e32 v7, s3
	s_mov_b32 s3, exec_lo
	ds_store_b32 v8, v5
	s_waitcnt lgkmcnt(0)
	s_barrier
	buffer_gl0_inv
	v_cmpx_ne_u32_e32 0, v0
	s_cbranch_execz .LBB338_23
; %bb.22:
	v_add_nc_u32_e32 v7, -4, v8
	ds_load_b32 v7, v7
.LBB338_23:
	s_or_b32 exec_lo, exec_lo, s3
	v_add_nc_u32_e32 v11, v4, v3
	v_add_nc_u32_e32 v9, 4, v6
	s_mul_i32 s3, s4, 0xffffec00
	v_add_nc_u32_e32 v13, v3, v2
	s_add_i32 s3, s3, s10
	v_add_nc_u32_e32 v10, v5, v4
	v_cmp_gt_u32_e32 vcc_lo, s3, v9
	v_add_nc_u32_e32 v15, v2, v1
	v_add_nc_u32_e32 v12, 2, v6
	;; [unrolled: 1-line block ×3, first 2 shown]
	v_cndmask_b32_e32 v9, v5, v10, vcc_lo
	v_add_nc_u32_e32 v10, 3, v6
	s_delay_alu instid0(VALU_DEP_1)
	v_cmp_gt_u32_e32 vcc_lo, s3, v10
	v_cndmask_b32_e32 v10, v4, v11, vcc_lo
	v_cmp_gt_u32_e32 vcc_lo, s3, v12
	v_cndmask_b32_e32 v11, v3, v13, vcc_lo
	;; [unrolled: 2-line block ×3, first 2 shown]
	v_cmp_gt_u32_e32 vcc_lo, s3, v6
	s_waitcnt lgkmcnt(0)
	v_cndmask_b32_e32 v6, 0, v7, vcc_lo
.LBB338_24:
	s_waitcnt lgkmcnt(0)
	s_mov_b32 s3, -1
	s_cbranch_execnz .LBB338_33
.LBB338_25:
	v_add_nc_u32_e32 v9, v5, v4
	v_add_nc_u32_e32 v10, v4, v3
	;; [unrolled: 1-line block ×4, first 2 shown]
	v_cmp_ne_u32_e32 vcc_lo, 0, v0
	s_cmp_lg_u64 s[0:1], 1
	s_cbranch_scc0 .LBB338_29
; %bb.26:
	s_mov_b32 s0, 0
	ds_store_b32 v8, v5
	s_waitcnt lgkmcnt(0)
	s_barrier
	buffer_gl0_inv
                                        ; implicit-def: $vgpr6
	s_and_saveexec_b32 s1, vcc_lo
	s_cbranch_execz .LBB338_28
; %bb.27:
	v_add_nc_u32_e32 v6, -4, v8
	s_or_b32 s3, s3, exec_lo
	ds_load_b32 v6, v6
.LBB338_28:
	s_or_b32 exec_lo, exec_lo, s1
	s_delay_alu instid0(SALU_CYCLE_1)
	s_and_b32 vcc_lo, exec_lo, s0
	s_cbranch_vccnz .LBB338_30
	s_branch .LBB338_33
.LBB338_29:
                                        ; implicit-def: $vgpr6
	s_cbranch_execz .LBB338_33
.LBB338_30:
	s_waitcnt lgkmcnt(0)
	v_mad_u32_u24 v6, v0, 5, 4
	v_mad_u32_u24 v7, v0, 5, 3
	;; [unrolled: 1-line block ×3, first 2 shown]
	v_mul_u32_u24_e32 v13, 5, v0
	ds_store_b32 v8, v5
	v_cmp_gt_u32_e32 vcc_lo, s10, v6
	s_waitcnt lgkmcnt(0)
	s_barrier
	v_cmp_gt_u32_e64 s0, s10, v13
	buffer_gl0_inv
	v_cndmask_b32_e32 v9, v5, v9, vcc_lo
	v_cmp_gt_u32_e32 vcc_lo, s10, v7
                                        ; implicit-def: $vgpr6
	v_cndmask_b32_e32 v10, v4, v10, vcc_lo
	v_mad_u32_u24 v4, v0, 5, 1
	v_cmp_gt_u32_e32 vcc_lo, s10, v14
	s_delay_alu instid0(VALU_DEP_2) | instskip(SKIP_2) | instid1(VALU_DEP_3)
	v_cmp_gt_u32_e64 s1, s10, v4
	v_cndmask_b32_e32 v11, v3, v11, vcc_lo
	v_cmp_ne_u32_e32 vcc_lo, 0, v0
	v_cndmask_b32_e64 v12, v2, v12, s1
	s_and_b32 s1, vcc_lo, s0
	s_delay_alu instid0(SALU_CYCLE_1)
	s_and_saveexec_b32 s0, s1
	s_cbranch_execz .LBB338_32
; %bb.31:
	v_add_nc_u32_e32 v2, -4, v8
	s_or_b32 s3, s3, exec_lo
	ds_load_b32 v6, v2
.LBB338_32:
	s_or_b32 exec_lo, exec_lo, s0
.LBB338_33:
	s_and_saveexec_b32 s0, s3
	s_cbranch_execz .LBB338_35
; %bb.34:
	s_waitcnt lgkmcnt(0)
	v_add_nc_u32_e32 v1, v6, v1
.LBB338_35:
	s_or_b32 exec_lo, exec_lo, s0
	v_mul_u32_u24_e32 v13, 20, v0
	v_lshlrev_b32_e32 v14, 4, v0
	s_add_u32 s1, s8, s6
	s_addc_u32 s0, s9, s7
	s_and_b32 vcc_lo, exec_lo, s16
	s_waitcnt lgkmcnt(0)
	s_barrier
	buffer_gl0_inv
	s_cbranch_vccz .LBB338_45
; %bb.36:
	v_sub_nc_u32_e32 v2, v13, v14
	ds_store_2addr_b32 v13, v1, v12 offset1:1
	ds_store_2addr_b32 v13, v11, v10 offset0:2 offset1:3
	ds_store_b32 v13, v9 offset:16
	s_waitcnt lgkmcnt(0)
	s_barrier
	buffer_gl0_inv
	ds_load_2addr_stride64_b32 v[6:7], v2 offset0:16 offset1:32
	ds_load_2addr_stride64_b32 v[2:3], v2 offset0:48 offset1:64
	s_mov_b32 s3, 0
	s_add_i32 s11, s11, s10
	s_lshl_b64 s[4:5], s[2:3], 2
	s_delay_alu instid0(SALU_CYCLE_1) | instskip(SKIP_2) | instid1(VALU_DEP_1)
	s_add_u32 s3, s1, s4
	s_addc_u32 s4, s0, s5
	v_add_co_u32 v4, s3, s3, v8
	v_add_co_ci_u32_e64 v5, null, s4, 0, s3
	s_mov_b32 s3, exec_lo
	v_cmpx_gt_u32_e64 s11, v0
	s_cbranch_execz .LBB338_38
; %bb.37:
	v_sub_nc_u32_e32 v15, 0, v14
	s_delay_alu instid0(VALU_DEP_1)
	v_add_nc_u32_e32 v15, v13, v15
	ds_load_b32 v15, v15
	s_waitcnt lgkmcnt(0)
	global_store_b32 v[4:5], v15, off
.LBB338_38:
	s_or_b32 exec_lo, exec_lo, s3
	v_or_b32_e32 v15, 0x400, v0
	s_mov_b32 s3, exec_lo
	s_delay_alu instid0(VALU_DEP_1)
	v_cmpx_gt_u32_e64 s11, v15
	s_cbranch_execz .LBB338_40
; %bb.39:
	v_add_co_u32 v15, vcc_lo, 0x1000, v4
	v_add_co_ci_u32_e32 v16, vcc_lo, 0, v5, vcc_lo
	s_waitcnt lgkmcnt(1)
	global_store_b32 v[15:16], v6, off
.LBB338_40:
	s_or_b32 exec_lo, exec_lo, s3
	s_waitcnt lgkmcnt(1)
	v_or_b32_e32 v6, 0x800, v0
	s_mov_b32 s3, exec_lo
	s_delay_alu instid0(VALU_DEP_1)
	v_cmpx_gt_u32_e64 s11, v6
	s_cbranch_execz .LBB338_42
; %bb.41:
	v_add_co_u32 v15, vcc_lo, 0x2000, v4
	v_add_co_ci_u32_e32 v16, vcc_lo, 0, v5, vcc_lo
	global_store_b32 v[15:16], v7, off
.LBB338_42:
	s_or_b32 exec_lo, exec_lo, s3
	v_or_b32_e32 v6, 0xc00, v0
	s_mov_b32 s3, exec_lo
	s_delay_alu instid0(VALU_DEP_1)
	v_cmpx_gt_u32_e64 s11, v6
	s_cbranch_execz .LBB338_44
; %bb.43:
	v_add_co_u32 v6, vcc_lo, 0x3000, v4
	v_add_co_ci_u32_e32 v7, vcc_lo, 0, v5, vcc_lo
	s_waitcnt lgkmcnt(0)
	global_store_b32 v[6:7], v2, off
.LBB338_44:
	s_or_b32 exec_lo, exec_lo, s3
	v_or_b32_e32 v0, 0x1000, v0
	s_delay_alu instid0(VALU_DEP_1)
	v_cmp_gt_u32_e64 s4, s11, v0
	s_branch .LBB338_47
.LBB338_45:
	s_mov_b32 s4, 0
                                        ; implicit-def: $vgpr3
                                        ; implicit-def: $vgpr4_vgpr5
	s_cbranch_execz .LBB338_47
; %bb.46:
	s_waitcnt lgkmcnt(0)
	v_sub_nc_u32_e32 v2, v13, v14
	s_mov_b32 s3, 0
	ds_store_2addr_b32 v13, v1, v12 offset1:1
	ds_store_2addr_b32 v13, v11, v10 offset0:2 offset1:3
	ds_store_b32 v13, v9 offset:16
	s_waitcnt lgkmcnt(0)
	s_waitcnt_vscnt null, 0x0
	s_barrier
	buffer_gl0_inv
	ds_load_2addr_stride64_b32 v[0:1], v2 offset1:16
	ds_load_2addr_stride64_b32 v[6:7], v2 offset0:32 offset1:48
	ds_load_b32 v3, v2 offset:16384
	s_lshl_b64 s[2:3], s[2:3], 2
	s_delay_alu instid0(SALU_CYCLE_1) | instskip(SKIP_2) | instid1(VALU_DEP_1)
	s_add_u32 s2, s1, s2
	s_addc_u32 s3, s0, s3
	v_add_co_u32 v4, s0, s2, v8
	v_add_co_ci_u32_e64 v5, null, s3, 0, s0
	s_or_b32 s4, s4, exec_lo
	s_delay_alu instid0(VALU_DEP_2) | instskip(NEXT) | instid1(VALU_DEP_2)
	v_add_co_u32 v9, vcc_lo, v4, 0x2000
	v_add_co_ci_u32_e32 v10, vcc_lo, 0, v5, vcc_lo
	v_add_co_u32 v11, vcc_lo, 0x3000, v4
	v_add_co_ci_u32_e32 v12, vcc_lo, 0, v5, vcc_lo
	s_waitcnt lgkmcnt(2)
	s_clause 0x1
	global_store_b32 v[9:10], v1, off offset:-4096
	global_store_b32 v8, v0, s[2:3]
	s_waitcnt lgkmcnt(1)
	s_clause 0x1
	global_store_b32 v[9:10], v6, off
	global_store_b32 v[11:12], v7, off
.LBB338_47:
	s_delay_alu instid0(VALU_DEP_1)
	s_and_saveexec_b32 s0, s4
	s_cbranch_execnz .LBB338_49
; %bb.48:
	s_nop 0
	s_sendmsg sendmsg(MSG_DEALLOC_VGPRS)
	s_endpgm
.LBB338_49:
	v_add_co_u32 v0, vcc_lo, 0x4000, v4
	v_add_co_ci_u32_e32 v1, vcc_lo, 0, v5, vcc_lo
	s_waitcnt lgkmcnt(0)
	global_store_b32 v[0:1], v3, off
	s_nop 0
	s_sendmsg sendmsg(MSG_DEALLOC_VGPRS)
	s_endpgm
	.section	.rodata,"a",@progbits
	.p2align	6, 0x0
	.amdhsa_kernel _ZN7rocprim17ROCPRIM_400000_NS6detail17trampoline_kernelINS0_14default_configENS1_35adjacent_difference_config_selectorILb0EiEEZNS1_24adjacent_difference_implIS3_Lb0ELb0EPiS7_N6thrust23THRUST_200600_302600_NS4plusIiEEEE10hipError_tPvRmT2_T3_mT4_P12ihipStream_tbEUlT_E_NS1_11comp_targetILNS1_3genE9ELNS1_11target_archE1100ELNS1_3gpuE3ELNS1_3repE0EEENS1_30default_config_static_selectorELNS0_4arch9wavefront6targetE0EEEvT1_
		.amdhsa_group_segment_fixed_size 20480
		.amdhsa_private_segment_fixed_size 0
		.amdhsa_kernarg_size 56
		.amdhsa_user_sgpr_count 15
		.amdhsa_user_sgpr_dispatch_ptr 0
		.amdhsa_user_sgpr_queue_ptr 0
		.amdhsa_user_sgpr_kernarg_segment_ptr 1
		.amdhsa_user_sgpr_dispatch_id 0
		.amdhsa_user_sgpr_private_segment_size 0
		.amdhsa_wavefront_size32 1
		.amdhsa_uses_dynamic_stack 0
		.amdhsa_enable_private_segment 0
		.amdhsa_system_sgpr_workgroup_id_x 1
		.amdhsa_system_sgpr_workgroup_id_y 0
		.amdhsa_system_sgpr_workgroup_id_z 0
		.amdhsa_system_sgpr_workgroup_info 0
		.amdhsa_system_vgpr_workitem_id 0
		.amdhsa_next_free_vgpr 17
		.amdhsa_next_free_sgpr 21
		.amdhsa_reserve_vcc 1
		.amdhsa_float_round_mode_32 0
		.amdhsa_float_round_mode_16_64 0
		.amdhsa_float_denorm_mode_32 3
		.amdhsa_float_denorm_mode_16_64 3
		.amdhsa_dx10_clamp 1
		.amdhsa_ieee_mode 1
		.amdhsa_fp16_overflow 0
		.amdhsa_workgroup_processor_mode 1
		.amdhsa_memory_ordered 1
		.amdhsa_forward_progress 0
		.amdhsa_shared_vgpr_count 0
		.amdhsa_exception_fp_ieee_invalid_op 0
		.amdhsa_exception_fp_denorm_src 0
		.amdhsa_exception_fp_ieee_div_zero 0
		.amdhsa_exception_fp_ieee_overflow 0
		.amdhsa_exception_fp_ieee_underflow 0
		.amdhsa_exception_fp_ieee_inexact 0
		.amdhsa_exception_int_div_zero 0
	.end_amdhsa_kernel
	.section	.text._ZN7rocprim17ROCPRIM_400000_NS6detail17trampoline_kernelINS0_14default_configENS1_35adjacent_difference_config_selectorILb0EiEEZNS1_24adjacent_difference_implIS3_Lb0ELb0EPiS7_N6thrust23THRUST_200600_302600_NS4plusIiEEEE10hipError_tPvRmT2_T3_mT4_P12ihipStream_tbEUlT_E_NS1_11comp_targetILNS1_3genE9ELNS1_11target_archE1100ELNS1_3gpuE3ELNS1_3repE0EEENS1_30default_config_static_selectorELNS0_4arch9wavefront6targetE0EEEvT1_,"axG",@progbits,_ZN7rocprim17ROCPRIM_400000_NS6detail17trampoline_kernelINS0_14default_configENS1_35adjacent_difference_config_selectorILb0EiEEZNS1_24adjacent_difference_implIS3_Lb0ELb0EPiS7_N6thrust23THRUST_200600_302600_NS4plusIiEEEE10hipError_tPvRmT2_T3_mT4_P12ihipStream_tbEUlT_E_NS1_11comp_targetILNS1_3genE9ELNS1_11target_archE1100ELNS1_3gpuE3ELNS1_3repE0EEENS1_30default_config_static_selectorELNS0_4arch9wavefront6targetE0EEEvT1_,comdat
.Lfunc_end338:
	.size	_ZN7rocprim17ROCPRIM_400000_NS6detail17trampoline_kernelINS0_14default_configENS1_35adjacent_difference_config_selectorILb0EiEEZNS1_24adjacent_difference_implIS3_Lb0ELb0EPiS7_N6thrust23THRUST_200600_302600_NS4plusIiEEEE10hipError_tPvRmT2_T3_mT4_P12ihipStream_tbEUlT_E_NS1_11comp_targetILNS1_3genE9ELNS1_11target_archE1100ELNS1_3gpuE3ELNS1_3repE0EEENS1_30default_config_static_selectorELNS0_4arch9wavefront6targetE0EEEvT1_, .Lfunc_end338-_ZN7rocprim17ROCPRIM_400000_NS6detail17trampoline_kernelINS0_14default_configENS1_35adjacent_difference_config_selectorILb0EiEEZNS1_24adjacent_difference_implIS3_Lb0ELb0EPiS7_N6thrust23THRUST_200600_302600_NS4plusIiEEEE10hipError_tPvRmT2_T3_mT4_P12ihipStream_tbEUlT_E_NS1_11comp_targetILNS1_3genE9ELNS1_11target_archE1100ELNS1_3gpuE3ELNS1_3repE0EEENS1_30default_config_static_selectorELNS0_4arch9wavefront6targetE0EEEvT1_
                                        ; -- End function
	.section	.AMDGPU.csdata,"",@progbits
; Kernel info:
; codeLenInByte = 2308
; NumSgprs: 23
; NumVgprs: 17
; ScratchSize: 0
; MemoryBound: 0
; FloatMode: 240
; IeeeMode: 1
; LDSByteSize: 20480 bytes/workgroup (compile time only)
; SGPRBlocks: 2
; VGPRBlocks: 2
; NumSGPRsForWavesPerEU: 23
; NumVGPRsForWavesPerEU: 17
; Occupancy: 16
; WaveLimiterHint : 1
; COMPUTE_PGM_RSRC2:SCRATCH_EN: 0
; COMPUTE_PGM_RSRC2:USER_SGPR: 15
; COMPUTE_PGM_RSRC2:TRAP_HANDLER: 0
; COMPUTE_PGM_RSRC2:TGID_X_EN: 1
; COMPUTE_PGM_RSRC2:TGID_Y_EN: 0
; COMPUTE_PGM_RSRC2:TGID_Z_EN: 0
; COMPUTE_PGM_RSRC2:TIDIG_COMP_CNT: 0
	.section	.text._ZN7rocprim17ROCPRIM_400000_NS6detail17trampoline_kernelINS0_14default_configENS1_35adjacent_difference_config_selectorILb0EiEEZNS1_24adjacent_difference_implIS3_Lb0ELb0EPiS7_N6thrust23THRUST_200600_302600_NS4plusIiEEEE10hipError_tPvRmT2_T3_mT4_P12ihipStream_tbEUlT_E_NS1_11comp_targetILNS1_3genE8ELNS1_11target_archE1030ELNS1_3gpuE2ELNS1_3repE0EEENS1_30default_config_static_selectorELNS0_4arch9wavefront6targetE0EEEvT1_,"axG",@progbits,_ZN7rocprim17ROCPRIM_400000_NS6detail17trampoline_kernelINS0_14default_configENS1_35adjacent_difference_config_selectorILb0EiEEZNS1_24adjacent_difference_implIS3_Lb0ELb0EPiS7_N6thrust23THRUST_200600_302600_NS4plusIiEEEE10hipError_tPvRmT2_T3_mT4_P12ihipStream_tbEUlT_E_NS1_11comp_targetILNS1_3genE8ELNS1_11target_archE1030ELNS1_3gpuE2ELNS1_3repE0EEENS1_30default_config_static_selectorELNS0_4arch9wavefront6targetE0EEEvT1_,comdat
	.protected	_ZN7rocprim17ROCPRIM_400000_NS6detail17trampoline_kernelINS0_14default_configENS1_35adjacent_difference_config_selectorILb0EiEEZNS1_24adjacent_difference_implIS3_Lb0ELb0EPiS7_N6thrust23THRUST_200600_302600_NS4plusIiEEEE10hipError_tPvRmT2_T3_mT4_P12ihipStream_tbEUlT_E_NS1_11comp_targetILNS1_3genE8ELNS1_11target_archE1030ELNS1_3gpuE2ELNS1_3repE0EEENS1_30default_config_static_selectorELNS0_4arch9wavefront6targetE0EEEvT1_ ; -- Begin function _ZN7rocprim17ROCPRIM_400000_NS6detail17trampoline_kernelINS0_14default_configENS1_35adjacent_difference_config_selectorILb0EiEEZNS1_24adjacent_difference_implIS3_Lb0ELb0EPiS7_N6thrust23THRUST_200600_302600_NS4plusIiEEEE10hipError_tPvRmT2_T3_mT4_P12ihipStream_tbEUlT_E_NS1_11comp_targetILNS1_3genE8ELNS1_11target_archE1030ELNS1_3gpuE2ELNS1_3repE0EEENS1_30default_config_static_selectorELNS0_4arch9wavefront6targetE0EEEvT1_
	.globl	_ZN7rocprim17ROCPRIM_400000_NS6detail17trampoline_kernelINS0_14default_configENS1_35adjacent_difference_config_selectorILb0EiEEZNS1_24adjacent_difference_implIS3_Lb0ELb0EPiS7_N6thrust23THRUST_200600_302600_NS4plusIiEEEE10hipError_tPvRmT2_T3_mT4_P12ihipStream_tbEUlT_E_NS1_11comp_targetILNS1_3genE8ELNS1_11target_archE1030ELNS1_3gpuE2ELNS1_3repE0EEENS1_30default_config_static_selectorELNS0_4arch9wavefront6targetE0EEEvT1_
	.p2align	8
	.type	_ZN7rocprim17ROCPRIM_400000_NS6detail17trampoline_kernelINS0_14default_configENS1_35adjacent_difference_config_selectorILb0EiEEZNS1_24adjacent_difference_implIS3_Lb0ELb0EPiS7_N6thrust23THRUST_200600_302600_NS4plusIiEEEE10hipError_tPvRmT2_T3_mT4_P12ihipStream_tbEUlT_E_NS1_11comp_targetILNS1_3genE8ELNS1_11target_archE1030ELNS1_3gpuE2ELNS1_3repE0EEENS1_30default_config_static_selectorELNS0_4arch9wavefront6targetE0EEEvT1_,@function
_ZN7rocprim17ROCPRIM_400000_NS6detail17trampoline_kernelINS0_14default_configENS1_35adjacent_difference_config_selectorILb0EiEEZNS1_24adjacent_difference_implIS3_Lb0ELb0EPiS7_N6thrust23THRUST_200600_302600_NS4plusIiEEEE10hipError_tPvRmT2_T3_mT4_P12ihipStream_tbEUlT_E_NS1_11comp_targetILNS1_3genE8ELNS1_11target_archE1030ELNS1_3gpuE2ELNS1_3repE0EEENS1_30default_config_static_selectorELNS0_4arch9wavefront6targetE0EEEvT1_: ; @_ZN7rocprim17ROCPRIM_400000_NS6detail17trampoline_kernelINS0_14default_configENS1_35adjacent_difference_config_selectorILb0EiEEZNS1_24adjacent_difference_implIS3_Lb0ELb0EPiS7_N6thrust23THRUST_200600_302600_NS4plusIiEEEE10hipError_tPvRmT2_T3_mT4_P12ihipStream_tbEUlT_E_NS1_11comp_targetILNS1_3genE8ELNS1_11target_archE1030ELNS1_3gpuE2ELNS1_3repE0EEENS1_30default_config_static_selectorELNS0_4arch9wavefront6targetE0EEEvT1_
; %bb.0:
	.section	.rodata,"a",@progbits
	.p2align	6, 0x0
	.amdhsa_kernel _ZN7rocprim17ROCPRIM_400000_NS6detail17trampoline_kernelINS0_14default_configENS1_35adjacent_difference_config_selectorILb0EiEEZNS1_24adjacent_difference_implIS3_Lb0ELb0EPiS7_N6thrust23THRUST_200600_302600_NS4plusIiEEEE10hipError_tPvRmT2_T3_mT4_P12ihipStream_tbEUlT_E_NS1_11comp_targetILNS1_3genE8ELNS1_11target_archE1030ELNS1_3gpuE2ELNS1_3repE0EEENS1_30default_config_static_selectorELNS0_4arch9wavefront6targetE0EEEvT1_
		.amdhsa_group_segment_fixed_size 0
		.amdhsa_private_segment_fixed_size 0
		.amdhsa_kernarg_size 56
		.amdhsa_user_sgpr_count 15
		.amdhsa_user_sgpr_dispatch_ptr 0
		.amdhsa_user_sgpr_queue_ptr 0
		.amdhsa_user_sgpr_kernarg_segment_ptr 1
		.amdhsa_user_sgpr_dispatch_id 0
		.amdhsa_user_sgpr_private_segment_size 0
		.amdhsa_wavefront_size32 1
		.amdhsa_uses_dynamic_stack 0
		.amdhsa_enable_private_segment 0
		.amdhsa_system_sgpr_workgroup_id_x 1
		.amdhsa_system_sgpr_workgroup_id_y 0
		.amdhsa_system_sgpr_workgroup_id_z 0
		.amdhsa_system_sgpr_workgroup_info 0
		.amdhsa_system_vgpr_workitem_id 0
		.amdhsa_next_free_vgpr 1
		.amdhsa_next_free_sgpr 1
		.amdhsa_reserve_vcc 0
		.amdhsa_float_round_mode_32 0
		.amdhsa_float_round_mode_16_64 0
		.amdhsa_float_denorm_mode_32 3
		.amdhsa_float_denorm_mode_16_64 3
		.amdhsa_dx10_clamp 1
		.amdhsa_ieee_mode 1
		.amdhsa_fp16_overflow 0
		.amdhsa_workgroup_processor_mode 1
		.amdhsa_memory_ordered 1
		.amdhsa_forward_progress 0
		.amdhsa_shared_vgpr_count 0
		.amdhsa_exception_fp_ieee_invalid_op 0
		.amdhsa_exception_fp_denorm_src 0
		.amdhsa_exception_fp_ieee_div_zero 0
		.amdhsa_exception_fp_ieee_overflow 0
		.amdhsa_exception_fp_ieee_underflow 0
		.amdhsa_exception_fp_ieee_inexact 0
		.amdhsa_exception_int_div_zero 0
	.end_amdhsa_kernel
	.section	.text._ZN7rocprim17ROCPRIM_400000_NS6detail17trampoline_kernelINS0_14default_configENS1_35adjacent_difference_config_selectorILb0EiEEZNS1_24adjacent_difference_implIS3_Lb0ELb0EPiS7_N6thrust23THRUST_200600_302600_NS4plusIiEEEE10hipError_tPvRmT2_T3_mT4_P12ihipStream_tbEUlT_E_NS1_11comp_targetILNS1_3genE8ELNS1_11target_archE1030ELNS1_3gpuE2ELNS1_3repE0EEENS1_30default_config_static_selectorELNS0_4arch9wavefront6targetE0EEEvT1_,"axG",@progbits,_ZN7rocprim17ROCPRIM_400000_NS6detail17trampoline_kernelINS0_14default_configENS1_35adjacent_difference_config_selectorILb0EiEEZNS1_24adjacent_difference_implIS3_Lb0ELb0EPiS7_N6thrust23THRUST_200600_302600_NS4plusIiEEEE10hipError_tPvRmT2_T3_mT4_P12ihipStream_tbEUlT_E_NS1_11comp_targetILNS1_3genE8ELNS1_11target_archE1030ELNS1_3gpuE2ELNS1_3repE0EEENS1_30default_config_static_selectorELNS0_4arch9wavefront6targetE0EEEvT1_,comdat
.Lfunc_end339:
	.size	_ZN7rocprim17ROCPRIM_400000_NS6detail17trampoline_kernelINS0_14default_configENS1_35adjacent_difference_config_selectorILb0EiEEZNS1_24adjacent_difference_implIS3_Lb0ELb0EPiS7_N6thrust23THRUST_200600_302600_NS4plusIiEEEE10hipError_tPvRmT2_T3_mT4_P12ihipStream_tbEUlT_E_NS1_11comp_targetILNS1_3genE8ELNS1_11target_archE1030ELNS1_3gpuE2ELNS1_3repE0EEENS1_30default_config_static_selectorELNS0_4arch9wavefront6targetE0EEEvT1_, .Lfunc_end339-_ZN7rocprim17ROCPRIM_400000_NS6detail17trampoline_kernelINS0_14default_configENS1_35adjacent_difference_config_selectorILb0EiEEZNS1_24adjacent_difference_implIS3_Lb0ELb0EPiS7_N6thrust23THRUST_200600_302600_NS4plusIiEEEE10hipError_tPvRmT2_T3_mT4_P12ihipStream_tbEUlT_E_NS1_11comp_targetILNS1_3genE8ELNS1_11target_archE1030ELNS1_3gpuE2ELNS1_3repE0EEENS1_30default_config_static_selectorELNS0_4arch9wavefront6targetE0EEEvT1_
                                        ; -- End function
	.section	.AMDGPU.csdata,"",@progbits
; Kernel info:
; codeLenInByte = 0
; NumSgprs: 0
; NumVgprs: 0
; ScratchSize: 0
; MemoryBound: 0
; FloatMode: 240
; IeeeMode: 1
; LDSByteSize: 0 bytes/workgroup (compile time only)
; SGPRBlocks: 0
; VGPRBlocks: 0
; NumSGPRsForWavesPerEU: 1
; NumVGPRsForWavesPerEU: 1
; Occupancy: 16
; WaveLimiterHint : 0
; COMPUTE_PGM_RSRC2:SCRATCH_EN: 0
; COMPUTE_PGM_RSRC2:USER_SGPR: 15
; COMPUTE_PGM_RSRC2:TRAP_HANDLER: 0
; COMPUTE_PGM_RSRC2:TGID_X_EN: 1
; COMPUTE_PGM_RSRC2:TGID_Y_EN: 0
; COMPUTE_PGM_RSRC2:TGID_Z_EN: 0
; COMPUTE_PGM_RSRC2:TIDIG_COMP_CNT: 0
	.section	.text._ZN7rocprim17ROCPRIM_400000_NS6detail17trampoline_kernelINS0_14default_configENS1_25transform_config_selectorIiLb0EEEZNS1_14transform_implILb0ES3_S5_NS0_18transform_iteratorINS0_17counting_iteratorImlEEZNS1_24adjacent_difference_implIS3_Lb1ELb0EPiSB_N6thrust23THRUST_200600_302600_NS4plusIiEEEE10hipError_tPvRmT2_T3_mT4_P12ihipStream_tbEUlmE_iEESB_NS0_8identityIvEEEESG_SJ_SK_mSL_SN_bEUlT_E_NS1_11comp_targetILNS1_3genE0ELNS1_11target_archE4294967295ELNS1_3gpuE0ELNS1_3repE0EEENS1_30default_config_static_selectorELNS0_4arch9wavefront6targetE0EEEvT1_,"axG",@progbits,_ZN7rocprim17ROCPRIM_400000_NS6detail17trampoline_kernelINS0_14default_configENS1_25transform_config_selectorIiLb0EEEZNS1_14transform_implILb0ES3_S5_NS0_18transform_iteratorINS0_17counting_iteratorImlEEZNS1_24adjacent_difference_implIS3_Lb1ELb0EPiSB_N6thrust23THRUST_200600_302600_NS4plusIiEEEE10hipError_tPvRmT2_T3_mT4_P12ihipStream_tbEUlmE_iEESB_NS0_8identityIvEEEESG_SJ_SK_mSL_SN_bEUlT_E_NS1_11comp_targetILNS1_3genE0ELNS1_11target_archE4294967295ELNS1_3gpuE0ELNS1_3repE0EEENS1_30default_config_static_selectorELNS0_4arch9wavefront6targetE0EEEvT1_,comdat
	.protected	_ZN7rocprim17ROCPRIM_400000_NS6detail17trampoline_kernelINS0_14default_configENS1_25transform_config_selectorIiLb0EEEZNS1_14transform_implILb0ES3_S5_NS0_18transform_iteratorINS0_17counting_iteratorImlEEZNS1_24adjacent_difference_implIS3_Lb1ELb0EPiSB_N6thrust23THRUST_200600_302600_NS4plusIiEEEE10hipError_tPvRmT2_T3_mT4_P12ihipStream_tbEUlmE_iEESB_NS0_8identityIvEEEESG_SJ_SK_mSL_SN_bEUlT_E_NS1_11comp_targetILNS1_3genE0ELNS1_11target_archE4294967295ELNS1_3gpuE0ELNS1_3repE0EEENS1_30default_config_static_selectorELNS0_4arch9wavefront6targetE0EEEvT1_ ; -- Begin function _ZN7rocprim17ROCPRIM_400000_NS6detail17trampoline_kernelINS0_14default_configENS1_25transform_config_selectorIiLb0EEEZNS1_14transform_implILb0ES3_S5_NS0_18transform_iteratorINS0_17counting_iteratorImlEEZNS1_24adjacent_difference_implIS3_Lb1ELb0EPiSB_N6thrust23THRUST_200600_302600_NS4plusIiEEEE10hipError_tPvRmT2_T3_mT4_P12ihipStream_tbEUlmE_iEESB_NS0_8identityIvEEEESG_SJ_SK_mSL_SN_bEUlT_E_NS1_11comp_targetILNS1_3genE0ELNS1_11target_archE4294967295ELNS1_3gpuE0ELNS1_3repE0EEENS1_30default_config_static_selectorELNS0_4arch9wavefront6targetE0EEEvT1_
	.globl	_ZN7rocprim17ROCPRIM_400000_NS6detail17trampoline_kernelINS0_14default_configENS1_25transform_config_selectorIiLb0EEEZNS1_14transform_implILb0ES3_S5_NS0_18transform_iteratorINS0_17counting_iteratorImlEEZNS1_24adjacent_difference_implIS3_Lb1ELb0EPiSB_N6thrust23THRUST_200600_302600_NS4plusIiEEEE10hipError_tPvRmT2_T3_mT4_P12ihipStream_tbEUlmE_iEESB_NS0_8identityIvEEEESG_SJ_SK_mSL_SN_bEUlT_E_NS1_11comp_targetILNS1_3genE0ELNS1_11target_archE4294967295ELNS1_3gpuE0ELNS1_3repE0EEENS1_30default_config_static_selectorELNS0_4arch9wavefront6targetE0EEEvT1_
	.p2align	8
	.type	_ZN7rocprim17ROCPRIM_400000_NS6detail17trampoline_kernelINS0_14default_configENS1_25transform_config_selectorIiLb0EEEZNS1_14transform_implILb0ES3_S5_NS0_18transform_iteratorINS0_17counting_iteratorImlEEZNS1_24adjacent_difference_implIS3_Lb1ELb0EPiSB_N6thrust23THRUST_200600_302600_NS4plusIiEEEE10hipError_tPvRmT2_T3_mT4_P12ihipStream_tbEUlmE_iEESB_NS0_8identityIvEEEESG_SJ_SK_mSL_SN_bEUlT_E_NS1_11comp_targetILNS1_3genE0ELNS1_11target_archE4294967295ELNS1_3gpuE0ELNS1_3repE0EEENS1_30default_config_static_selectorELNS0_4arch9wavefront6targetE0EEEvT1_,@function
_ZN7rocprim17ROCPRIM_400000_NS6detail17trampoline_kernelINS0_14default_configENS1_25transform_config_selectorIiLb0EEEZNS1_14transform_implILb0ES3_S5_NS0_18transform_iteratorINS0_17counting_iteratorImlEEZNS1_24adjacent_difference_implIS3_Lb1ELb0EPiSB_N6thrust23THRUST_200600_302600_NS4plusIiEEEE10hipError_tPvRmT2_T3_mT4_P12ihipStream_tbEUlmE_iEESB_NS0_8identityIvEEEESG_SJ_SK_mSL_SN_bEUlT_E_NS1_11comp_targetILNS1_3genE0ELNS1_11target_archE4294967295ELNS1_3gpuE0ELNS1_3repE0EEENS1_30default_config_static_selectorELNS0_4arch9wavefront6targetE0EEEvT1_: ; @_ZN7rocprim17ROCPRIM_400000_NS6detail17trampoline_kernelINS0_14default_configENS1_25transform_config_selectorIiLb0EEEZNS1_14transform_implILb0ES3_S5_NS0_18transform_iteratorINS0_17counting_iteratorImlEEZNS1_24adjacent_difference_implIS3_Lb1ELb0EPiSB_N6thrust23THRUST_200600_302600_NS4plusIiEEEE10hipError_tPvRmT2_T3_mT4_P12ihipStream_tbEUlmE_iEESB_NS0_8identityIvEEEESG_SJ_SK_mSL_SN_bEUlT_E_NS1_11comp_targetILNS1_3genE0ELNS1_11target_archE4294967295ELNS1_3gpuE0ELNS1_3repE0EEENS1_30default_config_static_selectorELNS0_4arch9wavefront6targetE0EEEvT1_
; %bb.0:
	.section	.rodata,"a",@progbits
	.p2align	6, 0x0
	.amdhsa_kernel _ZN7rocprim17ROCPRIM_400000_NS6detail17trampoline_kernelINS0_14default_configENS1_25transform_config_selectorIiLb0EEEZNS1_14transform_implILb0ES3_S5_NS0_18transform_iteratorINS0_17counting_iteratorImlEEZNS1_24adjacent_difference_implIS3_Lb1ELb0EPiSB_N6thrust23THRUST_200600_302600_NS4plusIiEEEE10hipError_tPvRmT2_T3_mT4_P12ihipStream_tbEUlmE_iEESB_NS0_8identityIvEEEESG_SJ_SK_mSL_SN_bEUlT_E_NS1_11comp_targetILNS1_3genE0ELNS1_11target_archE4294967295ELNS1_3gpuE0ELNS1_3repE0EEENS1_30default_config_static_selectorELNS0_4arch9wavefront6targetE0EEEvT1_
		.amdhsa_group_segment_fixed_size 0
		.amdhsa_private_segment_fixed_size 0
		.amdhsa_kernarg_size 56
		.amdhsa_user_sgpr_count 15
		.amdhsa_user_sgpr_dispatch_ptr 0
		.amdhsa_user_sgpr_queue_ptr 0
		.amdhsa_user_sgpr_kernarg_segment_ptr 1
		.amdhsa_user_sgpr_dispatch_id 0
		.amdhsa_user_sgpr_private_segment_size 0
		.amdhsa_wavefront_size32 1
		.amdhsa_uses_dynamic_stack 0
		.amdhsa_enable_private_segment 0
		.amdhsa_system_sgpr_workgroup_id_x 1
		.amdhsa_system_sgpr_workgroup_id_y 0
		.amdhsa_system_sgpr_workgroup_id_z 0
		.amdhsa_system_sgpr_workgroup_info 0
		.amdhsa_system_vgpr_workitem_id 0
		.amdhsa_next_free_vgpr 1
		.amdhsa_next_free_sgpr 1
		.amdhsa_reserve_vcc 0
		.amdhsa_float_round_mode_32 0
		.amdhsa_float_round_mode_16_64 0
		.amdhsa_float_denorm_mode_32 3
		.amdhsa_float_denorm_mode_16_64 3
		.amdhsa_dx10_clamp 1
		.amdhsa_ieee_mode 1
		.amdhsa_fp16_overflow 0
		.amdhsa_workgroup_processor_mode 1
		.amdhsa_memory_ordered 1
		.amdhsa_forward_progress 0
		.amdhsa_shared_vgpr_count 0
		.amdhsa_exception_fp_ieee_invalid_op 0
		.amdhsa_exception_fp_denorm_src 0
		.amdhsa_exception_fp_ieee_div_zero 0
		.amdhsa_exception_fp_ieee_overflow 0
		.amdhsa_exception_fp_ieee_underflow 0
		.amdhsa_exception_fp_ieee_inexact 0
		.amdhsa_exception_int_div_zero 0
	.end_amdhsa_kernel
	.section	.text._ZN7rocprim17ROCPRIM_400000_NS6detail17trampoline_kernelINS0_14default_configENS1_25transform_config_selectorIiLb0EEEZNS1_14transform_implILb0ES3_S5_NS0_18transform_iteratorINS0_17counting_iteratorImlEEZNS1_24adjacent_difference_implIS3_Lb1ELb0EPiSB_N6thrust23THRUST_200600_302600_NS4plusIiEEEE10hipError_tPvRmT2_T3_mT4_P12ihipStream_tbEUlmE_iEESB_NS0_8identityIvEEEESG_SJ_SK_mSL_SN_bEUlT_E_NS1_11comp_targetILNS1_3genE0ELNS1_11target_archE4294967295ELNS1_3gpuE0ELNS1_3repE0EEENS1_30default_config_static_selectorELNS0_4arch9wavefront6targetE0EEEvT1_,"axG",@progbits,_ZN7rocprim17ROCPRIM_400000_NS6detail17trampoline_kernelINS0_14default_configENS1_25transform_config_selectorIiLb0EEEZNS1_14transform_implILb0ES3_S5_NS0_18transform_iteratorINS0_17counting_iteratorImlEEZNS1_24adjacent_difference_implIS3_Lb1ELb0EPiSB_N6thrust23THRUST_200600_302600_NS4plusIiEEEE10hipError_tPvRmT2_T3_mT4_P12ihipStream_tbEUlmE_iEESB_NS0_8identityIvEEEESG_SJ_SK_mSL_SN_bEUlT_E_NS1_11comp_targetILNS1_3genE0ELNS1_11target_archE4294967295ELNS1_3gpuE0ELNS1_3repE0EEENS1_30default_config_static_selectorELNS0_4arch9wavefront6targetE0EEEvT1_,comdat
.Lfunc_end340:
	.size	_ZN7rocprim17ROCPRIM_400000_NS6detail17trampoline_kernelINS0_14default_configENS1_25transform_config_selectorIiLb0EEEZNS1_14transform_implILb0ES3_S5_NS0_18transform_iteratorINS0_17counting_iteratorImlEEZNS1_24adjacent_difference_implIS3_Lb1ELb0EPiSB_N6thrust23THRUST_200600_302600_NS4plusIiEEEE10hipError_tPvRmT2_T3_mT4_P12ihipStream_tbEUlmE_iEESB_NS0_8identityIvEEEESG_SJ_SK_mSL_SN_bEUlT_E_NS1_11comp_targetILNS1_3genE0ELNS1_11target_archE4294967295ELNS1_3gpuE0ELNS1_3repE0EEENS1_30default_config_static_selectorELNS0_4arch9wavefront6targetE0EEEvT1_, .Lfunc_end340-_ZN7rocprim17ROCPRIM_400000_NS6detail17trampoline_kernelINS0_14default_configENS1_25transform_config_selectorIiLb0EEEZNS1_14transform_implILb0ES3_S5_NS0_18transform_iteratorINS0_17counting_iteratorImlEEZNS1_24adjacent_difference_implIS3_Lb1ELb0EPiSB_N6thrust23THRUST_200600_302600_NS4plusIiEEEE10hipError_tPvRmT2_T3_mT4_P12ihipStream_tbEUlmE_iEESB_NS0_8identityIvEEEESG_SJ_SK_mSL_SN_bEUlT_E_NS1_11comp_targetILNS1_3genE0ELNS1_11target_archE4294967295ELNS1_3gpuE0ELNS1_3repE0EEENS1_30default_config_static_selectorELNS0_4arch9wavefront6targetE0EEEvT1_
                                        ; -- End function
	.section	.AMDGPU.csdata,"",@progbits
; Kernel info:
; codeLenInByte = 0
; NumSgprs: 0
; NumVgprs: 0
; ScratchSize: 0
; MemoryBound: 0
; FloatMode: 240
; IeeeMode: 1
; LDSByteSize: 0 bytes/workgroup (compile time only)
; SGPRBlocks: 0
; VGPRBlocks: 0
; NumSGPRsForWavesPerEU: 1
; NumVGPRsForWavesPerEU: 1
; Occupancy: 16
; WaveLimiterHint : 0
; COMPUTE_PGM_RSRC2:SCRATCH_EN: 0
; COMPUTE_PGM_RSRC2:USER_SGPR: 15
; COMPUTE_PGM_RSRC2:TRAP_HANDLER: 0
; COMPUTE_PGM_RSRC2:TGID_X_EN: 1
; COMPUTE_PGM_RSRC2:TGID_Y_EN: 0
; COMPUTE_PGM_RSRC2:TGID_Z_EN: 0
; COMPUTE_PGM_RSRC2:TIDIG_COMP_CNT: 0
	.section	.text._ZN7rocprim17ROCPRIM_400000_NS6detail17trampoline_kernelINS0_14default_configENS1_25transform_config_selectorIiLb0EEEZNS1_14transform_implILb0ES3_S5_NS0_18transform_iteratorINS0_17counting_iteratorImlEEZNS1_24adjacent_difference_implIS3_Lb1ELb0EPiSB_N6thrust23THRUST_200600_302600_NS4plusIiEEEE10hipError_tPvRmT2_T3_mT4_P12ihipStream_tbEUlmE_iEESB_NS0_8identityIvEEEESG_SJ_SK_mSL_SN_bEUlT_E_NS1_11comp_targetILNS1_3genE5ELNS1_11target_archE942ELNS1_3gpuE9ELNS1_3repE0EEENS1_30default_config_static_selectorELNS0_4arch9wavefront6targetE0EEEvT1_,"axG",@progbits,_ZN7rocprim17ROCPRIM_400000_NS6detail17trampoline_kernelINS0_14default_configENS1_25transform_config_selectorIiLb0EEEZNS1_14transform_implILb0ES3_S5_NS0_18transform_iteratorINS0_17counting_iteratorImlEEZNS1_24adjacent_difference_implIS3_Lb1ELb0EPiSB_N6thrust23THRUST_200600_302600_NS4plusIiEEEE10hipError_tPvRmT2_T3_mT4_P12ihipStream_tbEUlmE_iEESB_NS0_8identityIvEEEESG_SJ_SK_mSL_SN_bEUlT_E_NS1_11comp_targetILNS1_3genE5ELNS1_11target_archE942ELNS1_3gpuE9ELNS1_3repE0EEENS1_30default_config_static_selectorELNS0_4arch9wavefront6targetE0EEEvT1_,comdat
	.protected	_ZN7rocprim17ROCPRIM_400000_NS6detail17trampoline_kernelINS0_14default_configENS1_25transform_config_selectorIiLb0EEEZNS1_14transform_implILb0ES3_S5_NS0_18transform_iteratorINS0_17counting_iteratorImlEEZNS1_24adjacent_difference_implIS3_Lb1ELb0EPiSB_N6thrust23THRUST_200600_302600_NS4plusIiEEEE10hipError_tPvRmT2_T3_mT4_P12ihipStream_tbEUlmE_iEESB_NS0_8identityIvEEEESG_SJ_SK_mSL_SN_bEUlT_E_NS1_11comp_targetILNS1_3genE5ELNS1_11target_archE942ELNS1_3gpuE9ELNS1_3repE0EEENS1_30default_config_static_selectorELNS0_4arch9wavefront6targetE0EEEvT1_ ; -- Begin function _ZN7rocprim17ROCPRIM_400000_NS6detail17trampoline_kernelINS0_14default_configENS1_25transform_config_selectorIiLb0EEEZNS1_14transform_implILb0ES3_S5_NS0_18transform_iteratorINS0_17counting_iteratorImlEEZNS1_24adjacent_difference_implIS3_Lb1ELb0EPiSB_N6thrust23THRUST_200600_302600_NS4plusIiEEEE10hipError_tPvRmT2_T3_mT4_P12ihipStream_tbEUlmE_iEESB_NS0_8identityIvEEEESG_SJ_SK_mSL_SN_bEUlT_E_NS1_11comp_targetILNS1_3genE5ELNS1_11target_archE942ELNS1_3gpuE9ELNS1_3repE0EEENS1_30default_config_static_selectorELNS0_4arch9wavefront6targetE0EEEvT1_
	.globl	_ZN7rocprim17ROCPRIM_400000_NS6detail17trampoline_kernelINS0_14default_configENS1_25transform_config_selectorIiLb0EEEZNS1_14transform_implILb0ES3_S5_NS0_18transform_iteratorINS0_17counting_iteratorImlEEZNS1_24adjacent_difference_implIS3_Lb1ELb0EPiSB_N6thrust23THRUST_200600_302600_NS4plusIiEEEE10hipError_tPvRmT2_T3_mT4_P12ihipStream_tbEUlmE_iEESB_NS0_8identityIvEEEESG_SJ_SK_mSL_SN_bEUlT_E_NS1_11comp_targetILNS1_3genE5ELNS1_11target_archE942ELNS1_3gpuE9ELNS1_3repE0EEENS1_30default_config_static_selectorELNS0_4arch9wavefront6targetE0EEEvT1_
	.p2align	8
	.type	_ZN7rocprim17ROCPRIM_400000_NS6detail17trampoline_kernelINS0_14default_configENS1_25transform_config_selectorIiLb0EEEZNS1_14transform_implILb0ES3_S5_NS0_18transform_iteratorINS0_17counting_iteratorImlEEZNS1_24adjacent_difference_implIS3_Lb1ELb0EPiSB_N6thrust23THRUST_200600_302600_NS4plusIiEEEE10hipError_tPvRmT2_T3_mT4_P12ihipStream_tbEUlmE_iEESB_NS0_8identityIvEEEESG_SJ_SK_mSL_SN_bEUlT_E_NS1_11comp_targetILNS1_3genE5ELNS1_11target_archE942ELNS1_3gpuE9ELNS1_3repE0EEENS1_30default_config_static_selectorELNS0_4arch9wavefront6targetE0EEEvT1_,@function
_ZN7rocprim17ROCPRIM_400000_NS6detail17trampoline_kernelINS0_14default_configENS1_25transform_config_selectorIiLb0EEEZNS1_14transform_implILb0ES3_S5_NS0_18transform_iteratorINS0_17counting_iteratorImlEEZNS1_24adjacent_difference_implIS3_Lb1ELb0EPiSB_N6thrust23THRUST_200600_302600_NS4plusIiEEEE10hipError_tPvRmT2_T3_mT4_P12ihipStream_tbEUlmE_iEESB_NS0_8identityIvEEEESG_SJ_SK_mSL_SN_bEUlT_E_NS1_11comp_targetILNS1_3genE5ELNS1_11target_archE942ELNS1_3gpuE9ELNS1_3repE0EEENS1_30default_config_static_selectorELNS0_4arch9wavefront6targetE0EEEvT1_: ; @_ZN7rocprim17ROCPRIM_400000_NS6detail17trampoline_kernelINS0_14default_configENS1_25transform_config_selectorIiLb0EEEZNS1_14transform_implILb0ES3_S5_NS0_18transform_iteratorINS0_17counting_iteratorImlEEZNS1_24adjacent_difference_implIS3_Lb1ELb0EPiSB_N6thrust23THRUST_200600_302600_NS4plusIiEEEE10hipError_tPvRmT2_T3_mT4_P12ihipStream_tbEUlmE_iEESB_NS0_8identityIvEEEESG_SJ_SK_mSL_SN_bEUlT_E_NS1_11comp_targetILNS1_3genE5ELNS1_11target_archE942ELNS1_3gpuE9ELNS1_3repE0EEENS1_30default_config_static_selectorELNS0_4arch9wavefront6targetE0EEEvT1_
; %bb.0:
	.section	.rodata,"a",@progbits
	.p2align	6, 0x0
	.amdhsa_kernel _ZN7rocprim17ROCPRIM_400000_NS6detail17trampoline_kernelINS0_14default_configENS1_25transform_config_selectorIiLb0EEEZNS1_14transform_implILb0ES3_S5_NS0_18transform_iteratorINS0_17counting_iteratorImlEEZNS1_24adjacent_difference_implIS3_Lb1ELb0EPiSB_N6thrust23THRUST_200600_302600_NS4plusIiEEEE10hipError_tPvRmT2_T3_mT4_P12ihipStream_tbEUlmE_iEESB_NS0_8identityIvEEEESG_SJ_SK_mSL_SN_bEUlT_E_NS1_11comp_targetILNS1_3genE5ELNS1_11target_archE942ELNS1_3gpuE9ELNS1_3repE0EEENS1_30default_config_static_selectorELNS0_4arch9wavefront6targetE0EEEvT1_
		.amdhsa_group_segment_fixed_size 0
		.amdhsa_private_segment_fixed_size 0
		.amdhsa_kernarg_size 56
		.amdhsa_user_sgpr_count 15
		.amdhsa_user_sgpr_dispatch_ptr 0
		.amdhsa_user_sgpr_queue_ptr 0
		.amdhsa_user_sgpr_kernarg_segment_ptr 1
		.amdhsa_user_sgpr_dispatch_id 0
		.amdhsa_user_sgpr_private_segment_size 0
		.amdhsa_wavefront_size32 1
		.amdhsa_uses_dynamic_stack 0
		.amdhsa_enable_private_segment 0
		.amdhsa_system_sgpr_workgroup_id_x 1
		.amdhsa_system_sgpr_workgroup_id_y 0
		.amdhsa_system_sgpr_workgroup_id_z 0
		.amdhsa_system_sgpr_workgroup_info 0
		.amdhsa_system_vgpr_workitem_id 0
		.amdhsa_next_free_vgpr 1
		.amdhsa_next_free_sgpr 1
		.amdhsa_reserve_vcc 0
		.amdhsa_float_round_mode_32 0
		.amdhsa_float_round_mode_16_64 0
		.amdhsa_float_denorm_mode_32 3
		.amdhsa_float_denorm_mode_16_64 3
		.amdhsa_dx10_clamp 1
		.amdhsa_ieee_mode 1
		.amdhsa_fp16_overflow 0
		.amdhsa_workgroup_processor_mode 1
		.amdhsa_memory_ordered 1
		.amdhsa_forward_progress 0
		.amdhsa_shared_vgpr_count 0
		.amdhsa_exception_fp_ieee_invalid_op 0
		.amdhsa_exception_fp_denorm_src 0
		.amdhsa_exception_fp_ieee_div_zero 0
		.amdhsa_exception_fp_ieee_overflow 0
		.amdhsa_exception_fp_ieee_underflow 0
		.amdhsa_exception_fp_ieee_inexact 0
		.amdhsa_exception_int_div_zero 0
	.end_amdhsa_kernel
	.section	.text._ZN7rocprim17ROCPRIM_400000_NS6detail17trampoline_kernelINS0_14default_configENS1_25transform_config_selectorIiLb0EEEZNS1_14transform_implILb0ES3_S5_NS0_18transform_iteratorINS0_17counting_iteratorImlEEZNS1_24adjacent_difference_implIS3_Lb1ELb0EPiSB_N6thrust23THRUST_200600_302600_NS4plusIiEEEE10hipError_tPvRmT2_T3_mT4_P12ihipStream_tbEUlmE_iEESB_NS0_8identityIvEEEESG_SJ_SK_mSL_SN_bEUlT_E_NS1_11comp_targetILNS1_3genE5ELNS1_11target_archE942ELNS1_3gpuE9ELNS1_3repE0EEENS1_30default_config_static_selectorELNS0_4arch9wavefront6targetE0EEEvT1_,"axG",@progbits,_ZN7rocprim17ROCPRIM_400000_NS6detail17trampoline_kernelINS0_14default_configENS1_25transform_config_selectorIiLb0EEEZNS1_14transform_implILb0ES3_S5_NS0_18transform_iteratorINS0_17counting_iteratorImlEEZNS1_24adjacent_difference_implIS3_Lb1ELb0EPiSB_N6thrust23THRUST_200600_302600_NS4plusIiEEEE10hipError_tPvRmT2_T3_mT4_P12ihipStream_tbEUlmE_iEESB_NS0_8identityIvEEEESG_SJ_SK_mSL_SN_bEUlT_E_NS1_11comp_targetILNS1_3genE5ELNS1_11target_archE942ELNS1_3gpuE9ELNS1_3repE0EEENS1_30default_config_static_selectorELNS0_4arch9wavefront6targetE0EEEvT1_,comdat
.Lfunc_end341:
	.size	_ZN7rocprim17ROCPRIM_400000_NS6detail17trampoline_kernelINS0_14default_configENS1_25transform_config_selectorIiLb0EEEZNS1_14transform_implILb0ES3_S5_NS0_18transform_iteratorINS0_17counting_iteratorImlEEZNS1_24adjacent_difference_implIS3_Lb1ELb0EPiSB_N6thrust23THRUST_200600_302600_NS4plusIiEEEE10hipError_tPvRmT2_T3_mT4_P12ihipStream_tbEUlmE_iEESB_NS0_8identityIvEEEESG_SJ_SK_mSL_SN_bEUlT_E_NS1_11comp_targetILNS1_3genE5ELNS1_11target_archE942ELNS1_3gpuE9ELNS1_3repE0EEENS1_30default_config_static_selectorELNS0_4arch9wavefront6targetE0EEEvT1_, .Lfunc_end341-_ZN7rocprim17ROCPRIM_400000_NS6detail17trampoline_kernelINS0_14default_configENS1_25transform_config_selectorIiLb0EEEZNS1_14transform_implILb0ES3_S5_NS0_18transform_iteratorINS0_17counting_iteratorImlEEZNS1_24adjacent_difference_implIS3_Lb1ELb0EPiSB_N6thrust23THRUST_200600_302600_NS4plusIiEEEE10hipError_tPvRmT2_T3_mT4_P12ihipStream_tbEUlmE_iEESB_NS0_8identityIvEEEESG_SJ_SK_mSL_SN_bEUlT_E_NS1_11comp_targetILNS1_3genE5ELNS1_11target_archE942ELNS1_3gpuE9ELNS1_3repE0EEENS1_30default_config_static_selectorELNS0_4arch9wavefront6targetE0EEEvT1_
                                        ; -- End function
	.section	.AMDGPU.csdata,"",@progbits
; Kernel info:
; codeLenInByte = 0
; NumSgprs: 0
; NumVgprs: 0
; ScratchSize: 0
; MemoryBound: 0
; FloatMode: 240
; IeeeMode: 1
; LDSByteSize: 0 bytes/workgroup (compile time only)
; SGPRBlocks: 0
; VGPRBlocks: 0
; NumSGPRsForWavesPerEU: 1
; NumVGPRsForWavesPerEU: 1
; Occupancy: 16
; WaveLimiterHint : 0
; COMPUTE_PGM_RSRC2:SCRATCH_EN: 0
; COMPUTE_PGM_RSRC2:USER_SGPR: 15
; COMPUTE_PGM_RSRC2:TRAP_HANDLER: 0
; COMPUTE_PGM_RSRC2:TGID_X_EN: 1
; COMPUTE_PGM_RSRC2:TGID_Y_EN: 0
; COMPUTE_PGM_RSRC2:TGID_Z_EN: 0
; COMPUTE_PGM_RSRC2:TIDIG_COMP_CNT: 0
	.section	.text._ZN7rocprim17ROCPRIM_400000_NS6detail17trampoline_kernelINS0_14default_configENS1_25transform_config_selectorIiLb0EEEZNS1_14transform_implILb0ES3_S5_NS0_18transform_iteratorINS0_17counting_iteratorImlEEZNS1_24adjacent_difference_implIS3_Lb1ELb0EPiSB_N6thrust23THRUST_200600_302600_NS4plusIiEEEE10hipError_tPvRmT2_T3_mT4_P12ihipStream_tbEUlmE_iEESB_NS0_8identityIvEEEESG_SJ_SK_mSL_SN_bEUlT_E_NS1_11comp_targetILNS1_3genE4ELNS1_11target_archE910ELNS1_3gpuE8ELNS1_3repE0EEENS1_30default_config_static_selectorELNS0_4arch9wavefront6targetE0EEEvT1_,"axG",@progbits,_ZN7rocprim17ROCPRIM_400000_NS6detail17trampoline_kernelINS0_14default_configENS1_25transform_config_selectorIiLb0EEEZNS1_14transform_implILb0ES3_S5_NS0_18transform_iteratorINS0_17counting_iteratorImlEEZNS1_24adjacent_difference_implIS3_Lb1ELb0EPiSB_N6thrust23THRUST_200600_302600_NS4plusIiEEEE10hipError_tPvRmT2_T3_mT4_P12ihipStream_tbEUlmE_iEESB_NS0_8identityIvEEEESG_SJ_SK_mSL_SN_bEUlT_E_NS1_11comp_targetILNS1_3genE4ELNS1_11target_archE910ELNS1_3gpuE8ELNS1_3repE0EEENS1_30default_config_static_selectorELNS0_4arch9wavefront6targetE0EEEvT1_,comdat
	.protected	_ZN7rocprim17ROCPRIM_400000_NS6detail17trampoline_kernelINS0_14default_configENS1_25transform_config_selectorIiLb0EEEZNS1_14transform_implILb0ES3_S5_NS0_18transform_iteratorINS0_17counting_iteratorImlEEZNS1_24adjacent_difference_implIS3_Lb1ELb0EPiSB_N6thrust23THRUST_200600_302600_NS4plusIiEEEE10hipError_tPvRmT2_T3_mT4_P12ihipStream_tbEUlmE_iEESB_NS0_8identityIvEEEESG_SJ_SK_mSL_SN_bEUlT_E_NS1_11comp_targetILNS1_3genE4ELNS1_11target_archE910ELNS1_3gpuE8ELNS1_3repE0EEENS1_30default_config_static_selectorELNS0_4arch9wavefront6targetE0EEEvT1_ ; -- Begin function _ZN7rocprim17ROCPRIM_400000_NS6detail17trampoline_kernelINS0_14default_configENS1_25transform_config_selectorIiLb0EEEZNS1_14transform_implILb0ES3_S5_NS0_18transform_iteratorINS0_17counting_iteratorImlEEZNS1_24adjacent_difference_implIS3_Lb1ELb0EPiSB_N6thrust23THRUST_200600_302600_NS4plusIiEEEE10hipError_tPvRmT2_T3_mT4_P12ihipStream_tbEUlmE_iEESB_NS0_8identityIvEEEESG_SJ_SK_mSL_SN_bEUlT_E_NS1_11comp_targetILNS1_3genE4ELNS1_11target_archE910ELNS1_3gpuE8ELNS1_3repE0EEENS1_30default_config_static_selectorELNS0_4arch9wavefront6targetE0EEEvT1_
	.globl	_ZN7rocprim17ROCPRIM_400000_NS6detail17trampoline_kernelINS0_14default_configENS1_25transform_config_selectorIiLb0EEEZNS1_14transform_implILb0ES3_S5_NS0_18transform_iteratorINS0_17counting_iteratorImlEEZNS1_24adjacent_difference_implIS3_Lb1ELb0EPiSB_N6thrust23THRUST_200600_302600_NS4plusIiEEEE10hipError_tPvRmT2_T3_mT4_P12ihipStream_tbEUlmE_iEESB_NS0_8identityIvEEEESG_SJ_SK_mSL_SN_bEUlT_E_NS1_11comp_targetILNS1_3genE4ELNS1_11target_archE910ELNS1_3gpuE8ELNS1_3repE0EEENS1_30default_config_static_selectorELNS0_4arch9wavefront6targetE0EEEvT1_
	.p2align	8
	.type	_ZN7rocprim17ROCPRIM_400000_NS6detail17trampoline_kernelINS0_14default_configENS1_25transform_config_selectorIiLb0EEEZNS1_14transform_implILb0ES3_S5_NS0_18transform_iteratorINS0_17counting_iteratorImlEEZNS1_24adjacent_difference_implIS3_Lb1ELb0EPiSB_N6thrust23THRUST_200600_302600_NS4plusIiEEEE10hipError_tPvRmT2_T3_mT4_P12ihipStream_tbEUlmE_iEESB_NS0_8identityIvEEEESG_SJ_SK_mSL_SN_bEUlT_E_NS1_11comp_targetILNS1_3genE4ELNS1_11target_archE910ELNS1_3gpuE8ELNS1_3repE0EEENS1_30default_config_static_selectorELNS0_4arch9wavefront6targetE0EEEvT1_,@function
_ZN7rocprim17ROCPRIM_400000_NS6detail17trampoline_kernelINS0_14default_configENS1_25transform_config_selectorIiLb0EEEZNS1_14transform_implILb0ES3_S5_NS0_18transform_iteratorINS0_17counting_iteratorImlEEZNS1_24adjacent_difference_implIS3_Lb1ELb0EPiSB_N6thrust23THRUST_200600_302600_NS4plusIiEEEE10hipError_tPvRmT2_T3_mT4_P12ihipStream_tbEUlmE_iEESB_NS0_8identityIvEEEESG_SJ_SK_mSL_SN_bEUlT_E_NS1_11comp_targetILNS1_3genE4ELNS1_11target_archE910ELNS1_3gpuE8ELNS1_3repE0EEENS1_30default_config_static_selectorELNS0_4arch9wavefront6targetE0EEEvT1_: ; @_ZN7rocprim17ROCPRIM_400000_NS6detail17trampoline_kernelINS0_14default_configENS1_25transform_config_selectorIiLb0EEEZNS1_14transform_implILb0ES3_S5_NS0_18transform_iteratorINS0_17counting_iteratorImlEEZNS1_24adjacent_difference_implIS3_Lb1ELb0EPiSB_N6thrust23THRUST_200600_302600_NS4plusIiEEEE10hipError_tPvRmT2_T3_mT4_P12ihipStream_tbEUlmE_iEESB_NS0_8identityIvEEEESG_SJ_SK_mSL_SN_bEUlT_E_NS1_11comp_targetILNS1_3genE4ELNS1_11target_archE910ELNS1_3gpuE8ELNS1_3repE0EEENS1_30default_config_static_selectorELNS0_4arch9wavefront6targetE0EEEvT1_
; %bb.0:
	.section	.rodata,"a",@progbits
	.p2align	6, 0x0
	.amdhsa_kernel _ZN7rocprim17ROCPRIM_400000_NS6detail17trampoline_kernelINS0_14default_configENS1_25transform_config_selectorIiLb0EEEZNS1_14transform_implILb0ES3_S5_NS0_18transform_iteratorINS0_17counting_iteratorImlEEZNS1_24adjacent_difference_implIS3_Lb1ELb0EPiSB_N6thrust23THRUST_200600_302600_NS4plusIiEEEE10hipError_tPvRmT2_T3_mT4_P12ihipStream_tbEUlmE_iEESB_NS0_8identityIvEEEESG_SJ_SK_mSL_SN_bEUlT_E_NS1_11comp_targetILNS1_3genE4ELNS1_11target_archE910ELNS1_3gpuE8ELNS1_3repE0EEENS1_30default_config_static_selectorELNS0_4arch9wavefront6targetE0EEEvT1_
		.amdhsa_group_segment_fixed_size 0
		.amdhsa_private_segment_fixed_size 0
		.amdhsa_kernarg_size 56
		.amdhsa_user_sgpr_count 15
		.amdhsa_user_sgpr_dispatch_ptr 0
		.amdhsa_user_sgpr_queue_ptr 0
		.amdhsa_user_sgpr_kernarg_segment_ptr 1
		.amdhsa_user_sgpr_dispatch_id 0
		.amdhsa_user_sgpr_private_segment_size 0
		.amdhsa_wavefront_size32 1
		.amdhsa_uses_dynamic_stack 0
		.amdhsa_enable_private_segment 0
		.amdhsa_system_sgpr_workgroup_id_x 1
		.amdhsa_system_sgpr_workgroup_id_y 0
		.amdhsa_system_sgpr_workgroup_id_z 0
		.amdhsa_system_sgpr_workgroup_info 0
		.amdhsa_system_vgpr_workitem_id 0
		.amdhsa_next_free_vgpr 1
		.amdhsa_next_free_sgpr 1
		.amdhsa_reserve_vcc 0
		.amdhsa_float_round_mode_32 0
		.amdhsa_float_round_mode_16_64 0
		.amdhsa_float_denorm_mode_32 3
		.amdhsa_float_denorm_mode_16_64 3
		.amdhsa_dx10_clamp 1
		.amdhsa_ieee_mode 1
		.amdhsa_fp16_overflow 0
		.amdhsa_workgroup_processor_mode 1
		.amdhsa_memory_ordered 1
		.amdhsa_forward_progress 0
		.amdhsa_shared_vgpr_count 0
		.amdhsa_exception_fp_ieee_invalid_op 0
		.amdhsa_exception_fp_denorm_src 0
		.amdhsa_exception_fp_ieee_div_zero 0
		.amdhsa_exception_fp_ieee_overflow 0
		.amdhsa_exception_fp_ieee_underflow 0
		.amdhsa_exception_fp_ieee_inexact 0
		.amdhsa_exception_int_div_zero 0
	.end_amdhsa_kernel
	.section	.text._ZN7rocprim17ROCPRIM_400000_NS6detail17trampoline_kernelINS0_14default_configENS1_25transform_config_selectorIiLb0EEEZNS1_14transform_implILb0ES3_S5_NS0_18transform_iteratorINS0_17counting_iteratorImlEEZNS1_24adjacent_difference_implIS3_Lb1ELb0EPiSB_N6thrust23THRUST_200600_302600_NS4plusIiEEEE10hipError_tPvRmT2_T3_mT4_P12ihipStream_tbEUlmE_iEESB_NS0_8identityIvEEEESG_SJ_SK_mSL_SN_bEUlT_E_NS1_11comp_targetILNS1_3genE4ELNS1_11target_archE910ELNS1_3gpuE8ELNS1_3repE0EEENS1_30default_config_static_selectorELNS0_4arch9wavefront6targetE0EEEvT1_,"axG",@progbits,_ZN7rocprim17ROCPRIM_400000_NS6detail17trampoline_kernelINS0_14default_configENS1_25transform_config_selectorIiLb0EEEZNS1_14transform_implILb0ES3_S5_NS0_18transform_iteratorINS0_17counting_iteratorImlEEZNS1_24adjacent_difference_implIS3_Lb1ELb0EPiSB_N6thrust23THRUST_200600_302600_NS4plusIiEEEE10hipError_tPvRmT2_T3_mT4_P12ihipStream_tbEUlmE_iEESB_NS0_8identityIvEEEESG_SJ_SK_mSL_SN_bEUlT_E_NS1_11comp_targetILNS1_3genE4ELNS1_11target_archE910ELNS1_3gpuE8ELNS1_3repE0EEENS1_30default_config_static_selectorELNS0_4arch9wavefront6targetE0EEEvT1_,comdat
.Lfunc_end342:
	.size	_ZN7rocprim17ROCPRIM_400000_NS6detail17trampoline_kernelINS0_14default_configENS1_25transform_config_selectorIiLb0EEEZNS1_14transform_implILb0ES3_S5_NS0_18transform_iteratorINS0_17counting_iteratorImlEEZNS1_24adjacent_difference_implIS3_Lb1ELb0EPiSB_N6thrust23THRUST_200600_302600_NS4plusIiEEEE10hipError_tPvRmT2_T3_mT4_P12ihipStream_tbEUlmE_iEESB_NS0_8identityIvEEEESG_SJ_SK_mSL_SN_bEUlT_E_NS1_11comp_targetILNS1_3genE4ELNS1_11target_archE910ELNS1_3gpuE8ELNS1_3repE0EEENS1_30default_config_static_selectorELNS0_4arch9wavefront6targetE0EEEvT1_, .Lfunc_end342-_ZN7rocprim17ROCPRIM_400000_NS6detail17trampoline_kernelINS0_14default_configENS1_25transform_config_selectorIiLb0EEEZNS1_14transform_implILb0ES3_S5_NS0_18transform_iteratorINS0_17counting_iteratorImlEEZNS1_24adjacent_difference_implIS3_Lb1ELb0EPiSB_N6thrust23THRUST_200600_302600_NS4plusIiEEEE10hipError_tPvRmT2_T3_mT4_P12ihipStream_tbEUlmE_iEESB_NS0_8identityIvEEEESG_SJ_SK_mSL_SN_bEUlT_E_NS1_11comp_targetILNS1_3genE4ELNS1_11target_archE910ELNS1_3gpuE8ELNS1_3repE0EEENS1_30default_config_static_selectorELNS0_4arch9wavefront6targetE0EEEvT1_
                                        ; -- End function
	.section	.AMDGPU.csdata,"",@progbits
; Kernel info:
; codeLenInByte = 0
; NumSgprs: 0
; NumVgprs: 0
; ScratchSize: 0
; MemoryBound: 0
; FloatMode: 240
; IeeeMode: 1
; LDSByteSize: 0 bytes/workgroup (compile time only)
; SGPRBlocks: 0
; VGPRBlocks: 0
; NumSGPRsForWavesPerEU: 1
; NumVGPRsForWavesPerEU: 1
; Occupancy: 16
; WaveLimiterHint : 0
; COMPUTE_PGM_RSRC2:SCRATCH_EN: 0
; COMPUTE_PGM_RSRC2:USER_SGPR: 15
; COMPUTE_PGM_RSRC2:TRAP_HANDLER: 0
; COMPUTE_PGM_RSRC2:TGID_X_EN: 1
; COMPUTE_PGM_RSRC2:TGID_Y_EN: 0
; COMPUTE_PGM_RSRC2:TGID_Z_EN: 0
; COMPUTE_PGM_RSRC2:TIDIG_COMP_CNT: 0
	.section	.text._ZN7rocprim17ROCPRIM_400000_NS6detail17trampoline_kernelINS0_14default_configENS1_25transform_config_selectorIiLb0EEEZNS1_14transform_implILb0ES3_S5_NS0_18transform_iteratorINS0_17counting_iteratorImlEEZNS1_24adjacent_difference_implIS3_Lb1ELb0EPiSB_N6thrust23THRUST_200600_302600_NS4plusIiEEEE10hipError_tPvRmT2_T3_mT4_P12ihipStream_tbEUlmE_iEESB_NS0_8identityIvEEEESG_SJ_SK_mSL_SN_bEUlT_E_NS1_11comp_targetILNS1_3genE3ELNS1_11target_archE908ELNS1_3gpuE7ELNS1_3repE0EEENS1_30default_config_static_selectorELNS0_4arch9wavefront6targetE0EEEvT1_,"axG",@progbits,_ZN7rocprim17ROCPRIM_400000_NS6detail17trampoline_kernelINS0_14default_configENS1_25transform_config_selectorIiLb0EEEZNS1_14transform_implILb0ES3_S5_NS0_18transform_iteratorINS0_17counting_iteratorImlEEZNS1_24adjacent_difference_implIS3_Lb1ELb0EPiSB_N6thrust23THRUST_200600_302600_NS4plusIiEEEE10hipError_tPvRmT2_T3_mT4_P12ihipStream_tbEUlmE_iEESB_NS0_8identityIvEEEESG_SJ_SK_mSL_SN_bEUlT_E_NS1_11comp_targetILNS1_3genE3ELNS1_11target_archE908ELNS1_3gpuE7ELNS1_3repE0EEENS1_30default_config_static_selectorELNS0_4arch9wavefront6targetE0EEEvT1_,comdat
	.protected	_ZN7rocprim17ROCPRIM_400000_NS6detail17trampoline_kernelINS0_14default_configENS1_25transform_config_selectorIiLb0EEEZNS1_14transform_implILb0ES3_S5_NS0_18transform_iteratorINS0_17counting_iteratorImlEEZNS1_24adjacent_difference_implIS3_Lb1ELb0EPiSB_N6thrust23THRUST_200600_302600_NS4plusIiEEEE10hipError_tPvRmT2_T3_mT4_P12ihipStream_tbEUlmE_iEESB_NS0_8identityIvEEEESG_SJ_SK_mSL_SN_bEUlT_E_NS1_11comp_targetILNS1_3genE3ELNS1_11target_archE908ELNS1_3gpuE7ELNS1_3repE0EEENS1_30default_config_static_selectorELNS0_4arch9wavefront6targetE0EEEvT1_ ; -- Begin function _ZN7rocprim17ROCPRIM_400000_NS6detail17trampoline_kernelINS0_14default_configENS1_25transform_config_selectorIiLb0EEEZNS1_14transform_implILb0ES3_S5_NS0_18transform_iteratorINS0_17counting_iteratorImlEEZNS1_24adjacent_difference_implIS3_Lb1ELb0EPiSB_N6thrust23THRUST_200600_302600_NS4plusIiEEEE10hipError_tPvRmT2_T3_mT4_P12ihipStream_tbEUlmE_iEESB_NS0_8identityIvEEEESG_SJ_SK_mSL_SN_bEUlT_E_NS1_11comp_targetILNS1_3genE3ELNS1_11target_archE908ELNS1_3gpuE7ELNS1_3repE0EEENS1_30default_config_static_selectorELNS0_4arch9wavefront6targetE0EEEvT1_
	.globl	_ZN7rocprim17ROCPRIM_400000_NS6detail17trampoline_kernelINS0_14default_configENS1_25transform_config_selectorIiLb0EEEZNS1_14transform_implILb0ES3_S5_NS0_18transform_iteratorINS0_17counting_iteratorImlEEZNS1_24adjacent_difference_implIS3_Lb1ELb0EPiSB_N6thrust23THRUST_200600_302600_NS4plusIiEEEE10hipError_tPvRmT2_T3_mT4_P12ihipStream_tbEUlmE_iEESB_NS0_8identityIvEEEESG_SJ_SK_mSL_SN_bEUlT_E_NS1_11comp_targetILNS1_3genE3ELNS1_11target_archE908ELNS1_3gpuE7ELNS1_3repE0EEENS1_30default_config_static_selectorELNS0_4arch9wavefront6targetE0EEEvT1_
	.p2align	8
	.type	_ZN7rocprim17ROCPRIM_400000_NS6detail17trampoline_kernelINS0_14default_configENS1_25transform_config_selectorIiLb0EEEZNS1_14transform_implILb0ES3_S5_NS0_18transform_iteratorINS0_17counting_iteratorImlEEZNS1_24adjacent_difference_implIS3_Lb1ELb0EPiSB_N6thrust23THRUST_200600_302600_NS4plusIiEEEE10hipError_tPvRmT2_T3_mT4_P12ihipStream_tbEUlmE_iEESB_NS0_8identityIvEEEESG_SJ_SK_mSL_SN_bEUlT_E_NS1_11comp_targetILNS1_3genE3ELNS1_11target_archE908ELNS1_3gpuE7ELNS1_3repE0EEENS1_30default_config_static_selectorELNS0_4arch9wavefront6targetE0EEEvT1_,@function
_ZN7rocprim17ROCPRIM_400000_NS6detail17trampoline_kernelINS0_14default_configENS1_25transform_config_selectorIiLb0EEEZNS1_14transform_implILb0ES3_S5_NS0_18transform_iteratorINS0_17counting_iteratorImlEEZNS1_24adjacent_difference_implIS3_Lb1ELb0EPiSB_N6thrust23THRUST_200600_302600_NS4plusIiEEEE10hipError_tPvRmT2_T3_mT4_P12ihipStream_tbEUlmE_iEESB_NS0_8identityIvEEEESG_SJ_SK_mSL_SN_bEUlT_E_NS1_11comp_targetILNS1_3genE3ELNS1_11target_archE908ELNS1_3gpuE7ELNS1_3repE0EEENS1_30default_config_static_selectorELNS0_4arch9wavefront6targetE0EEEvT1_: ; @_ZN7rocprim17ROCPRIM_400000_NS6detail17trampoline_kernelINS0_14default_configENS1_25transform_config_selectorIiLb0EEEZNS1_14transform_implILb0ES3_S5_NS0_18transform_iteratorINS0_17counting_iteratorImlEEZNS1_24adjacent_difference_implIS3_Lb1ELb0EPiSB_N6thrust23THRUST_200600_302600_NS4plusIiEEEE10hipError_tPvRmT2_T3_mT4_P12ihipStream_tbEUlmE_iEESB_NS0_8identityIvEEEESG_SJ_SK_mSL_SN_bEUlT_E_NS1_11comp_targetILNS1_3genE3ELNS1_11target_archE908ELNS1_3gpuE7ELNS1_3repE0EEENS1_30default_config_static_selectorELNS0_4arch9wavefront6targetE0EEEvT1_
; %bb.0:
	.section	.rodata,"a",@progbits
	.p2align	6, 0x0
	.amdhsa_kernel _ZN7rocprim17ROCPRIM_400000_NS6detail17trampoline_kernelINS0_14default_configENS1_25transform_config_selectorIiLb0EEEZNS1_14transform_implILb0ES3_S5_NS0_18transform_iteratorINS0_17counting_iteratorImlEEZNS1_24adjacent_difference_implIS3_Lb1ELb0EPiSB_N6thrust23THRUST_200600_302600_NS4plusIiEEEE10hipError_tPvRmT2_T3_mT4_P12ihipStream_tbEUlmE_iEESB_NS0_8identityIvEEEESG_SJ_SK_mSL_SN_bEUlT_E_NS1_11comp_targetILNS1_3genE3ELNS1_11target_archE908ELNS1_3gpuE7ELNS1_3repE0EEENS1_30default_config_static_selectorELNS0_4arch9wavefront6targetE0EEEvT1_
		.amdhsa_group_segment_fixed_size 0
		.amdhsa_private_segment_fixed_size 0
		.amdhsa_kernarg_size 56
		.amdhsa_user_sgpr_count 15
		.amdhsa_user_sgpr_dispatch_ptr 0
		.amdhsa_user_sgpr_queue_ptr 0
		.amdhsa_user_sgpr_kernarg_segment_ptr 1
		.amdhsa_user_sgpr_dispatch_id 0
		.amdhsa_user_sgpr_private_segment_size 0
		.amdhsa_wavefront_size32 1
		.amdhsa_uses_dynamic_stack 0
		.amdhsa_enable_private_segment 0
		.amdhsa_system_sgpr_workgroup_id_x 1
		.amdhsa_system_sgpr_workgroup_id_y 0
		.amdhsa_system_sgpr_workgroup_id_z 0
		.amdhsa_system_sgpr_workgroup_info 0
		.amdhsa_system_vgpr_workitem_id 0
		.amdhsa_next_free_vgpr 1
		.amdhsa_next_free_sgpr 1
		.amdhsa_reserve_vcc 0
		.amdhsa_float_round_mode_32 0
		.amdhsa_float_round_mode_16_64 0
		.amdhsa_float_denorm_mode_32 3
		.amdhsa_float_denorm_mode_16_64 3
		.amdhsa_dx10_clamp 1
		.amdhsa_ieee_mode 1
		.amdhsa_fp16_overflow 0
		.amdhsa_workgroup_processor_mode 1
		.amdhsa_memory_ordered 1
		.amdhsa_forward_progress 0
		.amdhsa_shared_vgpr_count 0
		.amdhsa_exception_fp_ieee_invalid_op 0
		.amdhsa_exception_fp_denorm_src 0
		.amdhsa_exception_fp_ieee_div_zero 0
		.amdhsa_exception_fp_ieee_overflow 0
		.amdhsa_exception_fp_ieee_underflow 0
		.amdhsa_exception_fp_ieee_inexact 0
		.amdhsa_exception_int_div_zero 0
	.end_amdhsa_kernel
	.section	.text._ZN7rocprim17ROCPRIM_400000_NS6detail17trampoline_kernelINS0_14default_configENS1_25transform_config_selectorIiLb0EEEZNS1_14transform_implILb0ES3_S5_NS0_18transform_iteratorINS0_17counting_iteratorImlEEZNS1_24adjacent_difference_implIS3_Lb1ELb0EPiSB_N6thrust23THRUST_200600_302600_NS4plusIiEEEE10hipError_tPvRmT2_T3_mT4_P12ihipStream_tbEUlmE_iEESB_NS0_8identityIvEEEESG_SJ_SK_mSL_SN_bEUlT_E_NS1_11comp_targetILNS1_3genE3ELNS1_11target_archE908ELNS1_3gpuE7ELNS1_3repE0EEENS1_30default_config_static_selectorELNS0_4arch9wavefront6targetE0EEEvT1_,"axG",@progbits,_ZN7rocprim17ROCPRIM_400000_NS6detail17trampoline_kernelINS0_14default_configENS1_25transform_config_selectorIiLb0EEEZNS1_14transform_implILb0ES3_S5_NS0_18transform_iteratorINS0_17counting_iteratorImlEEZNS1_24adjacent_difference_implIS3_Lb1ELb0EPiSB_N6thrust23THRUST_200600_302600_NS4plusIiEEEE10hipError_tPvRmT2_T3_mT4_P12ihipStream_tbEUlmE_iEESB_NS0_8identityIvEEEESG_SJ_SK_mSL_SN_bEUlT_E_NS1_11comp_targetILNS1_3genE3ELNS1_11target_archE908ELNS1_3gpuE7ELNS1_3repE0EEENS1_30default_config_static_selectorELNS0_4arch9wavefront6targetE0EEEvT1_,comdat
.Lfunc_end343:
	.size	_ZN7rocprim17ROCPRIM_400000_NS6detail17trampoline_kernelINS0_14default_configENS1_25transform_config_selectorIiLb0EEEZNS1_14transform_implILb0ES3_S5_NS0_18transform_iteratorINS0_17counting_iteratorImlEEZNS1_24adjacent_difference_implIS3_Lb1ELb0EPiSB_N6thrust23THRUST_200600_302600_NS4plusIiEEEE10hipError_tPvRmT2_T3_mT4_P12ihipStream_tbEUlmE_iEESB_NS0_8identityIvEEEESG_SJ_SK_mSL_SN_bEUlT_E_NS1_11comp_targetILNS1_3genE3ELNS1_11target_archE908ELNS1_3gpuE7ELNS1_3repE0EEENS1_30default_config_static_selectorELNS0_4arch9wavefront6targetE0EEEvT1_, .Lfunc_end343-_ZN7rocprim17ROCPRIM_400000_NS6detail17trampoline_kernelINS0_14default_configENS1_25transform_config_selectorIiLb0EEEZNS1_14transform_implILb0ES3_S5_NS0_18transform_iteratorINS0_17counting_iteratorImlEEZNS1_24adjacent_difference_implIS3_Lb1ELb0EPiSB_N6thrust23THRUST_200600_302600_NS4plusIiEEEE10hipError_tPvRmT2_T3_mT4_P12ihipStream_tbEUlmE_iEESB_NS0_8identityIvEEEESG_SJ_SK_mSL_SN_bEUlT_E_NS1_11comp_targetILNS1_3genE3ELNS1_11target_archE908ELNS1_3gpuE7ELNS1_3repE0EEENS1_30default_config_static_selectorELNS0_4arch9wavefront6targetE0EEEvT1_
                                        ; -- End function
	.section	.AMDGPU.csdata,"",@progbits
; Kernel info:
; codeLenInByte = 0
; NumSgprs: 0
; NumVgprs: 0
; ScratchSize: 0
; MemoryBound: 0
; FloatMode: 240
; IeeeMode: 1
; LDSByteSize: 0 bytes/workgroup (compile time only)
; SGPRBlocks: 0
; VGPRBlocks: 0
; NumSGPRsForWavesPerEU: 1
; NumVGPRsForWavesPerEU: 1
; Occupancy: 16
; WaveLimiterHint : 0
; COMPUTE_PGM_RSRC2:SCRATCH_EN: 0
; COMPUTE_PGM_RSRC2:USER_SGPR: 15
; COMPUTE_PGM_RSRC2:TRAP_HANDLER: 0
; COMPUTE_PGM_RSRC2:TGID_X_EN: 1
; COMPUTE_PGM_RSRC2:TGID_Y_EN: 0
; COMPUTE_PGM_RSRC2:TGID_Z_EN: 0
; COMPUTE_PGM_RSRC2:TIDIG_COMP_CNT: 0
	.section	.text._ZN7rocprim17ROCPRIM_400000_NS6detail17trampoline_kernelINS0_14default_configENS1_25transform_config_selectorIiLb0EEEZNS1_14transform_implILb0ES3_S5_NS0_18transform_iteratorINS0_17counting_iteratorImlEEZNS1_24adjacent_difference_implIS3_Lb1ELb0EPiSB_N6thrust23THRUST_200600_302600_NS4plusIiEEEE10hipError_tPvRmT2_T3_mT4_P12ihipStream_tbEUlmE_iEESB_NS0_8identityIvEEEESG_SJ_SK_mSL_SN_bEUlT_E_NS1_11comp_targetILNS1_3genE2ELNS1_11target_archE906ELNS1_3gpuE6ELNS1_3repE0EEENS1_30default_config_static_selectorELNS0_4arch9wavefront6targetE0EEEvT1_,"axG",@progbits,_ZN7rocprim17ROCPRIM_400000_NS6detail17trampoline_kernelINS0_14default_configENS1_25transform_config_selectorIiLb0EEEZNS1_14transform_implILb0ES3_S5_NS0_18transform_iteratorINS0_17counting_iteratorImlEEZNS1_24adjacent_difference_implIS3_Lb1ELb0EPiSB_N6thrust23THRUST_200600_302600_NS4plusIiEEEE10hipError_tPvRmT2_T3_mT4_P12ihipStream_tbEUlmE_iEESB_NS0_8identityIvEEEESG_SJ_SK_mSL_SN_bEUlT_E_NS1_11comp_targetILNS1_3genE2ELNS1_11target_archE906ELNS1_3gpuE6ELNS1_3repE0EEENS1_30default_config_static_selectorELNS0_4arch9wavefront6targetE0EEEvT1_,comdat
	.protected	_ZN7rocprim17ROCPRIM_400000_NS6detail17trampoline_kernelINS0_14default_configENS1_25transform_config_selectorIiLb0EEEZNS1_14transform_implILb0ES3_S5_NS0_18transform_iteratorINS0_17counting_iteratorImlEEZNS1_24adjacent_difference_implIS3_Lb1ELb0EPiSB_N6thrust23THRUST_200600_302600_NS4plusIiEEEE10hipError_tPvRmT2_T3_mT4_P12ihipStream_tbEUlmE_iEESB_NS0_8identityIvEEEESG_SJ_SK_mSL_SN_bEUlT_E_NS1_11comp_targetILNS1_3genE2ELNS1_11target_archE906ELNS1_3gpuE6ELNS1_3repE0EEENS1_30default_config_static_selectorELNS0_4arch9wavefront6targetE0EEEvT1_ ; -- Begin function _ZN7rocprim17ROCPRIM_400000_NS6detail17trampoline_kernelINS0_14default_configENS1_25transform_config_selectorIiLb0EEEZNS1_14transform_implILb0ES3_S5_NS0_18transform_iteratorINS0_17counting_iteratorImlEEZNS1_24adjacent_difference_implIS3_Lb1ELb0EPiSB_N6thrust23THRUST_200600_302600_NS4plusIiEEEE10hipError_tPvRmT2_T3_mT4_P12ihipStream_tbEUlmE_iEESB_NS0_8identityIvEEEESG_SJ_SK_mSL_SN_bEUlT_E_NS1_11comp_targetILNS1_3genE2ELNS1_11target_archE906ELNS1_3gpuE6ELNS1_3repE0EEENS1_30default_config_static_selectorELNS0_4arch9wavefront6targetE0EEEvT1_
	.globl	_ZN7rocprim17ROCPRIM_400000_NS6detail17trampoline_kernelINS0_14default_configENS1_25transform_config_selectorIiLb0EEEZNS1_14transform_implILb0ES3_S5_NS0_18transform_iteratorINS0_17counting_iteratorImlEEZNS1_24adjacent_difference_implIS3_Lb1ELb0EPiSB_N6thrust23THRUST_200600_302600_NS4plusIiEEEE10hipError_tPvRmT2_T3_mT4_P12ihipStream_tbEUlmE_iEESB_NS0_8identityIvEEEESG_SJ_SK_mSL_SN_bEUlT_E_NS1_11comp_targetILNS1_3genE2ELNS1_11target_archE906ELNS1_3gpuE6ELNS1_3repE0EEENS1_30default_config_static_selectorELNS0_4arch9wavefront6targetE0EEEvT1_
	.p2align	8
	.type	_ZN7rocprim17ROCPRIM_400000_NS6detail17trampoline_kernelINS0_14default_configENS1_25transform_config_selectorIiLb0EEEZNS1_14transform_implILb0ES3_S5_NS0_18transform_iteratorINS0_17counting_iteratorImlEEZNS1_24adjacent_difference_implIS3_Lb1ELb0EPiSB_N6thrust23THRUST_200600_302600_NS4plusIiEEEE10hipError_tPvRmT2_T3_mT4_P12ihipStream_tbEUlmE_iEESB_NS0_8identityIvEEEESG_SJ_SK_mSL_SN_bEUlT_E_NS1_11comp_targetILNS1_3genE2ELNS1_11target_archE906ELNS1_3gpuE6ELNS1_3repE0EEENS1_30default_config_static_selectorELNS0_4arch9wavefront6targetE0EEEvT1_,@function
_ZN7rocprim17ROCPRIM_400000_NS6detail17trampoline_kernelINS0_14default_configENS1_25transform_config_selectorIiLb0EEEZNS1_14transform_implILb0ES3_S5_NS0_18transform_iteratorINS0_17counting_iteratorImlEEZNS1_24adjacent_difference_implIS3_Lb1ELb0EPiSB_N6thrust23THRUST_200600_302600_NS4plusIiEEEE10hipError_tPvRmT2_T3_mT4_P12ihipStream_tbEUlmE_iEESB_NS0_8identityIvEEEESG_SJ_SK_mSL_SN_bEUlT_E_NS1_11comp_targetILNS1_3genE2ELNS1_11target_archE906ELNS1_3gpuE6ELNS1_3repE0EEENS1_30default_config_static_selectorELNS0_4arch9wavefront6targetE0EEEvT1_: ; @_ZN7rocprim17ROCPRIM_400000_NS6detail17trampoline_kernelINS0_14default_configENS1_25transform_config_selectorIiLb0EEEZNS1_14transform_implILb0ES3_S5_NS0_18transform_iteratorINS0_17counting_iteratorImlEEZNS1_24adjacent_difference_implIS3_Lb1ELb0EPiSB_N6thrust23THRUST_200600_302600_NS4plusIiEEEE10hipError_tPvRmT2_T3_mT4_P12ihipStream_tbEUlmE_iEESB_NS0_8identityIvEEEESG_SJ_SK_mSL_SN_bEUlT_E_NS1_11comp_targetILNS1_3genE2ELNS1_11target_archE906ELNS1_3gpuE6ELNS1_3repE0EEENS1_30default_config_static_selectorELNS0_4arch9wavefront6targetE0EEEvT1_
; %bb.0:
	.section	.rodata,"a",@progbits
	.p2align	6, 0x0
	.amdhsa_kernel _ZN7rocprim17ROCPRIM_400000_NS6detail17trampoline_kernelINS0_14default_configENS1_25transform_config_selectorIiLb0EEEZNS1_14transform_implILb0ES3_S5_NS0_18transform_iteratorINS0_17counting_iteratorImlEEZNS1_24adjacent_difference_implIS3_Lb1ELb0EPiSB_N6thrust23THRUST_200600_302600_NS4plusIiEEEE10hipError_tPvRmT2_T3_mT4_P12ihipStream_tbEUlmE_iEESB_NS0_8identityIvEEEESG_SJ_SK_mSL_SN_bEUlT_E_NS1_11comp_targetILNS1_3genE2ELNS1_11target_archE906ELNS1_3gpuE6ELNS1_3repE0EEENS1_30default_config_static_selectorELNS0_4arch9wavefront6targetE0EEEvT1_
		.amdhsa_group_segment_fixed_size 0
		.amdhsa_private_segment_fixed_size 0
		.amdhsa_kernarg_size 56
		.amdhsa_user_sgpr_count 15
		.amdhsa_user_sgpr_dispatch_ptr 0
		.amdhsa_user_sgpr_queue_ptr 0
		.amdhsa_user_sgpr_kernarg_segment_ptr 1
		.amdhsa_user_sgpr_dispatch_id 0
		.amdhsa_user_sgpr_private_segment_size 0
		.amdhsa_wavefront_size32 1
		.amdhsa_uses_dynamic_stack 0
		.amdhsa_enable_private_segment 0
		.amdhsa_system_sgpr_workgroup_id_x 1
		.amdhsa_system_sgpr_workgroup_id_y 0
		.amdhsa_system_sgpr_workgroup_id_z 0
		.amdhsa_system_sgpr_workgroup_info 0
		.amdhsa_system_vgpr_workitem_id 0
		.amdhsa_next_free_vgpr 1
		.amdhsa_next_free_sgpr 1
		.amdhsa_reserve_vcc 0
		.amdhsa_float_round_mode_32 0
		.amdhsa_float_round_mode_16_64 0
		.amdhsa_float_denorm_mode_32 3
		.amdhsa_float_denorm_mode_16_64 3
		.amdhsa_dx10_clamp 1
		.amdhsa_ieee_mode 1
		.amdhsa_fp16_overflow 0
		.amdhsa_workgroup_processor_mode 1
		.amdhsa_memory_ordered 1
		.amdhsa_forward_progress 0
		.amdhsa_shared_vgpr_count 0
		.amdhsa_exception_fp_ieee_invalid_op 0
		.amdhsa_exception_fp_denorm_src 0
		.amdhsa_exception_fp_ieee_div_zero 0
		.amdhsa_exception_fp_ieee_overflow 0
		.amdhsa_exception_fp_ieee_underflow 0
		.amdhsa_exception_fp_ieee_inexact 0
		.amdhsa_exception_int_div_zero 0
	.end_amdhsa_kernel
	.section	.text._ZN7rocprim17ROCPRIM_400000_NS6detail17trampoline_kernelINS0_14default_configENS1_25transform_config_selectorIiLb0EEEZNS1_14transform_implILb0ES3_S5_NS0_18transform_iteratorINS0_17counting_iteratorImlEEZNS1_24adjacent_difference_implIS3_Lb1ELb0EPiSB_N6thrust23THRUST_200600_302600_NS4plusIiEEEE10hipError_tPvRmT2_T3_mT4_P12ihipStream_tbEUlmE_iEESB_NS0_8identityIvEEEESG_SJ_SK_mSL_SN_bEUlT_E_NS1_11comp_targetILNS1_3genE2ELNS1_11target_archE906ELNS1_3gpuE6ELNS1_3repE0EEENS1_30default_config_static_selectorELNS0_4arch9wavefront6targetE0EEEvT1_,"axG",@progbits,_ZN7rocprim17ROCPRIM_400000_NS6detail17trampoline_kernelINS0_14default_configENS1_25transform_config_selectorIiLb0EEEZNS1_14transform_implILb0ES3_S5_NS0_18transform_iteratorINS0_17counting_iteratorImlEEZNS1_24adjacent_difference_implIS3_Lb1ELb0EPiSB_N6thrust23THRUST_200600_302600_NS4plusIiEEEE10hipError_tPvRmT2_T3_mT4_P12ihipStream_tbEUlmE_iEESB_NS0_8identityIvEEEESG_SJ_SK_mSL_SN_bEUlT_E_NS1_11comp_targetILNS1_3genE2ELNS1_11target_archE906ELNS1_3gpuE6ELNS1_3repE0EEENS1_30default_config_static_selectorELNS0_4arch9wavefront6targetE0EEEvT1_,comdat
.Lfunc_end344:
	.size	_ZN7rocprim17ROCPRIM_400000_NS6detail17trampoline_kernelINS0_14default_configENS1_25transform_config_selectorIiLb0EEEZNS1_14transform_implILb0ES3_S5_NS0_18transform_iteratorINS0_17counting_iteratorImlEEZNS1_24adjacent_difference_implIS3_Lb1ELb0EPiSB_N6thrust23THRUST_200600_302600_NS4plusIiEEEE10hipError_tPvRmT2_T3_mT4_P12ihipStream_tbEUlmE_iEESB_NS0_8identityIvEEEESG_SJ_SK_mSL_SN_bEUlT_E_NS1_11comp_targetILNS1_3genE2ELNS1_11target_archE906ELNS1_3gpuE6ELNS1_3repE0EEENS1_30default_config_static_selectorELNS0_4arch9wavefront6targetE0EEEvT1_, .Lfunc_end344-_ZN7rocprim17ROCPRIM_400000_NS6detail17trampoline_kernelINS0_14default_configENS1_25transform_config_selectorIiLb0EEEZNS1_14transform_implILb0ES3_S5_NS0_18transform_iteratorINS0_17counting_iteratorImlEEZNS1_24adjacent_difference_implIS3_Lb1ELb0EPiSB_N6thrust23THRUST_200600_302600_NS4plusIiEEEE10hipError_tPvRmT2_T3_mT4_P12ihipStream_tbEUlmE_iEESB_NS0_8identityIvEEEESG_SJ_SK_mSL_SN_bEUlT_E_NS1_11comp_targetILNS1_3genE2ELNS1_11target_archE906ELNS1_3gpuE6ELNS1_3repE0EEENS1_30default_config_static_selectorELNS0_4arch9wavefront6targetE0EEEvT1_
                                        ; -- End function
	.section	.AMDGPU.csdata,"",@progbits
; Kernel info:
; codeLenInByte = 0
; NumSgprs: 0
; NumVgprs: 0
; ScratchSize: 0
; MemoryBound: 0
; FloatMode: 240
; IeeeMode: 1
; LDSByteSize: 0 bytes/workgroup (compile time only)
; SGPRBlocks: 0
; VGPRBlocks: 0
; NumSGPRsForWavesPerEU: 1
; NumVGPRsForWavesPerEU: 1
; Occupancy: 16
; WaveLimiterHint : 0
; COMPUTE_PGM_RSRC2:SCRATCH_EN: 0
; COMPUTE_PGM_RSRC2:USER_SGPR: 15
; COMPUTE_PGM_RSRC2:TRAP_HANDLER: 0
; COMPUTE_PGM_RSRC2:TGID_X_EN: 1
; COMPUTE_PGM_RSRC2:TGID_Y_EN: 0
; COMPUTE_PGM_RSRC2:TGID_Z_EN: 0
; COMPUTE_PGM_RSRC2:TIDIG_COMP_CNT: 0
	.section	.text._ZN7rocprim17ROCPRIM_400000_NS6detail17trampoline_kernelINS0_14default_configENS1_25transform_config_selectorIiLb0EEEZNS1_14transform_implILb0ES3_S5_NS0_18transform_iteratorINS0_17counting_iteratorImlEEZNS1_24adjacent_difference_implIS3_Lb1ELb0EPiSB_N6thrust23THRUST_200600_302600_NS4plusIiEEEE10hipError_tPvRmT2_T3_mT4_P12ihipStream_tbEUlmE_iEESB_NS0_8identityIvEEEESG_SJ_SK_mSL_SN_bEUlT_E_NS1_11comp_targetILNS1_3genE10ELNS1_11target_archE1201ELNS1_3gpuE5ELNS1_3repE0EEENS1_30default_config_static_selectorELNS0_4arch9wavefront6targetE0EEEvT1_,"axG",@progbits,_ZN7rocprim17ROCPRIM_400000_NS6detail17trampoline_kernelINS0_14default_configENS1_25transform_config_selectorIiLb0EEEZNS1_14transform_implILb0ES3_S5_NS0_18transform_iteratorINS0_17counting_iteratorImlEEZNS1_24adjacent_difference_implIS3_Lb1ELb0EPiSB_N6thrust23THRUST_200600_302600_NS4plusIiEEEE10hipError_tPvRmT2_T3_mT4_P12ihipStream_tbEUlmE_iEESB_NS0_8identityIvEEEESG_SJ_SK_mSL_SN_bEUlT_E_NS1_11comp_targetILNS1_3genE10ELNS1_11target_archE1201ELNS1_3gpuE5ELNS1_3repE0EEENS1_30default_config_static_selectorELNS0_4arch9wavefront6targetE0EEEvT1_,comdat
	.protected	_ZN7rocprim17ROCPRIM_400000_NS6detail17trampoline_kernelINS0_14default_configENS1_25transform_config_selectorIiLb0EEEZNS1_14transform_implILb0ES3_S5_NS0_18transform_iteratorINS0_17counting_iteratorImlEEZNS1_24adjacent_difference_implIS3_Lb1ELb0EPiSB_N6thrust23THRUST_200600_302600_NS4plusIiEEEE10hipError_tPvRmT2_T3_mT4_P12ihipStream_tbEUlmE_iEESB_NS0_8identityIvEEEESG_SJ_SK_mSL_SN_bEUlT_E_NS1_11comp_targetILNS1_3genE10ELNS1_11target_archE1201ELNS1_3gpuE5ELNS1_3repE0EEENS1_30default_config_static_selectorELNS0_4arch9wavefront6targetE0EEEvT1_ ; -- Begin function _ZN7rocprim17ROCPRIM_400000_NS6detail17trampoline_kernelINS0_14default_configENS1_25transform_config_selectorIiLb0EEEZNS1_14transform_implILb0ES3_S5_NS0_18transform_iteratorINS0_17counting_iteratorImlEEZNS1_24adjacent_difference_implIS3_Lb1ELb0EPiSB_N6thrust23THRUST_200600_302600_NS4plusIiEEEE10hipError_tPvRmT2_T3_mT4_P12ihipStream_tbEUlmE_iEESB_NS0_8identityIvEEEESG_SJ_SK_mSL_SN_bEUlT_E_NS1_11comp_targetILNS1_3genE10ELNS1_11target_archE1201ELNS1_3gpuE5ELNS1_3repE0EEENS1_30default_config_static_selectorELNS0_4arch9wavefront6targetE0EEEvT1_
	.globl	_ZN7rocprim17ROCPRIM_400000_NS6detail17trampoline_kernelINS0_14default_configENS1_25transform_config_selectorIiLb0EEEZNS1_14transform_implILb0ES3_S5_NS0_18transform_iteratorINS0_17counting_iteratorImlEEZNS1_24adjacent_difference_implIS3_Lb1ELb0EPiSB_N6thrust23THRUST_200600_302600_NS4plusIiEEEE10hipError_tPvRmT2_T3_mT4_P12ihipStream_tbEUlmE_iEESB_NS0_8identityIvEEEESG_SJ_SK_mSL_SN_bEUlT_E_NS1_11comp_targetILNS1_3genE10ELNS1_11target_archE1201ELNS1_3gpuE5ELNS1_3repE0EEENS1_30default_config_static_selectorELNS0_4arch9wavefront6targetE0EEEvT1_
	.p2align	8
	.type	_ZN7rocprim17ROCPRIM_400000_NS6detail17trampoline_kernelINS0_14default_configENS1_25transform_config_selectorIiLb0EEEZNS1_14transform_implILb0ES3_S5_NS0_18transform_iteratorINS0_17counting_iteratorImlEEZNS1_24adjacent_difference_implIS3_Lb1ELb0EPiSB_N6thrust23THRUST_200600_302600_NS4plusIiEEEE10hipError_tPvRmT2_T3_mT4_P12ihipStream_tbEUlmE_iEESB_NS0_8identityIvEEEESG_SJ_SK_mSL_SN_bEUlT_E_NS1_11comp_targetILNS1_3genE10ELNS1_11target_archE1201ELNS1_3gpuE5ELNS1_3repE0EEENS1_30default_config_static_selectorELNS0_4arch9wavefront6targetE0EEEvT1_,@function
_ZN7rocprim17ROCPRIM_400000_NS6detail17trampoline_kernelINS0_14default_configENS1_25transform_config_selectorIiLb0EEEZNS1_14transform_implILb0ES3_S5_NS0_18transform_iteratorINS0_17counting_iteratorImlEEZNS1_24adjacent_difference_implIS3_Lb1ELb0EPiSB_N6thrust23THRUST_200600_302600_NS4plusIiEEEE10hipError_tPvRmT2_T3_mT4_P12ihipStream_tbEUlmE_iEESB_NS0_8identityIvEEEESG_SJ_SK_mSL_SN_bEUlT_E_NS1_11comp_targetILNS1_3genE10ELNS1_11target_archE1201ELNS1_3gpuE5ELNS1_3repE0EEENS1_30default_config_static_selectorELNS0_4arch9wavefront6targetE0EEEvT1_: ; @_ZN7rocprim17ROCPRIM_400000_NS6detail17trampoline_kernelINS0_14default_configENS1_25transform_config_selectorIiLb0EEEZNS1_14transform_implILb0ES3_S5_NS0_18transform_iteratorINS0_17counting_iteratorImlEEZNS1_24adjacent_difference_implIS3_Lb1ELb0EPiSB_N6thrust23THRUST_200600_302600_NS4plusIiEEEE10hipError_tPvRmT2_T3_mT4_P12ihipStream_tbEUlmE_iEESB_NS0_8identityIvEEEESG_SJ_SK_mSL_SN_bEUlT_E_NS1_11comp_targetILNS1_3genE10ELNS1_11target_archE1201ELNS1_3gpuE5ELNS1_3repE0EEENS1_30default_config_static_selectorELNS0_4arch9wavefront6targetE0EEEvT1_
; %bb.0:
	.section	.rodata,"a",@progbits
	.p2align	6, 0x0
	.amdhsa_kernel _ZN7rocprim17ROCPRIM_400000_NS6detail17trampoline_kernelINS0_14default_configENS1_25transform_config_selectorIiLb0EEEZNS1_14transform_implILb0ES3_S5_NS0_18transform_iteratorINS0_17counting_iteratorImlEEZNS1_24adjacent_difference_implIS3_Lb1ELb0EPiSB_N6thrust23THRUST_200600_302600_NS4plusIiEEEE10hipError_tPvRmT2_T3_mT4_P12ihipStream_tbEUlmE_iEESB_NS0_8identityIvEEEESG_SJ_SK_mSL_SN_bEUlT_E_NS1_11comp_targetILNS1_3genE10ELNS1_11target_archE1201ELNS1_3gpuE5ELNS1_3repE0EEENS1_30default_config_static_selectorELNS0_4arch9wavefront6targetE0EEEvT1_
		.amdhsa_group_segment_fixed_size 0
		.amdhsa_private_segment_fixed_size 0
		.amdhsa_kernarg_size 56
		.amdhsa_user_sgpr_count 15
		.amdhsa_user_sgpr_dispatch_ptr 0
		.amdhsa_user_sgpr_queue_ptr 0
		.amdhsa_user_sgpr_kernarg_segment_ptr 1
		.amdhsa_user_sgpr_dispatch_id 0
		.amdhsa_user_sgpr_private_segment_size 0
		.amdhsa_wavefront_size32 1
		.amdhsa_uses_dynamic_stack 0
		.amdhsa_enable_private_segment 0
		.amdhsa_system_sgpr_workgroup_id_x 1
		.amdhsa_system_sgpr_workgroup_id_y 0
		.amdhsa_system_sgpr_workgroup_id_z 0
		.amdhsa_system_sgpr_workgroup_info 0
		.amdhsa_system_vgpr_workitem_id 0
		.amdhsa_next_free_vgpr 1
		.amdhsa_next_free_sgpr 1
		.amdhsa_reserve_vcc 0
		.amdhsa_float_round_mode_32 0
		.amdhsa_float_round_mode_16_64 0
		.amdhsa_float_denorm_mode_32 3
		.amdhsa_float_denorm_mode_16_64 3
		.amdhsa_dx10_clamp 1
		.amdhsa_ieee_mode 1
		.amdhsa_fp16_overflow 0
		.amdhsa_workgroup_processor_mode 1
		.amdhsa_memory_ordered 1
		.amdhsa_forward_progress 0
		.amdhsa_shared_vgpr_count 0
		.amdhsa_exception_fp_ieee_invalid_op 0
		.amdhsa_exception_fp_denorm_src 0
		.amdhsa_exception_fp_ieee_div_zero 0
		.amdhsa_exception_fp_ieee_overflow 0
		.amdhsa_exception_fp_ieee_underflow 0
		.amdhsa_exception_fp_ieee_inexact 0
		.amdhsa_exception_int_div_zero 0
	.end_amdhsa_kernel
	.section	.text._ZN7rocprim17ROCPRIM_400000_NS6detail17trampoline_kernelINS0_14default_configENS1_25transform_config_selectorIiLb0EEEZNS1_14transform_implILb0ES3_S5_NS0_18transform_iteratorINS0_17counting_iteratorImlEEZNS1_24adjacent_difference_implIS3_Lb1ELb0EPiSB_N6thrust23THRUST_200600_302600_NS4plusIiEEEE10hipError_tPvRmT2_T3_mT4_P12ihipStream_tbEUlmE_iEESB_NS0_8identityIvEEEESG_SJ_SK_mSL_SN_bEUlT_E_NS1_11comp_targetILNS1_3genE10ELNS1_11target_archE1201ELNS1_3gpuE5ELNS1_3repE0EEENS1_30default_config_static_selectorELNS0_4arch9wavefront6targetE0EEEvT1_,"axG",@progbits,_ZN7rocprim17ROCPRIM_400000_NS6detail17trampoline_kernelINS0_14default_configENS1_25transform_config_selectorIiLb0EEEZNS1_14transform_implILb0ES3_S5_NS0_18transform_iteratorINS0_17counting_iteratorImlEEZNS1_24adjacent_difference_implIS3_Lb1ELb0EPiSB_N6thrust23THRUST_200600_302600_NS4plusIiEEEE10hipError_tPvRmT2_T3_mT4_P12ihipStream_tbEUlmE_iEESB_NS0_8identityIvEEEESG_SJ_SK_mSL_SN_bEUlT_E_NS1_11comp_targetILNS1_3genE10ELNS1_11target_archE1201ELNS1_3gpuE5ELNS1_3repE0EEENS1_30default_config_static_selectorELNS0_4arch9wavefront6targetE0EEEvT1_,comdat
.Lfunc_end345:
	.size	_ZN7rocprim17ROCPRIM_400000_NS6detail17trampoline_kernelINS0_14default_configENS1_25transform_config_selectorIiLb0EEEZNS1_14transform_implILb0ES3_S5_NS0_18transform_iteratorINS0_17counting_iteratorImlEEZNS1_24adjacent_difference_implIS3_Lb1ELb0EPiSB_N6thrust23THRUST_200600_302600_NS4plusIiEEEE10hipError_tPvRmT2_T3_mT4_P12ihipStream_tbEUlmE_iEESB_NS0_8identityIvEEEESG_SJ_SK_mSL_SN_bEUlT_E_NS1_11comp_targetILNS1_3genE10ELNS1_11target_archE1201ELNS1_3gpuE5ELNS1_3repE0EEENS1_30default_config_static_selectorELNS0_4arch9wavefront6targetE0EEEvT1_, .Lfunc_end345-_ZN7rocprim17ROCPRIM_400000_NS6detail17trampoline_kernelINS0_14default_configENS1_25transform_config_selectorIiLb0EEEZNS1_14transform_implILb0ES3_S5_NS0_18transform_iteratorINS0_17counting_iteratorImlEEZNS1_24adjacent_difference_implIS3_Lb1ELb0EPiSB_N6thrust23THRUST_200600_302600_NS4plusIiEEEE10hipError_tPvRmT2_T3_mT4_P12ihipStream_tbEUlmE_iEESB_NS0_8identityIvEEEESG_SJ_SK_mSL_SN_bEUlT_E_NS1_11comp_targetILNS1_3genE10ELNS1_11target_archE1201ELNS1_3gpuE5ELNS1_3repE0EEENS1_30default_config_static_selectorELNS0_4arch9wavefront6targetE0EEEvT1_
                                        ; -- End function
	.section	.AMDGPU.csdata,"",@progbits
; Kernel info:
; codeLenInByte = 0
; NumSgprs: 0
; NumVgprs: 0
; ScratchSize: 0
; MemoryBound: 0
; FloatMode: 240
; IeeeMode: 1
; LDSByteSize: 0 bytes/workgroup (compile time only)
; SGPRBlocks: 0
; VGPRBlocks: 0
; NumSGPRsForWavesPerEU: 1
; NumVGPRsForWavesPerEU: 1
; Occupancy: 16
; WaveLimiterHint : 0
; COMPUTE_PGM_RSRC2:SCRATCH_EN: 0
; COMPUTE_PGM_RSRC2:USER_SGPR: 15
; COMPUTE_PGM_RSRC2:TRAP_HANDLER: 0
; COMPUTE_PGM_RSRC2:TGID_X_EN: 1
; COMPUTE_PGM_RSRC2:TGID_Y_EN: 0
; COMPUTE_PGM_RSRC2:TGID_Z_EN: 0
; COMPUTE_PGM_RSRC2:TIDIG_COMP_CNT: 0
	.section	.text._ZN7rocprim17ROCPRIM_400000_NS6detail17trampoline_kernelINS0_14default_configENS1_25transform_config_selectorIiLb0EEEZNS1_14transform_implILb0ES3_S5_NS0_18transform_iteratorINS0_17counting_iteratorImlEEZNS1_24adjacent_difference_implIS3_Lb1ELb0EPiSB_N6thrust23THRUST_200600_302600_NS4plusIiEEEE10hipError_tPvRmT2_T3_mT4_P12ihipStream_tbEUlmE_iEESB_NS0_8identityIvEEEESG_SJ_SK_mSL_SN_bEUlT_E_NS1_11comp_targetILNS1_3genE10ELNS1_11target_archE1200ELNS1_3gpuE4ELNS1_3repE0EEENS1_30default_config_static_selectorELNS0_4arch9wavefront6targetE0EEEvT1_,"axG",@progbits,_ZN7rocprim17ROCPRIM_400000_NS6detail17trampoline_kernelINS0_14default_configENS1_25transform_config_selectorIiLb0EEEZNS1_14transform_implILb0ES3_S5_NS0_18transform_iteratorINS0_17counting_iteratorImlEEZNS1_24adjacent_difference_implIS3_Lb1ELb0EPiSB_N6thrust23THRUST_200600_302600_NS4plusIiEEEE10hipError_tPvRmT2_T3_mT4_P12ihipStream_tbEUlmE_iEESB_NS0_8identityIvEEEESG_SJ_SK_mSL_SN_bEUlT_E_NS1_11comp_targetILNS1_3genE10ELNS1_11target_archE1200ELNS1_3gpuE4ELNS1_3repE0EEENS1_30default_config_static_selectorELNS0_4arch9wavefront6targetE0EEEvT1_,comdat
	.protected	_ZN7rocprim17ROCPRIM_400000_NS6detail17trampoline_kernelINS0_14default_configENS1_25transform_config_selectorIiLb0EEEZNS1_14transform_implILb0ES3_S5_NS0_18transform_iteratorINS0_17counting_iteratorImlEEZNS1_24adjacent_difference_implIS3_Lb1ELb0EPiSB_N6thrust23THRUST_200600_302600_NS4plusIiEEEE10hipError_tPvRmT2_T3_mT4_P12ihipStream_tbEUlmE_iEESB_NS0_8identityIvEEEESG_SJ_SK_mSL_SN_bEUlT_E_NS1_11comp_targetILNS1_3genE10ELNS1_11target_archE1200ELNS1_3gpuE4ELNS1_3repE0EEENS1_30default_config_static_selectorELNS0_4arch9wavefront6targetE0EEEvT1_ ; -- Begin function _ZN7rocprim17ROCPRIM_400000_NS6detail17trampoline_kernelINS0_14default_configENS1_25transform_config_selectorIiLb0EEEZNS1_14transform_implILb0ES3_S5_NS0_18transform_iteratorINS0_17counting_iteratorImlEEZNS1_24adjacent_difference_implIS3_Lb1ELb0EPiSB_N6thrust23THRUST_200600_302600_NS4plusIiEEEE10hipError_tPvRmT2_T3_mT4_P12ihipStream_tbEUlmE_iEESB_NS0_8identityIvEEEESG_SJ_SK_mSL_SN_bEUlT_E_NS1_11comp_targetILNS1_3genE10ELNS1_11target_archE1200ELNS1_3gpuE4ELNS1_3repE0EEENS1_30default_config_static_selectorELNS0_4arch9wavefront6targetE0EEEvT1_
	.globl	_ZN7rocprim17ROCPRIM_400000_NS6detail17trampoline_kernelINS0_14default_configENS1_25transform_config_selectorIiLb0EEEZNS1_14transform_implILb0ES3_S5_NS0_18transform_iteratorINS0_17counting_iteratorImlEEZNS1_24adjacent_difference_implIS3_Lb1ELb0EPiSB_N6thrust23THRUST_200600_302600_NS4plusIiEEEE10hipError_tPvRmT2_T3_mT4_P12ihipStream_tbEUlmE_iEESB_NS0_8identityIvEEEESG_SJ_SK_mSL_SN_bEUlT_E_NS1_11comp_targetILNS1_3genE10ELNS1_11target_archE1200ELNS1_3gpuE4ELNS1_3repE0EEENS1_30default_config_static_selectorELNS0_4arch9wavefront6targetE0EEEvT1_
	.p2align	8
	.type	_ZN7rocprim17ROCPRIM_400000_NS6detail17trampoline_kernelINS0_14default_configENS1_25transform_config_selectorIiLb0EEEZNS1_14transform_implILb0ES3_S5_NS0_18transform_iteratorINS0_17counting_iteratorImlEEZNS1_24adjacent_difference_implIS3_Lb1ELb0EPiSB_N6thrust23THRUST_200600_302600_NS4plusIiEEEE10hipError_tPvRmT2_T3_mT4_P12ihipStream_tbEUlmE_iEESB_NS0_8identityIvEEEESG_SJ_SK_mSL_SN_bEUlT_E_NS1_11comp_targetILNS1_3genE10ELNS1_11target_archE1200ELNS1_3gpuE4ELNS1_3repE0EEENS1_30default_config_static_selectorELNS0_4arch9wavefront6targetE0EEEvT1_,@function
_ZN7rocprim17ROCPRIM_400000_NS6detail17trampoline_kernelINS0_14default_configENS1_25transform_config_selectorIiLb0EEEZNS1_14transform_implILb0ES3_S5_NS0_18transform_iteratorINS0_17counting_iteratorImlEEZNS1_24adjacent_difference_implIS3_Lb1ELb0EPiSB_N6thrust23THRUST_200600_302600_NS4plusIiEEEE10hipError_tPvRmT2_T3_mT4_P12ihipStream_tbEUlmE_iEESB_NS0_8identityIvEEEESG_SJ_SK_mSL_SN_bEUlT_E_NS1_11comp_targetILNS1_3genE10ELNS1_11target_archE1200ELNS1_3gpuE4ELNS1_3repE0EEENS1_30default_config_static_selectorELNS0_4arch9wavefront6targetE0EEEvT1_: ; @_ZN7rocprim17ROCPRIM_400000_NS6detail17trampoline_kernelINS0_14default_configENS1_25transform_config_selectorIiLb0EEEZNS1_14transform_implILb0ES3_S5_NS0_18transform_iteratorINS0_17counting_iteratorImlEEZNS1_24adjacent_difference_implIS3_Lb1ELb0EPiSB_N6thrust23THRUST_200600_302600_NS4plusIiEEEE10hipError_tPvRmT2_T3_mT4_P12ihipStream_tbEUlmE_iEESB_NS0_8identityIvEEEESG_SJ_SK_mSL_SN_bEUlT_E_NS1_11comp_targetILNS1_3genE10ELNS1_11target_archE1200ELNS1_3gpuE4ELNS1_3repE0EEENS1_30default_config_static_selectorELNS0_4arch9wavefront6targetE0EEEvT1_
; %bb.0:
	.section	.rodata,"a",@progbits
	.p2align	6, 0x0
	.amdhsa_kernel _ZN7rocprim17ROCPRIM_400000_NS6detail17trampoline_kernelINS0_14default_configENS1_25transform_config_selectorIiLb0EEEZNS1_14transform_implILb0ES3_S5_NS0_18transform_iteratorINS0_17counting_iteratorImlEEZNS1_24adjacent_difference_implIS3_Lb1ELb0EPiSB_N6thrust23THRUST_200600_302600_NS4plusIiEEEE10hipError_tPvRmT2_T3_mT4_P12ihipStream_tbEUlmE_iEESB_NS0_8identityIvEEEESG_SJ_SK_mSL_SN_bEUlT_E_NS1_11comp_targetILNS1_3genE10ELNS1_11target_archE1200ELNS1_3gpuE4ELNS1_3repE0EEENS1_30default_config_static_selectorELNS0_4arch9wavefront6targetE0EEEvT1_
		.amdhsa_group_segment_fixed_size 0
		.amdhsa_private_segment_fixed_size 0
		.amdhsa_kernarg_size 56
		.amdhsa_user_sgpr_count 15
		.amdhsa_user_sgpr_dispatch_ptr 0
		.amdhsa_user_sgpr_queue_ptr 0
		.amdhsa_user_sgpr_kernarg_segment_ptr 1
		.amdhsa_user_sgpr_dispatch_id 0
		.amdhsa_user_sgpr_private_segment_size 0
		.amdhsa_wavefront_size32 1
		.amdhsa_uses_dynamic_stack 0
		.amdhsa_enable_private_segment 0
		.amdhsa_system_sgpr_workgroup_id_x 1
		.amdhsa_system_sgpr_workgroup_id_y 0
		.amdhsa_system_sgpr_workgroup_id_z 0
		.amdhsa_system_sgpr_workgroup_info 0
		.amdhsa_system_vgpr_workitem_id 0
		.amdhsa_next_free_vgpr 1
		.amdhsa_next_free_sgpr 1
		.amdhsa_reserve_vcc 0
		.amdhsa_float_round_mode_32 0
		.amdhsa_float_round_mode_16_64 0
		.amdhsa_float_denorm_mode_32 3
		.amdhsa_float_denorm_mode_16_64 3
		.amdhsa_dx10_clamp 1
		.amdhsa_ieee_mode 1
		.amdhsa_fp16_overflow 0
		.amdhsa_workgroup_processor_mode 1
		.amdhsa_memory_ordered 1
		.amdhsa_forward_progress 0
		.amdhsa_shared_vgpr_count 0
		.amdhsa_exception_fp_ieee_invalid_op 0
		.amdhsa_exception_fp_denorm_src 0
		.amdhsa_exception_fp_ieee_div_zero 0
		.amdhsa_exception_fp_ieee_overflow 0
		.amdhsa_exception_fp_ieee_underflow 0
		.amdhsa_exception_fp_ieee_inexact 0
		.amdhsa_exception_int_div_zero 0
	.end_amdhsa_kernel
	.section	.text._ZN7rocprim17ROCPRIM_400000_NS6detail17trampoline_kernelINS0_14default_configENS1_25transform_config_selectorIiLb0EEEZNS1_14transform_implILb0ES3_S5_NS0_18transform_iteratorINS0_17counting_iteratorImlEEZNS1_24adjacent_difference_implIS3_Lb1ELb0EPiSB_N6thrust23THRUST_200600_302600_NS4plusIiEEEE10hipError_tPvRmT2_T3_mT4_P12ihipStream_tbEUlmE_iEESB_NS0_8identityIvEEEESG_SJ_SK_mSL_SN_bEUlT_E_NS1_11comp_targetILNS1_3genE10ELNS1_11target_archE1200ELNS1_3gpuE4ELNS1_3repE0EEENS1_30default_config_static_selectorELNS0_4arch9wavefront6targetE0EEEvT1_,"axG",@progbits,_ZN7rocprim17ROCPRIM_400000_NS6detail17trampoline_kernelINS0_14default_configENS1_25transform_config_selectorIiLb0EEEZNS1_14transform_implILb0ES3_S5_NS0_18transform_iteratorINS0_17counting_iteratorImlEEZNS1_24adjacent_difference_implIS3_Lb1ELb0EPiSB_N6thrust23THRUST_200600_302600_NS4plusIiEEEE10hipError_tPvRmT2_T3_mT4_P12ihipStream_tbEUlmE_iEESB_NS0_8identityIvEEEESG_SJ_SK_mSL_SN_bEUlT_E_NS1_11comp_targetILNS1_3genE10ELNS1_11target_archE1200ELNS1_3gpuE4ELNS1_3repE0EEENS1_30default_config_static_selectorELNS0_4arch9wavefront6targetE0EEEvT1_,comdat
.Lfunc_end346:
	.size	_ZN7rocprim17ROCPRIM_400000_NS6detail17trampoline_kernelINS0_14default_configENS1_25transform_config_selectorIiLb0EEEZNS1_14transform_implILb0ES3_S5_NS0_18transform_iteratorINS0_17counting_iteratorImlEEZNS1_24adjacent_difference_implIS3_Lb1ELb0EPiSB_N6thrust23THRUST_200600_302600_NS4plusIiEEEE10hipError_tPvRmT2_T3_mT4_P12ihipStream_tbEUlmE_iEESB_NS0_8identityIvEEEESG_SJ_SK_mSL_SN_bEUlT_E_NS1_11comp_targetILNS1_3genE10ELNS1_11target_archE1200ELNS1_3gpuE4ELNS1_3repE0EEENS1_30default_config_static_selectorELNS0_4arch9wavefront6targetE0EEEvT1_, .Lfunc_end346-_ZN7rocprim17ROCPRIM_400000_NS6detail17trampoline_kernelINS0_14default_configENS1_25transform_config_selectorIiLb0EEEZNS1_14transform_implILb0ES3_S5_NS0_18transform_iteratorINS0_17counting_iteratorImlEEZNS1_24adjacent_difference_implIS3_Lb1ELb0EPiSB_N6thrust23THRUST_200600_302600_NS4plusIiEEEE10hipError_tPvRmT2_T3_mT4_P12ihipStream_tbEUlmE_iEESB_NS0_8identityIvEEEESG_SJ_SK_mSL_SN_bEUlT_E_NS1_11comp_targetILNS1_3genE10ELNS1_11target_archE1200ELNS1_3gpuE4ELNS1_3repE0EEENS1_30default_config_static_selectorELNS0_4arch9wavefront6targetE0EEEvT1_
                                        ; -- End function
	.section	.AMDGPU.csdata,"",@progbits
; Kernel info:
; codeLenInByte = 0
; NumSgprs: 0
; NumVgprs: 0
; ScratchSize: 0
; MemoryBound: 0
; FloatMode: 240
; IeeeMode: 1
; LDSByteSize: 0 bytes/workgroup (compile time only)
; SGPRBlocks: 0
; VGPRBlocks: 0
; NumSGPRsForWavesPerEU: 1
; NumVGPRsForWavesPerEU: 1
; Occupancy: 16
; WaveLimiterHint : 0
; COMPUTE_PGM_RSRC2:SCRATCH_EN: 0
; COMPUTE_PGM_RSRC2:USER_SGPR: 15
; COMPUTE_PGM_RSRC2:TRAP_HANDLER: 0
; COMPUTE_PGM_RSRC2:TGID_X_EN: 1
; COMPUTE_PGM_RSRC2:TGID_Y_EN: 0
; COMPUTE_PGM_RSRC2:TGID_Z_EN: 0
; COMPUTE_PGM_RSRC2:TIDIG_COMP_CNT: 0
	.section	.text._ZN7rocprim17ROCPRIM_400000_NS6detail17trampoline_kernelINS0_14default_configENS1_25transform_config_selectorIiLb0EEEZNS1_14transform_implILb0ES3_S5_NS0_18transform_iteratorINS0_17counting_iteratorImlEEZNS1_24adjacent_difference_implIS3_Lb1ELb0EPiSB_N6thrust23THRUST_200600_302600_NS4plusIiEEEE10hipError_tPvRmT2_T3_mT4_P12ihipStream_tbEUlmE_iEESB_NS0_8identityIvEEEESG_SJ_SK_mSL_SN_bEUlT_E_NS1_11comp_targetILNS1_3genE9ELNS1_11target_archE1100ELNS1_3gpuE3ELNS1_3repE0EEENS1_30default_config_static_selectorELNS0_4arch9wavefront6targetE0EEEvT1_,"axG",@progbits,_ZN7rocprim17ROCPRIM_400000_NS6detail17trampoline_kernelINS0_14default_configENS1_25transform_config_selectorIiLb0EEEZNS1_14transform_implILb0ES3_S5_NS0_18transform_iteratorINS0_17counting_iteratorImlEEZNS1_24adjacent_difference_implIS3_Lb1ELb0EPiSB_N6thrust23THRUST_200600_302600_NS4plusIiEEEE10hipError_tPvRmT2_T3_mT4_P12ihipStream_tbEUlmE_iEESB_NS0_8identityIvEEEESG_SJ_SK_mSL_SN_bEUlT_E_NS1_11comp_targetILNS1_3genE9ELNS1_11target_archE1100ELNS1_3gpuE3ELNS1_3repE0EEENS1_30default_config_static_selectorELNS0_4arch9wavefront6targetE0EEEvT1_,comdat
	.protected	_ZN7rocprim17ROCPRIM_400000_NS6detail17trampoline_kernelINS0_14default_configENS1_25transform_config_selectorIiLb0EEEZNS1_14transform_implILb0ES3_S5_NS0_18transform_iteratorINS0_17counting_iteratorImlEEZNS1_24adjacent_difference_implIS3_Lb1ELb0EPiSB_N6thrust23THRUST_200600_302600_NS4plusIiEEEE10hipError_tPvRmT2_T3_mT4_P12ihipStream_tbEUlmE_iEESB_NS0_8identityIvEEEESG_SJ_SK_mSL_SN_bEUlT_E_NS1_11comp_targetILNS1_3genE9ELNS1_11target_archE1100ELNS1_3gpuE3ELNS1_3repE0EEENS1_30default_config_static_selectorELNS0_4arch9wavefront6targetE0EEEvT1_ ; -- Begin function _ZN7rocprim17ROCPRIM_400000_NS6detail17trampoline_kernelINS0_14default_configENS1_25transform_config_selectorIiLb0EEEZNS1_14transform_implILb0ES3_S5_NS0_18transform_iteratorINS0_17counting_iteratorImlEEZNS1_24adjacent_difference_implIS3_Lb1ELb0EPiSB_N6thrust23THRUST_200600_302600_NS4plusIiEEEE10hipError_tPvRmT2_T3_mT4_P12ihipStream_tbEUlmE_iEESB_NS0_8identityIvEEEESG_SJ_SK_mSL_SN_bEUlT_E_NS1_11comp_targetILNS1_3genE9ELNS1_11target_archE1100ELNS1_3gpuE3ELNS1_3repE0EEENS1_30default_config_static_selectorELNS0_4arch9wavefront6targetE0EEEvT1_
	.globl	_ZN7rocprim17ROCPRIM_400000_NS6detail17trampoline_kernelINS0_14default_configENS1_25transform_config_selectorIiLb0EEEZNS1_14transform_implILb0ES3_S5_NS0_18transform_iteratorINS0_17counting_iteratorImlEEZNS1_24adjacent_difference_implIS3_Lb1ELb0EPiSB_N6thrust23THRUST_200600_302600_NS4plusIiEEEE10hipError_tPvRmT2_T3_mT4_P12ihipStream_tbEUlmE_iEESB_NS0_8identityIvEEEESG_SJ_SK_mSL_SN_bEUlT_E_NS1_11comp_targetILNS1_3genE9ELNS1_11target_archE1100ELNS1_3gpuE3ELNS1_3repE0EEENS1_30default_config_static_selectorELNS0_4arch9wavefront6targetE0EEEvT1_
	.p2align	8
	.type	_ZN7rocprim17ROCPRIM_400000_NS6detail17trampoline_kernelINS0_14default_configENS1_25transform_config_selectorIiLb0EEEZNS1_14transform_implILb0ES3_S5_NS0_18transform_iteratorINS0_17counting_iteratorImlEEZNS1_24adjacent_difference_implIS3_Lb1ELb0EPiSB_N6thrust23THRUST_200600_302600_NS4plusIiEEEE10hipError_tPvRmT2_T3_mT4_P12ihipStream_tbEUlmE_iEESB_NS0_8identityIvEEEESG_SJ_SK_mSL_SN_bEUlT_E_NS1_11comp_targetILNS1_3genE9ELNS1_11target_archE1100ELNS1_3gpuE3ELNS1_3repE0EEENS1_30default_config_static_selectorELNS0_4arch9wavefront6targetE0EEEvT1_,@function
_ZN7rocprim17ROCPRIM_400000_NS6detail17trampoline_kernelINS0_14default_configENS1_25transform_config_selectorIiLb0EEEZNS1_14transform_implILb0ES3_S5_NS0_18transform_iteratorINS0_17counting_iteratorImlEEZNS1_24adjacent_difference_implIS3_Lb1ELb0EPiSB_N6thrust23THRUST_200600_302600_NS4plusIiEEEE10hipError_tPvRmT2_T3_mT4_P12ihipStream_tbEUlmE_iEESB_NS0_8identityIvEEEESG_SJ_SK_mSL_SN_bEUlT_E_NS1_11comp_targetILNS1_3genE9ELNS1_11target_archE1100ELNS1_3gpuE3ELNS1_3repE0EEENS1_30default_config_static_selectorELNS0_4arch9wavefront6targetE0EEEvT1_: ; @_ZN7rocprim17ROCPRIM_400000_NS6detail17trampoline_kernelINS0_14default_configENS1_25transform_config_selectorIiLb0EEEZNS1_14transform_implILb0ES3_S5_NS0_18transform_iteratorINS0_17counting_iteratorImlEEZNS1_24adjacent_difference_implIS3_Lb1ELb0EPiSB_N6thrust23THRUST_200600_302600_NS4plusIiEEEE10hipError_tPvRmT2_T3_mT4_P12ihipStream_tbEUlmE_iEESB_NS0_8identityIvEEEESG_SJ_SK_mSL_SN_bEUlT_E_NS1_11comp_targetILNS1_3genE9ELNS1_11target_archE1100ELNS1_3gpuE3ELNS1_3repE0EEENS1_30default_config_static_selectorELNS0_4arch9wavefront6targetE0EEEvT1_
; %bb.0:
	s_clause 0x4
	s_load_b128 s[4:7], s[0:1], 0x0
	s_load_b64 s[2:3], s[0:1], 0x18
	s_load_b64 s[12:13], s[0:1], 0x28
	s_load_b32 s11, s[0:1], 0x38
	s_load_b32 s8, s[0:1], 0x10
	s_waitcnt lgkmcnt(0)
	s_add_u32 s9, s2, s4
	s_addc_u32 s10, s3, s5
	s_lshl_b64 s[2:3], s[2:3], 2
	s_delay_alu instid0(SALU_CYCLE_1)
	s_add_u32 s4, s12, s2
	s_addc_u32 s5, s13, s3
	s_add_i32 s11, s11, -1
	s_lshl_b32 s2, s15, 6
	s_mov_b32 s3, 0
	s_cmp_lg_u32 s15, s11
	s_mov_b32 s11, -1
	s_cbranch_scc0 .LBB347_2
; %bb.1:
	s_add_u32 s11, s9, s2
	s_addc_u32 s12, s10, 0
	v_add_co_u32 v3, s11, s11, v0
	s_delay_alu instid0(VALU_DEP_1) | instskip(SKIP_1) | instid1(VALU_DEP_2)
	v_add_co_ci_u32_e64 v5, null, s12, 0, s11
	s_lshl_b64 s[12:13], s[2:3], 2
	v_mad_u64_u32 v[1:2], null, v3, s8, 0
	s_add_u32 s12, s4, s12
	s_addc_u32 s13, s5, s13
	s_mov_b32 s11, s3
	s_delay_alu instid0(VALU_DEP_1) | instskip(NEXT) | instid1(VALU_DEP_1)
	v_mad_u64_u32 v[3:4], null, v5, s8, v[2:3]
	v_mov_b32_e32 v2, v3
	s_delay_alu instid0(VALU_DEP_1) | instskip(NEXT) | instid1(VALU_DEP_1)
	v_lshlrev_b64 v[1:2], 2, v[1:2]
	v_add_co_u32 v1, vcc_lo, s6, v1
	s_delay_alu instid0(VALU_DEP_2)
	v_add_co_ci_u32_e32 v2, vcc_lo, s7, v2, vcc_lo
	global_load_b32 v1, v[1:2], off
	v_lshlrev_b32_e32 v2, 2, v0
	s_waitcnt vmcnt(0)
	global_store_b32 v2, v1, s[12:13]
.LBB347_2:
	s_and_not1_b32 vcc_lo, exec_lo, s11
	s_cbranch_vccnz .LBB347_7
; %bb.3:
	s_load_b32 s0, s[0:1], 0x20
                                        ; implicit-def: $vgpr1
	s_waitcnt lgkmcnt(0)
	s_sub_i32 s0, s0, s2
	s_delay_alu instid0(SALU_CYCLE_1)
	v_cmp_gt_u32_e32 vcc_lo, s0, v0
	s_and_saveexec_b32 s1, vcc_lo
	s_cbranch_execz .LBB347_5
; %bb.4:
	s_add_u32 s0, s9, s2
	s_addc_u32 s9, s10, 0
	v_add_co_u32 v3, s0, s0, v0
	s_delay_alu instid0(VALU_DEP_1) | instskip(NEXT) | instid1(VALU_DEP_2)
	v_add_co_ci_u32_e64 v5, null, s9, 0, s0
	v_mad_u64_u32 v[1:2], null, v3, s8, 0
	s_delay_alu instid0(VALU_DEP_1) | instskip(NEXT) | instid1(VALU_DEP_1)
	v_mad_u64_u32 v[3:4], null, v5, s8, v[2:3]
	v_mov_b32_e32 v2, v3
	s_delay_alu instid0(VALU_DEP_1) | instskip(NEXT) | instid1(VALU_DEP_1)
	v_lshlrev_b64 v[1:2], 2, v[1:2]
	v_add_co_u32 v1, s0, s6, v1
	s_delay_alu instid0(VALU_DEP_1)
	v_add_co_ci_u32_e64 v2, s0, s7, v2, s0
	global_load_b32 v1, v[1:2], off
.LBB347_5:
	s_or_b32 exec_lo, exec_lo, s1
	s_and_saveexec_b32 s0, vcc_lo
	s_cbranch_execz .LBB347_7
; %bb.6:
	s_lshl_b64 s[0:1], s[2:3], 2
	v_lshlrev_b32_e32 v0, 2, v0
	s_add_u32 s0, s4, s0
	s_addc_u32 s1, s5, s1
	s_waitcnt vmcnt(0)
	global_store_b32 v0, v1, s[0:1]
.LBB347_7:
	s_nop 0
	s_sendmsg sendmsg(MSG_DEALLOC_VGPRS)
	s_endpgm
	.section	.rodata,"a",@progbits
	.p2align	6, 0x0
	.amdhsa_kernel _ZN7rocprim17ROCPRIM_400000_NS6detail17trampoline_kernelINS0_14default_configENS1_25transform_config_selectorIiLb0EEEZNS1_14transform_implILb0ES3_S5_NS0_18transform_iteratorINS0_17counting_iteratorImlEEZNS1_24adjacent_difference_implIS3_Lb1ELb0EPiSB_N6thrust23THRUST_200600_302600_NS4plusIiEEEE10hipError_tPvRmT2_T3_mT4_P12ihipStream_tbEUlmE_iEESB_NS0_8identityIvEEEESG_SJ_SK_mSL_SN_bEUlT_E_NS1_11comp_targetILNS1_3genE9ELNS1_11target_archE1100ELNS1_3gpuE3ELNS1_3repE0EEENS1_30default_config_static_selectorELNS0_4arch9wavefront6targetE0EEEvT1_
		.amdhsa_group_segment_fixed_size 0
		.amdhsa_private_segment_fixed_size 0
		.amdhsa_kernarg_size 312
		.amdhsa_user_sgpr_count 15
		.amdhsa_user_sgpr_dispatch_ptr 0
		.amdhsa_user_sgpr_queue_ptr 0
		.amdhsa_user_sgpr_kernarg_segment_ptr 1
		.amdhsa_user_sgpr_dispatch_id 0
		.amdhsa_user_sgpr_private_segment_size 0
		.amdhsa_wavefront_size32 1
		.amdhsa_uses_dynamic_stack 0
		.amdhsa_enable_private_segment 0
		.amdhsa_system_sgpr_workgroup_id_x 1
		.amdhsa_system_sgpr_workgroup_id_y 0
		.amdhsa_system_sgpr_workgroup_id_z 0
		.amdhsa_system_sgpr_workgroup_info 0
		.amdhsa_system_vgpr_workitem_id 0
		.amdhsa_next_free_vgpr 6
		.amdhsa_next_free_sgpr 16
		.amdhsa_reserve_vcc 1
		.amdhsa_float_round_mode_32 0
		.amdhsa_float_round_mode_16_64 0
		.amdhsa_float_denorm_mode_32 3
		.amdhsa_float_denorm_mode_16_64 3
		.amdhsa_dx10_clamp 1
		.amdhsa_ieee_mode 1
		.amdhsa_fp16_overflow 0
		.amdhsa_workgroup_processor_mode 1
		.amdhsa_memory_ordered 1
		.amdhsa_forward_progress 0
		.amdhsa_shared_vgpr_count 0
		.amdhsa_exception_fp_ieee_invalid_op 0
		.amdhsa_exception_fp_denorm_src 0
		.amdhsa_exception_fp_ieee_div_zero 0
		.amdhsa_exception_fp_ieee_overflow 0
		.amdhsa_exception_fp_ieee_underflow 0
		.amdhsa_exception_fp_ieee_inexact 0
		.amdhsa_exception_int_div_zero 0
	.end_amdhsa_kernel
	.section	.text._ZN7rocprim17ROCPRIM_400000_NS6detail17trampoline_kernelINS0_14default_configENS1_25transform_config_selectorIiLb0EEEZNS1_14transform_implILb0ES3_S5_NS0_18transform_iteratorINS0_17counting_iteratorImlEEZNS1_24adjacent_difference_implIS3_Lb1ELb0EPiSB_N6thrust23THRUST_200600_302600_NS4plusIiEEEE10hipError_tPvRmT2_T3_mT4_P12ihipStream_tbEUlmE_iEESB_NS0_8identityIvEEEESG_SJ_SK_mSL_SN_bEUlT_E_NS1_11comp_targetILNS1_3genE9ELNS1_11target_archE1100ELNS1_3gpuE3ELNS1_3repE0EEENS1_30default_config_static_selectorELNS0_4arch9wavefront6targetE0EEEvT1_,"axG",@progbits,_ZN7rocprim17ROCPRIM_400000_NS6detail17trampoline_kernelINS0_14default_configENS1_25transform_config_selectorIiLb0EEEZNS1_14transform_implILb0ES3_S5_NS0_18transform_iteratorINS0_17counting_iteratorImlEEZNS1_24adjacent_difference_implIS3_Lb1ELb0EPiSB_N6thrust23THRUST_200600_302600_NS4plusIiEEEE10hipError_tPvRmT2_T3_mT4_P12ihipStream_tbEUlmE_iEESB_NS0_8identityIvEEEESG_SJ_SK_mSL_SN_bEUlT_E_NS1_11comp_targetILNS1_3genE9ELNS1_11target_archE1100ELNS1_3gpuE3ELNS1_3repE0EEENS1_30default_config_static_selectorELNS0_4arch9wavefront6targetE0EEEvT1_,comdat
.Lfunc_end347:
	.size	_ZN7rocprim17ROCPRIM_400000_NS6detail17trampoline_kernelINS0_14default_configENS1_25transform_config_selectorIiLb0EEEZNS1_14transform_implILb0ES3_S5_NS0_18transform_iteratorINS0_17counting_iteratorImlEEZNS1_24adjacent_difference_implIS3_Lb1ELb0EPiSB_N6thrust23THRUST_200600_302600_NS4plusIiEEEE10hipError_tPvRmT2_T3_mT4_P12ihipStream_tbEUlmE_iEESB_NS0_8identityIvEEEESG_SJ_SK_mSL_SN_bEUlT_E_NS1_11comp_targetILNS1_3genE9ELNS1_11target_archE1100ELNS1_3gpuE3ELNS1_3repE0EEENS1_30default_config_static_selectorELNS0_4arch9wavefront6targetE0EEEvT1_, .Lfunc_end347-_ZN7rocprim17ROCPRIM_400000_NS6detail17trampoline_kernelINS0_14default_configENS1_25transform_config_selectorIiLb0EEEZNS1_14transform_implILb0ES3_S5_NS0_18transform_iteratorINS0_17counting_iteratorImlEEZNS1_24adjacent_difference_implIS3_Lb1ELb0EPiSB_N6thrust23THRUST_200600_302600_NS4plusIiEEEE10hipError_tPvRmT2_T3_mT4_P12ihipStream_tbEUlmE_iEESB_NS0_8identityIvEEEESG_SJ_SK_mSL_SN_bEUlT_E_NS1_11comp_targetILNS1_3genE9ELNS1_11target_archE1100ELNS1_3gpuE3ELNS1_3repE0EEENS1_30default_config_static_selectorELNS0_4arch9wavefront6targetE0EEEvT1_
                                        ; -- End function
	.section	.AMDGPU.csdata,"",@progbits
; Kernel info:
; codeLenInByte = 400
; NumSgprs: 18
; NumVgprs: 6
; ScratchSize: 0
; MemoryBound: 0
; FloatMode: 240
; IeeeMode: 1
; LDSByteSize: 0 bytes/workgroup (compile time only)
; SGPRBlocks: 2
; VGPRBlocks: 0
; NumSGPRsForWavesPerEU: 18
; NumVGPRsForWavesPerEU: 6
; Occupancy: 16
; WaveLimiterHint : 0
; COMPUTE_PGM_RSRC2:SCRATCH_EN: 0
; COMPUTE_PGM_RSRC2:USER_SGPR: 15
; COMPUTE_PGM_RSRC2:TRAP_HANDLER: 0
; COMPUTE_PGM_RSRC2:TGID_X_EN: 1
; COMPUTE_PGM_RSRC2:TGID_Y_EN: 0
; COMPUTE_PGM_RSRC2:TGID_Z_EN: 0
; COMPUTE_PGM_RSRC2:TIDIG_COMP_CNT: 0
	.section	.text._ZN7rocprim17ROCPRIM_400000_NS6detail17trampoline_kernelINS0_14default_configENS1_25transform_config_selectorIiLb0EEEZNS1_14transform_implILb0ES3_S5_NS0_18transform_iteratorINS0_17counting_iteratorImlEEZNS1_24adjacent_difference_implIS3_Lb1ELb0EPiSB_N6thrust23THRUST_200600_302600_NS4plusIiEEEE10hipError_tPvRmT2_T3_mT4_P12ihipStream_tbEUlmE_iEESB_NS0_8identityIvEEEESG_SJ_SK_mSL_SN_bEUlT_E_NS1_11comp_targetILNS1_3genE8ELNS1_11target_archE1030ELNS1_3gpuE2ELNS1_3repE0EEENS1_30default_config_static_selectorELNS0_4arch9wavefront6targetE0EEEvT1_,"axG",@progbits,_ZN7rocprim17ROCPRIM_400000_NS6detail17trampoline_kernelINS0_14default_configENS1_25transform_config_selectorIiLb0EEEZNS1_14transform_implILb0ES3_S5_NS0_18transform_iteratorINS0_17counting_iteratorImlEEZNS1_24adjacent_difference_implIS3_Lb1ELb0EPiSB_N6thrust23THRUST_200600_302600_NS4plusIiEEEE10hipError_tPvRmT2_T3_mT4_P12ihipStream_tbEUlmE_iEESB_NS0_8identityIvEEEESG_SJ_SK_mSL_SN_bEUlT_E_NS1_11comp_targetILNS1_3genE8ELNS1_11target_archE1030ELNS1_3gpuE2ELNS1_3repE0EEENS1_30default_config_static_selectorELNS0_4arch9wavefront6targetE0EEEvT1_,comdat
	.protected	_ZN7rocprim17ROCPRIM_400000_NS6detail17trampoline_kernelINS0_14default_configENS1_25transform_config_selectorIiLb0EEEZNS1_14transform_implILb0ES3_S5_NS0_18transform_iteratorINS0_17counting_iteratorImlEEZNS1_24adjacent_difference_implIS3_Lb1ELb0EPiSB_N6thrust23THRUST_200600_302600_NS4plusIiEEEE10hipError_tPvRmT2_T3_mT4_P12ihipStream_tbEUlmE_iEESB_NS0_8identityIvEEEESG_SJ_SK_mSL_SN_bEUlT_E_NS1_11comp_targetILNS1_3genE8ELNS1_11target_archE1030ELNS1_3gpuE2ELNS1_3repE0EEENS1_30default_config_static_selectorELNS0_4arch9wavefront6targetE0EEEvT1_ ; -- Begin function _ZN7rocprim17ROCPRIM_400000_NS6detail17trampoline_kernelINS0_14default_configENS1_25transform_config_selectorIiLb0EEEZNS1_14transform_implILb0ES3_S5_NS0_18transform_iteratorINS0_17counting_iteratorImlEEZNS1_24adjacent_difference_implIS3_Lb1ELb0EPiSB_N6thrust23THRUST_200600_302600_NS4plusIiEEEE10hipError_tPvRmT2_T3_mT4_P12ihipStream_tbEUlmE_iEESB_NS0_8identityIvEEEESG_SJ_SK_mSL_SN_bEUlT_E_NS1_11comp_targetILNS1_3genE8ELNS1_11target_archE1030ELNS1_3gpuE2ELNS1_3repE0EEENS1_30default_config_static_selectorELNS0_4arch9wavefront6targetE0EEEvT1_
	.globl	_ZN7rocprim17ROCPRIM_400000_NS6detail17trampoline_kernelINS0_14default_configENS1_25transform_config_selectorIiLb0EEEZNS1_14transform_implILb0ES3_S5_NS0_18transform_iteratorINS0_17counting_iteratorImlEEZNS1_24adjacent_difference_implIS3_Lb1ELb0EPiSB_N6thrust23THRUST_200600_302600_NS4plusIiEEEE10hipError_tPvRmT2_T3_mT4_P12ihipStream_tbEUlmE_iEESB_NS0_8identityIvEEEESG_SJ_SK_mSL_SN_bEUlT_E_NS1_11comp_targetILNS1_3genE8ELNS1_11target_archE1030ELNS1_3gpuE2ELNS1_3repE0EEENS1_30default_config_static_selectorELNS0_4arch9wavefront6targetE0EEEvT1_
	.p2align	8
	.type	_ZN7rocprim17ROCPRIM_400000_NS6detail17trampoline_kernelINS0_14default_configENS1_25transform_config_selectorIiLb0EEEZNS1_14transform_implILb0ES3_S5_NS0_18transform_iteratorINS0_17counting_iteratorImlEEZNS1_24adjacent_difference_implIS3_Lb1ELb0EPiSB_N6thrust23THRUST_200600_302600_NS4plusIiEEEE10hipError_tPvRmT2_T3_mT4_P12ihipStream_tbEUlmE_iEESB_NS0_8identityIvEEEESG_SJ_SK_mSL_SN_bEUlT_E_NS1_11comp_targetILNS1_3genE8ELNS1_11target_archE1030ELNS1_3gpuE2ELNS1_3repE0EEENS1_30default_config_static_selectorELNS0_4arch9wavefront6targetE0EEEvT1_,@function
_ZN7rocprim17ROCPRIM_400000_NS6detail17trampoline_kernelINS0_14default_configENS1_25transform_config_selectorIiLb0EEEZNS1_14transform_implILb0ES3_S5_NS0_18transform_iteratorINS0_17counting_iteratorImlEEZNS1_24adjacent_difference_implIS3_Lb1ELb0EPiSB_N6thrust23THRUST_200600_302600_NS4plusIiEEEE10hipError_tPvRmT2_T3_mT4_P12ihipStream_tbEUlmE_iEESB_NS0_8identityIvEEEESG_SJ_SK_mSL_SN_bEUlT_E_NS1_11comp_targetILNS1_3genE8ELNS1_11target_archE1030ELNS1_3gpuE2ELNS1_3repE0EEENS1_30default_config_static_selectorELNS0_4arch9wavefront6targetE0EEEvT1_: ; @_ZN7rocprim17ROCPRIM_400000_NS6detail17trampoline_kernelINS0_14default_configENS1_25transform_config_selectorIiLb0EEEZNS1_14transform_implILb0ES3_S5_NS0_18transform_iteratorINS0_17counting_iteratorImlEEZNS1_24adjacent_difference_implIS3_Lb1ELb0EPiSB_N6thrust23THRUST_200600_302600_NS4plusIiEEEE10hipError_tPvRmT2_T3_mT4_P12ihipStream_tbEUlmE_iEESB_NS0_8identityIvEEEESG_SJ_SK_mSL_SN_bEUlT_E_NS1_11comp_targetILNS1_3genE8ELNS1_11target_archE1030ELNS1_3gpuE2ELNS1_3repE0EEENS1_30default_config_static_selectorELNS0_4arch9wavefront6targetE0EEEvT1_
; %bb.0:
	.section	.rodata,"a",@progbits
	.p2align	6, 0x0
	.amdhsa_kernel _ZN7rocprim17ROCPRIM_400000_NS6detail17trampoline_kernelINS0_14default_configENS1_25transform_config_selectorIiLb0EEEZNS1_14transform_implILb0ES3_S5_NS0_18transform_iteratorINS0_17counting_iteratorImlEEZNS1_24adjacent_difference_implIS3_Lb1ELb0EPiSB_N6thrust23THRUST_200600_302600_NS4plusIiEEEE10hipError_tPvRmT2_T3_mT4_P12ihipStream_tbEUlmE_iEESB_NS0_8identityIvEEEESG_SJ_SK_mSL_SN_bEUlT_E_NS1_11comp_targetILNS1_3genE8ELNS1_11target_archE1030ELNS1_3gpuE2ELNS1_3repE0EEENS1_30default_config_static_selectorELNS0_4arch9wavefront6targetE0EEEvT1_
		.amdhsa_group_segment_fixed_size 0
		.amdhsa_private_segment_fixed_size 0
		.amdhsa_kernarg_size 56
		.amdhsa_user_sgpr_count 15
		.amdhsa_user_sgpr_dispatch_ptr 0
		.amdhsa_user_sgpr_queue_ptr 0
		.amdhsa_user_sgpr_kernarg_segment_ptr 1
		.amdhsa_user_sgpr_dispatch_id 0
		.amdhsa_user_sgpr_private_segment_size 0
		.amdhsa_wavefront_size32 1
		.amdhsa_uses_dynamic_stack 0
		.amdhsa_enable_private_segment 0
		.amdhsa_system_sgpr_workgroup_id_x 1
		.amdhsa_system_sgpr_workgroup_id_y 0
		.amdhsa_system_sgpr_workgroup_id_z 0
		.amdhsa_system_sgpr_workgroup_info 0
		.amdhsa_system_vgpr_workitem_id 0
		.amdhsa_next_free_vgpr 1
		.amdhsa_next_free_sgpr 1
		.amdhsa_reserve_vcc 0
		.amdhsa_float_round_mode_32 0
		.amdhsa_float_round_mode_16_64 0
		.amdhsa_float_denorm_mode_32 3
		.amdhsa_float_denorm_mode_16_64 3
		.amdhsa_dx10_clamp 1
		.amdhsa_ieee_mode 1
		.amdhsa_fp16_overflow 0
		.amdhsa_workgroup_processor_mode 1
		.amdhsa_memory_ordered 1
		.amdhsa_forward_progress 0
		.amdhsa_shared_vgpr_count 0
		.amdhsa_exception_fp_ieee_invalid_op 0
		.amdhsa_exception_fp_denorm_src 0
		.amdhsa_exception_fp_ieee_div_zero 0
		.amdhsa_exception_fp_ieee_overflow 0
		.amdhsa_exception_fp_ieee_underflow 0
		.amdhsa_exception_fp_ieee_inexact 0
		.amdhsa_exception_int_div_zero 0
	.end_amdhsa_kernel
	.section	.text._ZN7rocprim17ROCPRIM_400000_NS6detail17trampoline_kernelINS0_14default_configENS1_25transform_config_selectorIiLb0EEEZNS1_14transform_implILb0ES3_S5_NS0_18transform_iteratorINS0_17counting_iteratorImlEEZNS1_24adjacent_difference_implIS3_Lb1ELb0EPiSB_N6thrust23THRUST_200600_302600_NS4plusIiEEEE10hipError_tPvRmT2_T3_mT4_P12ihipStream_tbEUlmE_iEESB_NS0_8identityIvEEEESG_SJ_SK_mSL_SN_bEUlT_E_NS1_11comp_targetILNS1_3genE8ELNS1_11target_archE1030ELNS1_3gpuE2ELNS1_3repE0EEENS1_30default_config_static_selectorELNS0_4arch9wavefront6targetE0EEEvT1_,"axG",@progbits,_ZN7rocprim17ROCPRIM_400000_NS6detail17trampoline_kernelINS0_14default_configENS1_25transform_config_selectorIiLb0EEEZNS1_14transform_implILb0ES3_S5_NS0_18transform_iteratorINS0_17counting_iteratorImlEEZNS1_24adjacent_difference_implIS3_Lb1ELb0EPiSB_N6thrust23THRUST_200600_302600_NS4plusIiEEEE10hipError_tPvRmT2_T3_mT4_P12ihipStream_tbEUlmE_iEESB_NS0_8identityIvEEEESG_SJ_SK_mSL_SN_bEUlT_E_NS1_11comp_targetILNS1_3genE8ELNS1_11target_archE1030ELNS1_3gpuE2ELNS1_3repE0EEENS1_30default_config_static_selectorELNS0_4arch9wavefront6targetE0EEEvT1_,comdat
.Lfunc_end348:
	.size	_ZN7rocprim17ROCPRIM_400000_NS6detail17trampoline_kernelINS0_14default_configENS1_25transform_config_selectorIiLb0EEEZNS1_14transform_implILb0ES3_S5_NS0_18transform_iteratorINS0_17counting_iteratorImlEEZNS1_24adjacent_difference_implIS3_Lb1ELb0EPiSB_N6thrust23THRUST_200600_302600_NS4plusIiEEEE10hipError_tPvRmT2_T3_mT4_P12ihipStream_tbEUlmE_iEESB_NS0_8identityIvEEEESG_SJ_SK_mSL_SN_bEUlT_E_NS1_11comp_targetILNS1_3genE8ELNS1_11target_archE1030ELNS1_3gpuE2ELNS1_3repE0EEENS1_30default_config_static_selectorELNS0_4arch9wavefront6targetE0EEEvT1_, .Lfunc_end348-_ZN7rocprim17ROCPRIM_400000_NS6detail17trampoline_kernelINS0_14default_configENS1_25transform_config_selectorIiLb0EEEZNS1_14transform_implILb0ES3_S5_NS0_18transform_iteratorINS0_17counting_iteratorImlEEZNS1_24adjacent_difference_implIS3_Lb1ELb0EPiSB_N6thrust23THRUST_200600_302600_NS4plusIiEEEE10hipError_tPvRmT2_T3_mT4_P12ihipStream_tbEUlmE_iEESB_NS0_8identityIvEEEESG_SJ_SK_mSL_SN_bEUlT_E_NS1_11comp_targetILNS1_3genE8ELNS1_11target_archE1030ELNS1_3gpuE2ELNS1_3repE0EEENS1_30default_config_static_selectorELNS0_4arch9wavefront6targetE0EEEvT1_
                                        ; -- End function
	.section	.AMDGPU.csdata,"",@progbits
; Kernel info:
; codeLenInByte = 0
; NumSgprs: 0
; NumVgprs: 0
; ScratchSize: 0
; MemoryBound: 0
; FloatMode: 240
; IeeeMode: 1
; LDSByteSize: 0 bytes/workgroup (compile time only)
; SGPRBlocks: 0
; VGPRBlocks: 0
; NumSGPRsForWavesPerEU: 1
; NumVGPRsForWavesPerEU: 1
; Occupancy: 16
; WaveLimiterHint : 0
; COMPUTE_PGM_RSRC2:SCRATCH_EN: 0
; COMPUTE_PGM_RSRC2:USER_SGPR: 15
; COMPUTE_PGM_RSRC2:TRAP_HANDLER: 0
; COMPUTE_PGM_RSRC2:TGID_X_EN: 1
; COMPUTE_PGM_RSRC2:TGID_Y_EN: 0
; COMPUTE_PGM_RSRC2:TGID_Z_EN: 0
; COMPUTE_PGM_RSRC2:TIDIG_COMP_CNT: 0
	.section	.text._ZN7rocprim17ROCPRIM_400000_NS6detail17trampoline_kernelINS0_14default_configENS1_35adjacent_difference_config_selectorILb1EiEEZNS1_24adjacent_difference_implIS3_Lb1ELb0EPiS7_N6thrust23THRUST_200600_302600_NS4plusIiEEEE10hipError_tPvRmT2_T3_mT4_P12ihipStream_tbEUlT_E_NS1_11comp_targetILNS1_3genE0ELNS1_11target_archE4294967295ELNS1_3gpuE0ELNS1_3repE0EEENS1_30default_config_static_selectorELNS0_4arch9wavefront6targetE0EEEvT1_,"axG",@progbits,_ZN7rocprim17ROCPRIM_400000_NS6detail17trampoline_kernelINS0_14default_configENS1_35adjacent_difference_config_selectorILb1EiEEZNS1_24adjacent_difference_implIS3_Lb1ELb0EPiS7_N6thrust23THRUST_200600_302600_NS4plusIiEEEE10hipError_tPvRmT2_T3_mT4_P12ihipStream_tbEUlT_E_NS1_11comp_targetILNS1_3genE0ELNS1_11target_archE4294967295ELNS1_3gpuE0ELNS1_3repE0EEENS1_30default_config_static_selectorELNS0_4arch9wavefront6targetE0EEEvT1_,comdat
	.protected	_ZN7rocprim17ROCPRIM_400000_NS6detail17trampoline_kernelINS0_14default_configENS1_35adjacent_difference_config_selectorILb1EiEEZNS1_24adjacent_difference_implIS3_Lb1ELb0EPiS7_N6thrust23THRUST_200600_302600_NS4plusIiEEEE10hipError_tPvRmT2_T3_mT4_P12ihipStream_tbEUlT_E_NS1_11comp_targetILNS1_3genE0ELNS1_11target_archE4294967295ELNS1_3gpuE0ELNS1_3repE0EEENS1_30default_config_static_selectorELNS0_4arch9wavefront6targetE0EEEvT1_ ; -- Begin function _ZN7rocprim17ROCPRIM_400000_NS6detail17trampoline_kernelINS0_14default_configENS1_35adjacent_difference_config_selectorILb1EiEEZNS1_24adjacent_difference_implIS3_Lb1ELb0EPiS7_N6thrust23THRUST_200600_302600_NS4plusIiEEEE10hipError_tPvRmT2_T3_mT4_P12ihipStream_tbEUlT_E_NS1_11comp_targetILNS1_3genE0ELNS1_11target_archE4294967295ELNS1_3gpuE0ELNS1_3repE0EEENS1_30default_config_static_selectorELNS0_4arch9wavefront6targetE0EEEvT1_
	.globl	_ZN7rocprim17ROCPRIM_400000_NS6detail17trampoline_kernelINS0_14default_configENS1_35adjacent_difference_config_selectorILb1EiEEZNS1_24adjacent_difference_implIS3_Lb1ELb0EPiS7_N6thrust23THRUST_200600_302600_NS4plusIiEEEE10hipError_tPvRmT2_T3_mT4_P12ihipStream_tbEUlT_E_NS1_11comp_targetILNS1_3genE0ELNS1_11target_archE4294967295ELNS1_3gpuE0ELNS1_3repE0EEENS1_30default_config_static_selectorELNS0_4arch9wavefront6targetE0EEEvT1_
	.p2align	8
	.type	_ZN7rocprim17ROCPRIM_400000_NS6detail17trampoline_kernelINS0_14default_configENS1_35adjacent_difference_config_selectorILb1EiEEZNS1_24adjacent_difference_implIS3_Lb1ELb0EPiS7_N6thrust23THRUST_200600_302600_NS4plusIiEEEE10hipError_tPvRmT2_T3_mT4_P12ihipStream_tbEUlT_E_NS1_11comp_targetILNS1_3genE0ELNS1_11target_archE4294967295ELNS1_3gpuE0ELNS1_3repE0EEENS1_30default_config_static_selectorELNS0_4arch9wavefront6targetE0EEEvT1_,@function
_ZN7rocprim17ROCPRIM_400000_NS6detail17trampoline_kernelINS0_14default_configENS1_35adjacent_difference_config_selectorILb1EiEEZNS1_24adjacent_difference_implIS3_Lb1ELb0EPiS7_N6thrust23THRUST_200600_302600_NS4plusIiEEEE10hipError_tPvRmT2_T3_mT4_P12ihipStream_tbEUlT_E_NS1_11comp_targetILNS1_3genE0ELNS1_11target_archE4294967295ELNS1_3gpuE0ELNS1_3repE0EEENS1_30default_config_static_selectorELNS0_4arch9wavefront6targetE0EEEvT1_: ; @_ZN7rocprim17ROCPRIM_400000_NS6detail17trampoline_kernelINS0_14default_configENS1_35adjacent_difference_config_selectorILb1EiEEZNS1_24adjacent_difference_implIS3_Lb1ELb0EPiS7_N6thrust23THRUST_200600_302600_NS4plusIiEEEE10hipError_tPvRmT2_T3_mT4_P12ihipStream_tbEUlT_E_NS1_11comp_targetILNS1_3genE0ELNS1_11target_archE4294967295ELNS1_3gpuE0ELNS1_3repE0EEENS1_30default_config_static_selectorELNS0_4arch9wavefront6targetE0EEEvT1_
; %bb.0:
	.section	.rodata,"a",@progbits
	.p2align	6, 0x0
	.amdhsa_kernel _ZN7rocprim17ROCPRIM_400000_NS6detail17trampoline_kernelINS0_14default_configENS1_35adjacent_difference_config_selectorILb1EiEEZNS1_24adjacent_difference_implIS3_Lb1ELb0EPiS7_N6thrust23THRUST_200600_302600_NS4plusIiEEEE10hipError_tPvRmT2_T3_mT4_P12ihipStream_tbEUlT_E_NS1_11comp_targetILNS1_3genE0ELNS1_11target_archE4294967295ELNS1_3gpuE0ELNS1_3repE0EEENS1_30default_config_static_selectorELNS0_4arch9wavefront6targetE0EEEvT1_
		.amdhsa_group_segment_fixed_size 0
		.amdhsa_private_segment_fixed_size 0
		.amdhsa_kernarg_size 56
		.amdhsa_user_sgpr_count 15
		.amdhsa_user_sgpr_dispatch_ptr 0
		.amdhsa_user_sgpr_queue_ptr 0
		.amdhsa_user_sgpr_kernarg_segment_ptr 1
		.amdhsa_user_sgpr_dispatch_id 0
		.amdhsa_user_sgpr_private_segment_size 0
		.amdhsa_wavefront_size32 1
		.amdhsa_uses_dynamic_stack 0
		.amdhsa_enable_private_segment 0
		.amdhsa_system_sgpr_workgroup_id_x 1
		.amdhsa_system_sgpr_workgroup_id_y 0
		.amdhsa_system_sgpr_workgroup_id_z 0
		.amdhsa_system_sgpr_workgroup_info 0
		.amdhsa_system_vgpr_workitem_id 0
		.amdhsa_next_free_vgpr 1
		.amdhsa_next_free_sgpr 1
		.amdhsa_reserve_vcc 0
		.amdhsa_float_round_mode_32 0
		.amdhsa_float_round_mode_16_64 0
		.amdhsa_float_denorm_mode_32 3
		.amdhsa_float_denorm_mode_16_64 3
		.amdhsa_dx10_clamp 1
		.amdhsa_ieee_mode 1
		.amdhsa_fp16_overflow 0
		.amdhsa_workgroup_processor_mode 1
		.amdhsa_memory_ordered 1
		.amdhsa_forward_progress 0
		.amdhsa_shared_vgpr_count 0
		.amdhsa_exception_fp_ieee_invalid_op 0
		.amdhsa_exception_fp_denorm_src 0
		.amdhsa_exception_fp_ieee_div_zero 0
		.amdhsa_exception_fp_ieee_overflow 0
		.amdhsa_exception_fp_ieee_underflow 0
		.amdhsa_exception_fp_ieee_inexact 0
		.amdhsa_exception_int_div_zero 0
	.end_amdhsa_kernel
	.section	.text._ZN7rocprim17ROCPRIM_400000_NS6detail17trampoline_kernelINS0_14default_configENS1_35adjacent_difference_config_selectorILb1EiEEZNS1_24adjacent_difference_implIS3_Lb1ELb0EPiS7_N6thrust23THRUST_200600_302600_NS4plusIiEEEE10hipError_tPvRmT2_T3_mT4_P12ihipStream_tbEUlT_E_NS1_11comp_targetILNS1_3genE0ELNS1_11target_archE4294967295ELNS1_3gpuE0ELNS1_3repE0EEENS1_30default_config_static_selectorELNS0_4arch9wavefront6targetE0EEEvT1_,"axG",@progbits,_ZN7rocprim17ROCPRIM_400000_NS6detail17trampoline_kernelINS0_14default_configENS1_35adjacent_difference_config_selectorILb1EiEEZNS1_24adjacent_difference_implIS3_Lb1ELb0EPiS7_N6thrust23THRUST_200600_302600_NS4plusIiEEEE10hipError_tPvRmT2_T3_mT4_P12ihipStream_tbEUlT_E_NS1_11comp_targetILNS1_3genE0ELNS1_11target_archE4294967295ELNS1_3gpuE0ELNS1_3repE0EEENS1_30default_config_static_selectorELNS0_4arch9wavefront6targetE0EEEvT1_,comdat
.Lfunc_end349:
	.size	_ZN7rocprim17ROCPRIM_400000_NS6detail17trampoline_kernelINS0_14default_configENS1_35adjacent_difference_config_selectorILb1EiEEZNS1_24adjacent_difference_implIS3_Lb1ELb0EPiS7_N6thrust23THRUST_200600_302600_NS4plusIiEEEE10hipError_tPvRmT2_T3_mT4_P12ihipStream_tbEUlT_E_NS1_11comp_targetILNS1_3genE0ELNS1_11target_archE4294967295ELNS1_3gpuE0ELNS1_3repE0EEENS1_30default_config_static_selectorELNS0_4arch9wavefront6targetE0EEEvT1_, .Lfunc_end349-_ZN7rocprim17ROCPRIM_400000_NS6detail17trampoline_kernelINS0_14default_configENS1_35adjacent_difference_config_selectorILb1EiEEZNS1_24adjacent_difference_implIS3_Lb1ELb0EPiS7_N6thrust23THRUST_200600_302600_NS4plusIiEEEE10hipError_tPvRmT2_T3_mT4_P12ihipStream_tbEUlT_E_NS1_11comp_targetILNS1_3genE0ELNS1_11target_archE4294967295ELNS1_3gpuE0ELNS1_3repE0EEENS1_30default_config_static_selectorELNS0_4arch9wavefront6targetE0EEEvT1_
                                        ; -- End function
	.section	.AMDGPU.csdata,"",@progbits
; Kernel info:
; codeLenInByte = 0
; NumSgprs: 0
; NumVgprs: 0
; ScratchSize: 0
; MemoryBound: 0
; FloatMode: 240
; IeeeMode: 1
; LDSByteSize: 0 bytes/workgroup (compile time only)
; SGPRBlocks: 0
; VGPRBlocks: 0
; NumSGPRsForWavesPerEU: 1
; NumVGPRsForWavesPerEU: 1
; Occupancy: 16
; WaveLimiterHint : 0
; COMPUTE_PGM_RSRC2:SCRATCH_EN: 0
; COMPUTE_PGM_RSRC2:USER_SGPR: 15
; COMPUTE_PGM_RSRC2:TRAP_HANDLER: 0
; COMPUTE_PGM_RSRC2:TGID_X_EN: 1
; COMPUTE_PGM_RSRC2:TGID_Y_EN: 0
; COMPUTE_PGM_RSRC2:TGID_Z_EN: 0
; COMPUTE_PGM_RSRC2:TIDIG_COMP_CNT: 0
	.section	.text._ZN7rocprim17ROCPRIM_400000_NS6detail17trampoline_kernelINS0_14default_configENS1_35adjacent_difference_config_selectorILb1EiEEZNS1_24adjacent_difference_implIS3_Lb1ELb0EPiS7_N6thrust23THRUST_200600_302600_NS4plusIiEEEE10hipError_tPvRmT2_T3_mT4_P12ihipStream_tbEUlT_E_NS1_11comp_targetILNS1_3genE10ELNS1_11target_archE1201ELNS1_3gpuE5ELNS1_3repE0EEENS1_30default_config_static_selectorELNS0_4arch9wavefront6targetE0EEEvT1_,"axG",@progbits,_ZN7rocprim17ROCPRIM_400000_NS6detail17trampoline_kernelINS0_14default_configENS1_35adjacent_difference_config_selectorILb1EiEEZNS1_24adjacent_difference_implIS3_Lb1ELb0EPiS7_N6thrust23THRUST_200600_302600_NS4plusIiEEEE10hipError_tPvRmT2_T3_mT4_P12ihipStream_tbEUlT_E_NS1_11comp_targetILNS1_3genE10ELNS1_11target_archE1201ELNS1_3gpuE5ELNS1_3repE0EEENS1_30default_config_static_selectorELNS0_4arch9wavefront6targetE0EEEvT1_,comdat
	.protected	_ZN7rocprim17ROCPRIM_400000_NS6detail17trampoline_kernelINS0_14default_configENS1_35adjacent_difference_config_selectorILb1EiEEZNS1_24adjacent_difference_implIS3_Lb1ELb0EPiS7_N6thrust23THRUST_200600_302600_NS4plusIiEEEE10hipError_tPvRmT2_T3_mT4_P12ihipStream_tbEUlT_E_NS1_11comp_targetILNS1_3genE10ELNS1_11target_archE1201ELNS1_3gpuE5ELNS1_3repE0EEENS1_30default_config_static_selectorELNS0_4arch9wavefront6targetE0EEEvT1_ ; -- Begin function _ZN7rocprim17ROCPRIM_400000_NS6detail17trampoline_kernelINS0_14default_configENS1_35adjacent_difference_config_selectorILb1EiEEZNS1_24adjacent_difference_implIS3_Lb1ELb0EPiS7_N6thrust23THRUST_200600_302600_NS4plusIiEEEE10hipError_tPvRmT2_T3_mT4_P12ihipStream_tbEUlT_E_NS1_11comp_targetILNS1_3genE10ELNS1_11target_archE1201ELNS1_3gpuE5ELNS1_3repE0EEENS1_30default_config_static_selectorELNS0_4arch9wavefront6targetE0EEEvT1_
	.globl	_ZN7rocprim17ROCPRIM_400000_NS6detail17trampoline_kernelINS0_14default_configENS1_35adjacent_difference_config_selectorILb1EiEEZNS1_24adjacent_difference_implIS3_Lb1ELb0EPiS7_N6thrust23THRUST_200600_302600_NS4plusIiEEEE10hipError_tPvRmT2_T3_mT4_P12ihipStream_tbEUlT_E_NS1_11comp_targetILNS1_3genE10ELNS1_11target_archE1201ELNS1_3gpuE5ELNS1_3repE0EEENS1_30default_config_static_selectorELNS0_4arch9wavefront6targetE0EEEvT1_
	.p2align	8
	.type	_ZN7rocprim17ROCPRIM_400000_NS6detail17trampoline_kernelINS0_14default_configENS1_35adjacent_difference_config_selectorILb1EiEEZNS1_24adjacent_difference_implIS3_Lb1ELb0EPiS7_N6thrust23THRUST_200600_302600_NS4plusIiEEEE10hipError_tPvRmT2_T3_mT4_P12ihipStream_tbEUlT_E_NS1_11comp_targetILNS1_3genE10ELNS1_11target_archE1201ELNS1_3gpuE5ELNS1_3repE0EEENS1_30default_config_static_selectorELNS0_4arch9wavefront6targetE0EEEvT1_,@function
_ZN7rocprim17ROCPRIM_400000_NS6detail17trampoline_kernelINS0_14default_configENS1_35adjacent_difference_config_selectorILb1EiEEZNS1_24adjacent_difference_implIS3_Lb1ELb0EPiS7_N6thrust23THRUST_200600_302600_NS4plusIiEEEE10hipError_tPvRmT2_T3_mT4_P12ihipStream_tbEUlT_E_NS1_11comp_targetILNS1_3genE10ELNS1_11target_archE1201ELNS1_3gpuE5ELNS1_3repE0EEENS1_30default_config_static_selectorELNS0_4arch9wavefront6targetE0EEEvT1_: ; @_ZN7rocprim17ROCPRIM_400000_NS6detail17trampoline_kernelINS0_14default_configENS1_35adjacent_difference_config_selectorILb1EiEEZNS1_24adjacent_difference_implIS3_Lb1ELb0EPiS7_N6thrust23THRUST_200600_302600_NS4plusIiEEEE10hipError_tPvRmT2_T3_mT4_P12ihipStream_tbEUlT_E_NS1_11comp_targetILNS1_3genE10ELNS1_11target_archE1201ELNS1_3gpuE5ELNS1_3repE0EEENS1_30default_config_static_selectorELNS0_4arch9wavefront6targetE0EEEvT1_
; %bb.0:
	.section	.rodata,"a",@progbits
	.p2align	6, 0x0
	.amdhsa_kernel _ZN7rocprim17ROCPRIM_400000_NS6detail17trampoline_kernelINS0_14default_configENS1_35adjacent_difference_config_selectorILb1EiEEZNS1_24adjacent_difference_implIS3_Lb1ELb0EPiS7_N6thrust23THRUST_200600_302600_NS4plusIiEEEE10hipError_tPvRmT2_T3_mT4_P12ihipStream_tbEUlT_E_NS1_11comp_targetILNS1_3genE10ELNS1_11target_archE1201ELNS1_3gpuE5ELNS1_3repE0EEENS1_30default_config_static_selectorELNS0_4arch9wavefront6targetE0EEEvT1_
		.amdhsa_group_segment_fixed_size 0
		.amdhsa_private_segment_fixed_size 0
		.amdhsa_kernarg_size 56
		.amdhsa_user_sgpr_count 15
		.amdhsa_user_sgpr_dispatch_ptr 0
		.amdhsa_user_sgpr_queue_ptr 0
		.amdhsa_user_sgpr_kernarg_segment_ptr 1
		.amdhsa_user_sgpr_dispatch_id 0
		.amdhsa_user_sgpr_private_segment_size 0
		.amdhsa_wavefront_size32 1
		.amdhsa_uses_dynamic_stack 0
		.amdhsa_enable_private_segment 0
		.amdhsa_system_sgpr_workgroup_id_x 1
		.amdhsa_system_sgpr_workgroup_id_y 0
		.amdhsa_system_sgpr_workgroup_id_z 0
		.amdhsa_system_sgpr_workgroup_info 0
		.amdhsa_system_vgpr_workitem_id 0
		.amdhsa_next_free_vgpr 1
		.amdhsa_next_free_sgpr 1
		.amdhsa_reserve_vcc 0
		.amdhsa_float_round_mode_32 0
		.amdhsa_float_round_mode_16_64 0
		.amdhsa_float_denorm_mode_32 3
		.amdhsa_float_denorm_mode_16_64 3
		.amdhsa_dx10_clamp 1
		.amdhsa_ieee_mode 1
		.amdhsa_fp16_overflow 0
		.amdhsa_workgroup_processor_mode 1
		.amdhsa_memory_ordered 1
		.amdhsa_forward_progress 0
		.amdhsa_shared_vgpr_count 0
		.amdhsa_exception_fp_ieee_invalid_op 0
		.amdhsa_exception_fp_denorm_src 0
		.amdhsa_exception_fp_ieee_div_zero 0
		.amdhsa_exception_fp_ieee_overflow 0
		.amdhsa_exception_fp_ieee_underflow 0
		.amdhsa_exception_fp_ieee_inexact 0
		.amdhsa_exception_int_div_zero 0
	.end_amdhsa_kernel
	.section	.text._ZN7rocprim17ROCPRIM_400000_NS6detail17trampoline_kernelINS0_14default_configENS1_35adjacent_difference_config_selectorILb1EiEEZNS1_24adjacent_difference_implIS3_Lb1ELb0EPiS7_N6thrust23THRUST_200600_302600_NS4plusIiEEEE10hipError_tPvRmT2_T3_mT4_P12ihipStream_tbEUlT_E_NS1_11comp_targetILNS1_3genE10ELNS1_11target_archE1201ELNS1_3gpuE5ELNS1_3repE0EEENS1_30default_config_static_selectorELNS0_4arch9wavefront6targetE0EEEvT1_,"axG",@progbits,_ZN7rocprim17ROCPRIM_400000_NS6detail17trampoline_kernelINS0_14default_configENS1_35adjacent_difference_config_selectorILb1EiEEZNS1_24adjacent_difference_implIS3_Lb1ELb0EPiS7_N6thrust23THRUST_200600_302600_NS4plusIiEEEE10hipError_tPvRmT2_T3_mT4_P12ihipStream_tbEUlT_E_NS1_11comp_targetILNS1_3genE10ELNS1_11target_archE1201ELNS1_3gpuE5ELNS1_3repE0EEENS1_30default_config_static_selectorELNS0_4arch9wavefront6targetE0EEEvT1_,comdat
.Lfunc_end350:
	.size	_ZN7rocprim17ROCPRIM_400000_NS6detail17trampoline_kernelINS0_14default_configENS1_35adjacent_difference_config_selectorILb1EiEEZNS1_24adjacent_difference_implIS3_Lb1ELb0EPiS7_N6thrust23THRUST_200600_302600_NS4plusIiEEEE10hipError_tPvRmT2_T3_mT4_P12ihipStream_tbEUlT_E_NS1_11comp_targetILNS1_3genE10ELNS1_11target_archE1201ELNS1_3gpuE5ELNS1_3repE0EEENS1_30default_config_static_selectorELNS0_4arch9wavefront6targetE0EEEvT1_, .Lfunc_end350-_ZN7rocprim17ROCPRIM_400000_NS6detail17trampoline_kernelINS0_14default_configENS1_35adjacent_difference_config_selectorILb1EiEEZNS1_24adjacent_difference_implIS3_Lb1ELb0EPiS7_N6thrust23THRUST_200600_302600_NS4plusIiEEEE10hipError_tPvRmT2_T3_mT4_P12ihipStream_tbEUlT_E_NS1_11comp_targetILNS1_3genE10ELNS1_11target_archE1201ELNS1_3gpuE5ELNS1_3repE0EEENS1_30default_config_static_selectorELNS0_4arch9wavefront6targetE0EEEvT1_
                                        ; -- End function
	.section	.AMDGPU.csdata,"",@progbits
; Kernel info:
; codeLenInByte = 0
; NumSgprs: 0
; NumVgprs: 0
; ScratchSize: 0
; MemoryBound: 0
; FloatMode: 240
; IeeeMode: 1
; LDSByteSize: 0 bytes/workgroup (compile time only)
; SGPRBlocks: 0
; VGPRBlocks: 0
; NumSGPRsForWavesPerEU: 1
; NumVGPRsForWavesPerEU: 1
; Occupancy: 16
; WaveLimiterHint : 0
; COMPUTE_PGM_RSRC2:SCRATCH_EN: 0
; COMPUTE_PGM_RSRC2:USER_SGPR: 15
; COMPUTE_PGM_RSRC2:TRAP_HANDLER: 0
; COMPUTE_PGM_RSRC2:TGID_X_EN: 1
; COMPUTE_PGM_RSRC2:TGID_Y_EN: 0
; COMPUTE_PGM_RSRC2:TGID_Z_EN: 0
; COMPUTE_PGM_RSRC2:TIDIG_COMP_CNT: 0
	.section	.text._ZN7rocprim17ROCPRIM_400000_NS6detail17trampoline_kernelINS0_14default_configENS1_35adjacent_difference_config_selectorILb1EiEEZNS1_24adjacent_difference_implIS3_Lb1ELb0EPiS7_N6thrust23THRUST_200600_302600_NS4plusIiEEEE10hipError_tPvRmT2_T3_mT4_P12ihipStream_tbEUlT_E_NS1_11comp_targetILNS1_3genE5ELNS1_11target_archE942ELNS1_3gpuE9ELNS1_3repE0EEENS1_30default_config_static_selectorELNS0_4arch9wavefront6targetE0EEEvT1_,"axG",@progbits,_ZN7rocprim17ROCPRIM_400000_NS6detail17trampoline_kernelINS0_14default_configENS1_35adjacent_difference_config_selectorILb1EiEEZNS1_24adjacent_difference_implIS3_Lb1ELb0EPiS7_N6thrust23THRUST_200600_302600_NS4plusIiEEEE10hipError_tPvRmT2_T3_mT4_P12ihipStream_tbEUlT_E_NS1_11comp_targetILNS1_3genE5ELNS1_11target_archE942ELNS1_3gpuE9ELNS1_3repE0EEENS1_30default_config_static_selectorELNS0_4arch9wavefront6targetE0EEEvT1_,comdat
	.protected	_ZN7rocprim17ROCPRIM_400000_NS6detail17trampoline_kernelINS0_14default_configENS1_35adjacent_difference_config_selectorILb1EiEEZNS1_24adjacent_difference_implIS3_Lb1ELb0EPiS7_N6thrust23THRUST_200600_302600_NS4plusIiEEEE10hipError_tPvRmT2_T3_mT4_P12ihipStream_tbEUlT_E_NS1_11comp_targetILNS1_3genE5ELNS1_11target_archE942ELNS1_3gpuE9ELNS1_3repE0EEENS1_30default_config_static_selectorELNS0_4arch9wavefront6targetE0EEEvT1_ ; -- Begin function _ZN7rocprim17ROCPRIM_400000_NS6detail17trampoline_kernelINS0_14default_configENS1_35adjacent_difference_config_selectorILb1EiEEZNS1_24adjacent_difference_implIS3_Lb1ELb0EPiS7_N6thrust23THRUST_200600_302600_NS4plusIiEEEE10hipError_tPvRmT2_T3_mT4_P12ihipStream_tbEUlT_E_NS1_11comp_targetILNS1_3genE5ELNS1_11target_archE942ELNS1_3gpuE9ELNS1_3repE0EEENS1_30default_config_static_selectorELNS0_4arch9wavefront6targetE0EEEvT1_
	.globl	_ZN7rocprim17ROCPRIM_400000_NS6detail17trampoline_kernelINS0_14default_configENS1_35adjacent_difference_config_selectorILb1EiEEZNS1_24adjacent_difference_implIS3_Lb1ELb0EPiS7_N6thrust23THRUST_200600_302600_NS4plusIiEEEE10hipError_tPvRmT2_T3_mT4_P12ihipStream_tbEUlT_E_NS1_11comp_targetILNS1_3genE5ELNS1_11target_archE942ELNS1_3gpuE9ELNS1_3repE0EEENS1_30default_config_static_selectorELNS0_4arch9wavefront6targetE0EEEvT1_
	.p2align	8
	.type	_ZN7rocprim17ROCPRIM_400000_NS6detail17trampoline_kernelINS0_14default_configENS1_35adjacent_difference_config_selectorILb1EiEEZNS1_24adjacent_difference_implIS3_Lb1ELb0EPiS7_N6thrust23THRUST_200600_302600_NS4plusIiEEEE10hipError_tPvRmT2_T3_mT4_P12ihipStream_tbEUlT_E_NS1_11comp_targetILNS1_3genE5ELNS1_11target_archE942ELNS1_3gpuE9ELNS1_3repE0EEENS1_30default_config_static_selectorELNS0_4arch9wavefront6targetE0EEEvT1_,@function
_ZN7rocprim17ROCPRIM_400000_NS6detail17trampoline_kernelINS0_14default_configENS1_35adjacent_difference_config_selectorILb1EiEEZNS1_24adjacent_difference_implIS3_Lb1ELb0EPiS7_N6thrust23THRUST_200600_302600_NS4plusIiEEEE10hipError_tPvRmT2_T3_mT4_P12ihipStream_tbEUlT_E_NS1_11comp_targetILNS1_3genE5ELNS1_11target_archE942ELNS1_3gpuE9ELNS1_3repE0EEENS1_30default_config_static_selectorELNS0_4arch9wavefront6targetE0EEEvT1_: ; @_ZN7rocprim17ROCPRIM_400000_NS6detail17trampoline_kernelINS0_14default_configENS1_35adjacent_difference_config_selectorILb1EiEEZNS1_24adjacent_difference_implIS3_Lb1ELb0EPiS7_N6thrust23THRUST_200600_302600_NS4plusIiEEEE10hipError_tPvRmT2_T3_mT4_P12ihipStream_tbEUlT_E_NS1_11comp_targetILNS1_3genE5ELNS1_11target_archE942ELNS1_3gpuE9ELNS1_3repE0EEENS1_30default_config_static_selectorELNS0_4arch9wavefront6targetE0EEEvT1_
; %bb.0:
	.section	.rodata,"a",@progbits
	.p2align	6, 0x0
	.amdhsa_kernel _ZN7rocprim17ROCPRIM_400000_NS6detail17trampoline_kernelINS0_14default_configENS1_35adjacent_difference_config_selectorILb1EiEEZNS1_24adjacent_difference_implIS3_Lb1ELb0EPiS7_N6thrust23THRUST_200600_302600_NS4plusIiEEEE10hipError_tPvRmT2_T3_mT4_P12ihipStream_tbEUlT_E_NS1_11comp_targetILNS1_3genE5ELNS1_11target_archE942ELNS1_3gpuE9ELNS1_3repE0EEENS1_30default_config_static_selectorELNS0_4arch9wavefront6targetE0EEEvT1_
		.amdhsa_group_segment_fixed_size 0
		.amdhsa_private_segment_fixed_size 0
		.amdhsa_kernarg_size 56
		.amdhsa_user_sgpr_count 15
		.amdhsa_user_sgpr_dispatch_ptr 0
		.amdhsa_user_sgpr_queue_ptr 0
		.amdhsa_user_sgpr_kernarg_segment_ptr 1
		.amdhsa_user_sgpr_dispatch_id 0
		.amdhsa_user_sgpr_private_segment_size 0
		.amdhsa_wavefront_size32 1
		.amdhsa_uses_dynamic_stack 0
		.amdhsa_enable_private_segment 0
		.amdhsa_system_sgpr_workgroup_id_x 1
		.amdhsa_system_sgpr_workgroup_id_y 0
		.amdhsa_system_sgpr_workgroup_id_z 0
		.amdhsa_system_sgpr_workgroup_info 0
		.amdhsa_system_vgpr_workitem_id 0
		.amdhsa_next_free_vgpr 1
		.amdhsa_next_free_sgpr 1
		.amdhsa_reserve_vcc 0
		.amdhsa_float_round_mode_32 0
		.amdhsa_float_round_mode_16_64 0
		.amdhsa_float_denorm_mode_32 3
		.amdhsa_float_denorm_mode_16_64 3
		.amdhsa_dx10_clamp 1
		.amdhsa_ieee_mode 1
		.amdhsa_fp16_overflow 0
		.amdhsa_workgroup_processor_mode 1
		.amdhsa_memory_ordered 1
		.amdhsa_forward_progress 0
		.amdhsa_shared_vgpr_count 0
		.amdhsa_exception_fp_ieee_invalid_op 0
		.amdhsa_exception_fp_denorm_src 0
		.amdhsa_exception_fp_ieee_div_zero 0
		.amdhsa_exception_fp_ieee_overflow 0
		.amdhsa_exception_fp_ieee_underflow 0
		.amdhsa_exception_fp_ieee_inexact 0
		.amdhsa_exception_int_div_zero 0
	.end_amdhsa_kernel
	.section	.text._ZN7rocprim17ROCPRIM_400000_NS6detail17trampoline_kernelINS0_14default_configENS1_35adjacent_difference_config_selectorILb1EiEEZNS1_24adjacent_difference_implIS3_Lb1ELb0EPiS7_N6thrust23THRUST_200600_302600_NS4plusIiEEEE10hipError_tPvRmT2_T3_mT4_P12ihipStream_tbEUlT_E_NS1_11comp_targetILNS1_3genE5ELNS1_11target_archE942ELNS1_3gpuE9ELNS1_3repE0EEENS1_30default_config_static_selectorELNS0_4arch9wavefront6targetE0EEEvT1_,"axG",@progbits,_ZN7rocprim17ROCPRIM_400000_NS6detail17trampoline_kernelINS0_14default_configENS1_35adjacent_difference_config_selectorILb1EiEEZNS1_24adjacent_difference_implIS3_Lb1ELb0EPiS7_N6thrust23THRUST_200600_302600_NS4plusIiEEEE10hipError_tPvRmT2_T3_mT4_P12ihipStream_tbEUlT_E_NS1_11comp_targetILNS1_3genE5ELNS1_11target_archE942ELNS1_3gpuE9ELNS1_3repE0EEENS1_30default_config_static_selectorELNS0_4arch9wavefront6targetE0EEEvT1_,comdat
.Lfunc_end351:
	.size	_ZN7rocprim17ROCPRIM_400000_NS6detail17trampoline_kernelINS0_14default_configENS1_35adjacent_difference_config_selectorILb1EiEEZNS1_24adjacent_difference_implIS3_Lb1ELb0EPiS7_N6thrust23THRUST_200600_302600_NS4plusIiEEEE10hipError_tPvRmT2_T3_mT4_P12ihipStream_tbEUlT_E_NS1_11comp_targetILNS1_3genE5ELNS1_11target_archE942ELNS1_3gpuE9ELNS1_3repE0EEENS1_30default_config_static_selectorELNS0_4arch9wavefront6targetE0EEEvT1_, .Lfunc_end351-_ZN7rocprim17ROCPRIM_400000_NS6detail17trampoline_kernelINS0_14default_configENS1_35adjacent_difference_config_selectorILb1EiEEZNS1_24adjacent_difference_implIS3_Lb1ELb0EPiS7_N6thrust23THRUST_200600_302600_NS4plusIiEEEE10hipError_tPvRmT2_T3_mT4_P12ihipStream_tbEUlT_E_NS1_11comp_targetILNS1_3genE5ELNS1_11target_archE942ELNS1_3gpuE9ELNS1_3repE0EEENS1_30default_config_static_selectorELNS0_4arch9wavefront6targetE0EEEvT1_
                                        ; -- End function
	.section	.AMDGPU.csdata,"",@progbits
; Kernel info:
; codeLenInByte = 0
; NumSgprs: 0
; NumVgprs: 0
; ScratchSize: 0
; MemoryBound: 0
; FloatMode: 240
; IeeeMode: 1
; LDSByteSize: 0 bytes/workgroup (compile time only)
; SGPRBlocks: 0
; VGPRBlocks: 0
; NumSGPRsForWavesPerEU: 1
; NumVGPRsForWavesPerEU: 1
; Occupancy: 16
; WaveLimiterHint : 0
; COMPUTE_PGM_RSRC2:SCRATCH_EN: 0
; COMPUTE_PGM_RSRC2:USER_SGPR: 15
; COMPUTE_PGM_RSRC2:TRAP_HANDLER: 0
; COMPUTE_PGM_RSRC2:TGID_X_EN: 1
; COMPUTE_PGM_RSRC2:TGID_Y_EN: 0
; COMPUTE_PGM_RSRC2:TGID_Z_EN: 0
; COMPUTE_PGM_RSRC2:TIDIG_COMP_CNT: 0
	.section	.text._ZN7rocprim17ROCPRIM_400000_NS6detail17trampoline_kernelINS0_14default_configENS1_35adjacent_difference_config_selectorILb1EiEEZNS1_24adjacent_difference_implIS3_Lb1ELb0EPiS7_N6thrust23THRUST_200600_302600_NS4plusIiEEEE10hipError_tPvRmT2_T3_mT4_P12ihipStream_tbEUlT_E_NS1_11comp_targetILNS1_3genE4ELNS1_11target_archE910ELNS1_3gpuE8ELNS1_3repE0EEENS1_30default_config_static_selectorELNS0_4arch9wavefront6targetE0EEEvT1_,"axG",@progbits,_ZN7rocprim17ROCPRIM_400000_NS6detail17trampoline_kernelINS0_14default_configENS1_35adjacent_difference_config_selectorILb1EiEEZNS1_24adjacent_difference_implIS3_Lb1ELb0EPiS7_N6thrust23THRUST_200600_302600_NS4plusIiEEEE10hipError_tPvRmT2_T3_mT4_P12ihipStream_tbEUlT_E_NS1_11comp_targetILNS1_3genE4ELNS1_11target_archE910ELNS1_3gpuE8ELNS1_3repE0EEENS1_30default_config_static_selectorELNS0_4arch9wavefront6targetE0EEEvT1_,comdat
	.protected	_ZN7rocprim17ROCPRIM_400000_NS6detail17trampoline_kernelINS0_14default_configENS1_35adjacent_difference_config_selectorILb1EiEEZNS1_24adjacent_difference_implIS3_Lb1ELb0EPiS7_N6thrust23THRUST_200600_302600_NS4plusIiEEEE10hipError_tPvRmT2_T3_mT4_P12ihipStream_tbEUlT_E_NS1_11comp_targetILNS1_3genE4ELNS1_11target_archE910ELNS1_3gpuE8ELNS1_3repE0EEENS1_30default_config_static_selectorELNS0_4arch9wavefront6targetE0EEEvT1_ ; -- Begin function _ZN7rocprim17ROCPRIM_400000_NS6detail17trampoline_kernelINS0_14default_configENS1_35adjacent_difference_config_selectorILb1EiEEZNS1_24adjacent_difference_implIS3_Lb1ELb0EPiS7_N6thrust23THRUST_200600_302600_NS4plusIiEEEE10hipError_tPvRmT2_T3_mT4_P12ihipStream_tbEUlT_E_NS1_11comp_targetILNS1_3genE4ELNS1_11target_archE910ELNS1_3gpuE8ELNS1_3repE0EEENS1_30default_config_static_selectorELNS0_4arch9wavefront6targetE0EEEvT1_
	.globl	_ZN7rocprim17ROCPRIM_400000_NS6detail17trampoline_kernelINS0_14default_configENS1_35adjacent_difference_config_selectorILb1EiEEZNS1_24adjacent_difference_implIS3_Lb1ELb0EPiS7_N6thrust23THRUST_200600_302600_NS4plusIiEEEE10hipError_tPvRmT2_T3_mT4_P12ihipStream_tbEUlT_E_NS1_11comp_targetILNS1_3genE4ELNS1_11target_archE910ELNS1_3gpuE8ELNS1_3repE0EEENS1_30default_config_static_selectorELNS0_4arch9wavefront6targetE0EEEvT1_
	.p2align	8
	.type	_ZN7rocprim17ROCPRIM_400000_NS6detail17trampoline_kernelINS0_14default_configENS1_35adjacent_difference_config_selectorILb1EiEEZNS1_24adjacent_difference_implIS3_Lb1ELb0EPiS7_N6thrust23THRUST_200600_302600_NS4plusIiEEEE10hipError_tPvRmT2_T3_mT4_P12ihipStream_tbEUlT_E_NS1_11comp_targetILNS1_3genE4ELNS1_11target_archE910ELNS1_3gpuE8ELNS1_3repE0EEENS1_30default_config_static_selectorELNS0_4arch9wavefront6targetE0EEEvT1_,@function
_ZN7rocprim17ROCPRIM_400000_NS6detail17trampoline_kernelINS0_14default_configENS1_35adjacent_difference_config_selectorILb1EiEEZNS1_24adjacent_difference_implIS3_Lb1ELb0EPiS7_N6thrust23THRUST_200600_302600_NS4plusIiEEEE10hipError_tPvRmT2_T3_mT4_P12ihipStream_tbEUlT_E_NS1_11comp_targetILNS1_3genE4ELNS1_11target_archE910ELNS1_3gpuE8ELNS1_3repE0EEENS1_30default_config_static_selectorELNS0_4arch9wavefront6targetE0EEEvT1_: ; @_ZN7rocprim17ROCPRIM_400000_NS6detail17trampoline_kernelINS0_14default_configENS1_35adjacent_difference_config_selectorILb1EiEEZNS1_24adjacent_difference_implIS3_Lb1ELb0EPiS7_N6thrust23THRUST_200600_302600_NS4plusIiEEEE10hipError_tPvRmT2_T3_mT4_P12ihipStream_tbEUlT_E_NS1_11comp_targetILNS1_3genE4ELNS1_11target_archE910ELNS1_3gpuE8ELNS1_3repE0EEENS1_30default_config_static_selectorELNS0_4arch9wavefront6targetE0EEEvT1_
; %bb.0:
	.section	.rodata,"a",@progbits
	.p2align	6, 0x0
	.amdhsa_kernel _ZN7rocprim17ROCPRIM_400000_NS6detail17trampoline_kernelINS0_14default_configENS1_35adjacent_difference_config_selectorILb1EiEEZNS1_24adjacent_difference_implIS3_Lb1ELb0EPiS7_N6thrust23THRUST_200600_302600_NS4plusIiEEEE10hipError_tPvRmT2_T3_mT4_P12ihipStream_tbEUlT_E_NS1_11comp_targetILNS1_3genE4ELNS1_11target_archE910ELNS1_3gpuE8ELNS1_3repE0EEENS1_30default_config_static_selectorELNS0_4arch9wavefront6targetE0EEEvT1_
		.amdhsa_group_segment_fixed_size 0
		.amdhsa_private_segment_fixed_size 0
		.amdhsa_kernarg_size 56
		.amdhsa_user_sgpr_count 15
		.amdhsa_user_sgpr_dispatch_ptr 0
		.amdhsa_user_sgpr_queue_ptr 0
		.amdhsa_user_sgpr_kernarg_segment_ptr 1
		.amdhsa_user_sgpr_dispatch_id 0
		.amdhsa_user_sgpr_private_segment_size 0
		.amdhsa_wavefront_size32 1
		.amdhsa_uses_dynamic_stack 0
		.amdhsa_enable_private_segment 0
		.amdhsa_system_sgpr_workgroup_id_x 1
		.amdhsa_system_sgpr_workgroup_id_y 0
		.amdhsa_system_sgpr_workgroup_id_z 0
		.amdhsa_system_sgpr_workgroup_info 0
		.amdhsa_system_vgpr_workitem_id 0
		.amdhsa_next_free_vgpr 1
		.amdhsa_next_free_sgpr 1
		.amdhsa_reserve_vcc 0
		.amdhsa_float_round_mode_32 0
		.amdhsa_float_round_mode_16_64 0
		.amdhsa_float_denorm_mode_32 3
		.amdhsa_float_denorm_mode_16_64 3
		.amdhsa_dx10_clamp 1
		.amdhsa_ieee_mode 1
		.amdhsa_fp16_overflow 0
		.amdhsa_workgroup_processor_mode 1
		.amdhsa_memory_ordered 1
		.amdhsa_forward_progress 0
		.amdhsa_shared_vgpr_count 0
		.amdhsa_exception_fp_ieee_invalid_op 0
		.amdhsa_exception_fp_denorm_src 0
		.amdhsa_exception_fp_ieee_div_zero 0
		.amdhsa_exception_fp_ieee_overflow 0
		.amdhsa_exception_fp_ieee_underflow 0
		.amdhsa_exception_fp_ieee_inexact 0
		.amdhsa_exception_int_div_zero 0
	.end_amdhsa_kernel
	.section	.text._ZN7rocprim17ROCPRIM_400000_NS6detail17trampoline_kernelINS0_14default_configENS1_35adjacent_difference_config_selectorILb1EiEEZNS1_24adjacent_difference_implIS3_Lb1ELb0EPiS7_N6thrust23THRUST_200600_302600_NS4plusIiEEEE10hipError_tPvRmT2_T3_mT4_P12ihipStream_tbEUlT_E_NS1_11comp_targetILNS1_3genE4ELNS1_11target_archE910ELNS1_3gpuE8ELNS1_3repE0EEENS1_30default_config_static_selectorELNS0_4arch9wavefront6targetE0EEEvT1_,"axG",@progbits,_ZN7rocprim17ROCPRIM_400000_NS6detail17trampoline_kernelINS0_14default_configENS1_35adjacent_difference_config_selectorILb1EiEEZNS1_24adjacent_difference_implIS3_Lb1ELb0EPiS7_N6thrust23THRUST_200600_302600_NS4plusIiEEEE10hipError_tPvRmT2_T3_mT4_P12ihipStream_tbEUlT_E_NS1_11comp_targetILNS1_3genE4ELNS1_11target_archE910ELNS1_3gpuE8ELNS1_3repE0EEENS1_30default_config_static_selectorELNS0_4arch9wavefront6targetE0EEEvT1_,comdat
.Lfunc_end352:
	.size	_ZN7rocprim17ROCPRIM_400000_NS6detail17trampoline_kernelINS0_14default_configENS1_35adjacent_difference_config_selectorILb1EiEEZNS1_24adjacent_difference_implIS3_Lb1ELb0EPiS7_N6thrust23THRUST_200600_302600_NS4plusIiEEEE10hipError_tPvRmT2_T3_mT4_P12ihipStream_tbEUlT_E_NS1_11comp_targetILNS1_3genE4ELNS1_11target_archE910ELNS1_3gpuE8ELNS1_3repE0EEENS1_30default_config_static_selectorELNS0_4arch9wavefront6targetE0EEEvT1_, .Lfunc_end352-_ZN7rocprim17ROCPRIM_400000_NS6detail17trampoline_kernelINS0_14default_configENS1_35adjacent_difference_config_selectorILb1EiEEZNS1_24adjacent_difference_implIS3_Lb1ELb0EPiS7_N6thrust23THRUST_200600_302600_NS4plusIiEEEE10hipError_tPvRmT2_T3_mT4_P12ihipStream_tbEUlT_E_NS1_11comp_targetILNS1_3genE4ELNS1_11target_archE910ELNS1_3gpuE8ELNS1_3repE0EEENS1_30default_config_static_selectorELNS0_4arch9wavefront6targetE0EEEvT1_
                                        ; -- End function
	.section	.AMDGPU.csdata,"",@progbits
; Kernel info:
; codeLenInByte = 0
; NumSgprs: 0
; NumVgprs: 0
; ScratchSize: 0
; MemoryBound: 0
; FloatMode: 240
; IeeeMode: 1
; LDSByteSize: 0 bytes/workgroup (compile time only)
; SGPRBlocks: 0
; VGPRBlocks: 0
; NumSGPRsForWavesPerEU: 1
; NumVGPRsForWavesPerEU: 1
; Occupancy: 16
; WaveLimiterHint : 0
; COMPUTE_PGM_RSRC2:SCRATCH_EN: 0
; COMPUTE_PGM_RSRC2:USER_SGPR: 15
; COMPUTE_PGM_RSRC2:TRAP_HANDLER: 0
; COMPUTE_PGM_RSRC2:TGID_X_EN: 1
; COMPUTE_PGM_RSRC2:TGID_Y_EN: 0
; COMPUTE_PGM_RSRC2:TGID_Z_EN: 0
; COMPUTE_PGM_RSRC2:TIDIG_COMP_CNT: 0
	.section	.text._ZN7rocprim17ROCPRIM_400000_NS6detail17trampoline_kernelINS0_14default_configENS1_35adjacent_difference_config_selectorILb1EiEEZNS1_24adjacent_difference_implIS3_Lb1ELb0EPiS7_N6thrust23THRUST_200600_302600_NS4plusIiEEEE10hipError_tPvRmT2_T3_mT4_P12ihipStream_tbEUlT_E_NS1_11comp_targetILNS1_3genE3ELNS1_11target_archE908ELNS1_3gpuE7ELNS1_3repE0EEENS1_30default_config_static_selectorELNS0_4arch9wavefront6targetE0EEEvT1_,"axG",@progbits,_ZN7rocprim17ROCPRIM_400000_NS6detail17trampoline_kernelINS0_14default_configENS1_35adjacent_difference_config_selectorILb1EiEEZNS1_24adjacent_difference_implIS3_Lb1ELb0EPiS7_N6thrust23THRUST_200600_302600_NS4plusIiEEEE10hipError_tPvRmT2_T3_mT4_P12ihipStream_tbEUlT_E_NS1_11comp_targetILNS1_3genE3ELNS1_11target_archE908ELNS1_3gpuE7ELNS1_3repE0EEENS1_30default_config_static_selectorELNS0_4arch9wavefront6targetE0EEEvT1_,comdat
	.protected	_ZN7rocprim17ROCPRIM_400000_NS6detail17trampoline_kernelINS0_14default_configENS1_35adjacent_difference_config_selectorILb1EiEEZNS1_24adjacent_difference_implIS3_Lb1ELb0EPiS7_N6thrust23THRUST_200600_302600_NS4plusIiEEEE10hipError_tPvRmT2_T3_mT4_P12ihipStream_tbEUlT_E_NS1_11comp_targetILNS1_3genE3ELNS1_11target_archE908ELNS1_3gpuE7ELNS1_3repE0EEENS1_30default_config_static_selectorELNS0_4arch9wavefront6targetE0EEEvT1_ ; -- Begin function _ZN7rocprim17ROCPRIM_400000_NS6detail17trampoline_kernelINS0_14default_configENS1_35adjacent_difference_config_selectorILb1EiEEZNS1_24adjacent_difference_implIS3_Lb1ELb0EPiS7_N6thrust23THRUST_200600_302600_NS4plusIiEEEE10hipError_tPvRmT2_T3_mT4_P12ihipStream_tbEUlT_E_NS1_11comp_targetILNS1_3genE3ELNS1_11target_archE908ELNS1_3gpuE7ELNS1_3repE0EEENS1_30default_config_static_selectorELNS0_4arch9wavefront6targetE0EEEvT1_
	.globl	_ZN7rocprim17ROCPRIM_400000_NS6detail17trampoline_kernelINS0_14default_configENS1_35adjacent_difference_config_selectorILb1EiEEZNS1_24adjacent_difference_implIS3_Lb1ELb0EPiS7_N6thrust23THRUST_200600_302600_NS4plusIiEEEE10hipError_tPvRmT2_T3_mT4_P12ihipStream_tbEUlT_E_NS1_11comp_targetILNS1_3genE3ELNS1_11target_archE908ELNS1_3gpuE7ELNS1_3repE0EEENS1_30default_config_static_selectorELNS0_4arch9wavefront6targetE0EEEvT1_
	.p2align	8
	.type	_ZN7rocprim17ROCPRIM_400000_NS6detail17trampoline_kernelINS0_14default_configENS1_35adjacent_difference_config_selectorILb1EiEEZNS1_24adjacent_difference_implIS3_Lb1ELb0EPiS7_N6thrust23THRUST_200600_302600_NS4plusIiEEEE10hipError_tPvRmT2_T3_mT4_P12ihipStream_tbEUlT_E_NS1_11comp_targetILNS1_3genE3ELNS1_11target_archE908ELNS1_3gpuE7ELNS1_3repE0EEENS1_30default_config_static_selectorELNS0_4arch9wavefront6targetE0EEEvT1_,@function
_ZN7rocprim17ROCPRIM_400000_NS6detail17trampoline_kernelINS0_14default_configENS1_35adjacent_difference_config_selectorILb1EiEEZNS1_24adjacent_difference_implIS3_Lb1ELb0EPiS7_N6thrust23THRUST_200600_302600_NS4plusIiEEEE10hipError_tPvRmT2_T3_mT4_P12ihipStream_tbEUlT_E_NS1_11comp_targetILNS1_3genE3ELNS1_11target_archE908ELNS1_3gpuE7ELNS1_3repE0EEENS1_30default_config_static_selectorELNS0_4arch9wavefront6targetE0EEEvT1_: ; @_ZN7rocprim17ROCPRIM_400000_NS6detail17trampoline_kernelINS0_14default_configENS1_35adjacent_difference_config_selectorILb1EiEEZNS1_24adjacent_difference_implIS3_Lb1ELb0EPiS7_N6thrust23THRUST_200600_302600_NS4plusIiEEEE10hipError_tPvRmT2_T3_mT4_P12ihipStream_tbEUlT_E_NS1_11comp_targetILNS1_3genE3ELNS1_11target_archE908ELNS1_3gpuE7ELNS1_3repE0EEENS1_30default_config_static_selectorELNS0_4arch9wavefront6targetE0EEEvT1_
; %bb.0:
	.section	.rodata,"a",@progbits
	.p2align	6, 0x0
	.amdhsa_kernel _ZN7rocprim17ROCPRIM_400000_NS6detail17trampoline_kernelINS0_14default_configENS1_35adjacent_difference_config_selectorILb1EiEEZNS1_24adjacent_difference_implIS3_Lb1ELb0EPiS7_N6thrust23THRUST_200600_302600_NS4plusIiEEEE10hipError_tPvRmT2_T3_mT4_P12ihipStream_tbEUlT_E_NS1_11comp_targetILNS1_3genE3ELNS1_11target_archE908ELNS1_3gpuE7ELNS1_3repE0EEENS1_30default_config_static_selectorELNS0_4arch9wavefront6targetE0EEEvT1_
		.amdhsa_group_segment_fixed_size 0
		.amdhsa_private_segment_fixed_size 0
		.amdhsa_kernarg_size 56
		.amdhsa_user_sgpr_count 15
		.amdhsa_user_sgpr_dispatch_ptr 0
		.amdhsa_user_sgpr_queue_ptr 0
		.amdhsa_user_sgpr_kernarg_segment_ptr 1
		.amdhsa_user_sgpr_dispatch_id 0
		.amdhsa_user_sgpr_private_segment_size 0
		.amdhsa_wavefront_size32 1
		.amdhsa_uses_dynamic_stack 0
		.amdhsa_enable_private_segment 0
		.amdhsa_system_sgpr_workgroup_id_x 1
		.amdhsa_system_sgpr_workgroup_id_y 0
		.amdhsa_system_sgpr_workgroup_id_z 0
		.amdhsa_system_sgpr_workgroup_info 0
		.amdhsa_system_vgpr_workitem_id 0
		.amdhsa_next_free_vgpr 1
		.amdhsa_next_free_sgpr 1
		.amdhsa_reserve_vcc 0
		.amdhsa_float_round_mode_32 0
		.amdhsa_float_round_mode_16_64 0
		.amdhsa_float_denorm_mode_32 3
		.amdhsa_float_denorm_mode_16_64 3
		.amdhsa_dx10_clamp 1
		.amdhsa_ieee_mode 1
		.amdhsa_fp16_overflow 0
		.amdhsa_workgroup_processor_mode 1
		.amdhsa_memory_ordered 1
		.amdhsa_forward_progress 0
		.amdhsa_shared_vgpr_count 0
		.amdhsa_exception_fp_ieee_invalid_op 0
		.amdhsa_exception_fp_denorm_src 0
		.amdhsa_exception_fp_ieee_div_zero 0
		.amdhsa_exception_fp_ieee_overflow 0
		.amdhsa_exception_fp_ieee_underflow 0
		.amdhsa_exception_fp_ieee_inexact 0
		.amdhsa_exception_int_div_zero 0
	.end_amdhsa_kernel
	.section	.text._ZN7rocprim17ROCPRIM_400000_NS6detail17trampoline_kernelINS0_14default_configENS1_35adjacent_difference_config_selectorILb1EiEEZNS1_24adjacent_difference_implIS3_Lb1ELb0EPiS7_N6thrust23THRUST_200600_302600_NS4plusIiEEEE10hipError_tPvRmT2_T3_mT4_P12ihipStream_tbEUlT_E_NS1_11comp_targetILNS1_3genE3ELNS1_11target_archE908ELNS1_3gpuE7ELNS1_3repE0EEENS1_30default_config_static_selectorELNS0_4arch9wavefront6targetE0EEEvT1_,"axG",@progbits,_ZN7rocprim17ROCPRIM_400000_NS6detail17trampoline_kernelINS0_14default_configENS1_35adjacent_difference_config_selectorILb1EiEEZNS1_24adjacent_difference_implIS3_Lb1ELb0EPiS7_N6thrust23THRUST_200600_302600_NS4plusIiEEEE10hipError_tPvRmT2_T3_mT4_P12ihipStream_tbEUlT_E_NS1_11comp_targetILNS1_3genE3ELNS1_11target_archE908ELNS1_3gpuE7ELNS1_3repE0EEENS1_30default_config_static_selectorELNS0_4arch9wavefront6targetE0EEEvT1_,comdat
.Lfunc_end353:
	.size	_ZN7rocprim17ROCPRIM_400000_NS6detail17trampoline_kernelINS0_14default_configENS1_35adjacent_difference_config_selectorILb1EiEEZNS1_24adjacent_difference_implIS3_Lb1ELb0EPiS7_N6thrust23THRUST_200600_302600_NS4plusIiEEEE10hipError_tPvRmT2_T3_mT4_P12ihipStream_tbEUlT_E_NS1_11comp_targetILNS1_3genE3ELNS1_11target_archE908ELNS1_3gpuE7ELNS1_3repE0EEENS1_30default_config_static_selectorELNS0_4arch9wavefront6targetE0EEEvT1_, .Lfunc_end353-_ZN7rocprim17ROCPRIM_400000_NS6detail17trampoline_kernelINS0_14default_configENS1_35adjacent_difference_config_selectorILb1EiEEZNS1_24adjacent_difference_implIS3_Lb1ELb0EPiS7_N6thrust23THRUST_200600_302600_NS4plusIiEEEE10hipError_tPvRmT2_T3_mT4_P12ihipStream_tbEUlT_E_NS1_11comp_targetILNS1_3genE3ELNS1_11target_archE908ELNS1_3gpuE7ELNS1_3repE0EEENS1_30default_config_static_selectorELNS0_4arch9wavefront6targetE0EEEvT1_
                                        ; -- End function
	.section	.AMDGPU.csdata,"",@progbits
; Kernel info:
; codeLenInByte = 0
; NumSgprs: 0
; NumVgprs: 0
; ScratchSize: 0
; MemoryBound: 0
; FloatMode: 240
; IeeeMode: 1
; LDSByteSize: 0 bytes/workgroup (compile time only)
; SGPRBlocks: 0
; VGPRBlocks: 0
; NumSGPRsForWavesPerEU: 1
; NumVGPRsForWavesPerEU: 1
; Occupancy: 16
; WaveLimiterHint : 0
; COMPUTE_PGM_RSRC2:SCRATCH_EN: 0
; COMPUTE_PGM_RSRC2:USER_SGPR: 15
; COMPUTE_PGM_RSRC2:TRAP_HANDLER: 0
; COMPUTE_PGM_RSRC2:TGID_X_EN: 1
; COMPUTE_PGM_RSRC2:TGID_Y_EN: 0
; COMPUTE_PGM_RSRC2:TGID_Z_EN: 0
; COMPUTE_PGM_RSRC2:TIDIG_COMP_CNT: 0
	.section	.text._ZN7rocprim17ROCPRIM_400000_NS6detail17trampoline_kernelINS0_14default_configENS1_35adjacent_difference_config_selectorILb1EiEEZNS1_24adjacent_difference_implIS3_Lb1ELb0EPiS7_N6thrust23THRUST_200600_302600_NS4plusIiEEEE10hipError_tPvRmT2_T3_mT4_P12ihipStream_tbEUlT_E_NS1_11comp_targetILNS1_3genE2ELNS1_11target_archE906ELNS1_3gpuE6ELNS1_3repE0EEENS1_30default_config_static_selectorELNS0_4arch9wavefront6targetE0EEEvT1_,"axG",@progbits,_ZN7rocprim17ROCPRIM_400000_NS6detail17trampoline_kernelINS0_14default_configENS1_35adjacent_difference_config_selectorILb1EiEEZNS1_24adjacent_difference_implIS3_Lb1ELb0EPiS7_N6thrust23THRUST_200600_302600_NS4plusIiEEEE10hipError_tPvRmT2_T3_mT4_P12ihipStream_tbEUlT_E_NS1_11comp_targetILNS1_3genE2ELNS1_11target_archE906ELNS1_3gpuE6ELNS1_3repE0EEENS1_30default_config_static_selectorELNS0_4arch9wavefront6targetE0EEEvT1_,comdat
	.protected	_ZN7rocprim17ROCPRIM_400000_NS6detail17trampoline_kernelINS0_14default_configENS1_35adjacent_difference_config_selectorILb1EiEEZNS1_24adjacent_difference_implIS3_Lb1ELb0EPiS7_N6thrust23THRUST_200600_302600_NS4plusIiEEEE10hipError_tPvRmT2_T3_mT4_P12ihipStream_tbEUlT_E_NS1_11comp_targetILNS1_3genE2ELNS1_11target_archE906ELNS1_3gpuE6ELNS1_3repE0EEENS1_30default_config_static_selectorELNS0_4arch9wavefront6targetE0EEEvT1_ ; -- Begin function _ZN7rocprim17ROCPRIM_400000_NS6detail17trampoline_kernelINS0_14default_configENS1_35adjacent_difference_config_selectorILb1EiEEZNS1_24adjacent_difference_implIS3_Lb1ELb0EPiS7_N6thrust23THRUST_200600_302600_NS4plusIiEEEE10hipError_tPvRmT2_T3_mT4_P12ihipStream_tbEUlT_E_NS1_11comp_targetILNS1_3genE2ELNS1_11target_archE906ELNS1_3gpuE6ELNS1_3repE0EEENS1_30default_config_static_selectorELNS0_4arch9wavefront6targetE0EEEvT1_
	.globl	_ZN7rocprim17ROCPRIM_400000_NS6detail17trampoline_kernelINS0_14default_configENS1_35adjacent_difference_config_selectorILb1EiEEZNS1_24adjacent_difference_implIS3_Lb1ELb0EPiS7_N6thrust23THRUST_200600_302600_NS4plusIiEEEE10hipError_tPvRmT2_T3_mT4_P12ihipStream_tbEUlT_E_NS1_11comp_targetILNS1_3genE2ELNS1_11target_archE906ELNS1_3gpuE6ELNS1_3repE0EEENS1_30default_config_static_selectorELNS0_4arch9wavefront6targetE0EEEvT1_
	.p2align	8
	.type	_ZN7rocprim17ROCPRIM_400000_NS6detail17trampoline_kernelINS0_14default_configENS1_35adjacent_difference_config_selectorILb1EiEEZNS1_24adjacent_difference_implIS3_Lb1ELb0EPiS7_N6thrust23THRUST_200600_302600_NS4plusIiEEEE10hipError_tPvRmT2_T3_mT4_P12ihipStream_tbEUlT_E_NS1_11comp_targetILNS1_3genE2ELNS1_11target_archE906ELNS1_3gpuE6ELNS1_3repE0EEENS1_30default_config_static_selectorELNS0_4arch9wavefront6targetE0EEEvT1_,@function
_ZN7rocprim17ROCPRIM_400000_NS6detail17trampoline_kernelINS0_14default_configENS1_35adjacent_difference_config_selectorILb1EiEEZNS1_24adjacent_difference_implIS3_Lb1ELb0EPiS7_N6thrust23THRUST_200600_302600_NS4plusIiEEEE10hipError_tPvRmT2_T3_mT4_P12ihipStream_tbEUlT_E_NS1_11comp_targetILNS1_3genE2ELNS1_11target_archE906ELNS1_3gpuE6ELNS1_3repE0EEENS1_30default_config_static_selectorELNS0_4arch9wavefront6targetE0EEEvT1_: ; @_ZN7rocprim17ROCPRIM_400000_NS6detail17trampoline_kernelINS0_14default_configENS1_35adjacent_difference_config_selectorILb1EiEEZNS1_24adjacent_difference_implIS3_Lb1ELb0EPiS7_N6thrust23THRUST_200600_302600_NS4plusIiEEEE10hipError_tPvRmT2_T3_mT4_P12ihipStream_tbEUlT_E_NS1_11comp_targetILNS1_3genE2ELNS1_11target_archE906ELNS1_3gpuE6ELNS1_3repE0EEENS1_30default_config_static_selectorELNS0_4arch9wavefront6targetE0EEEvT1_
; %bb.0:
	.section	.rodata,"a",@progbits
	.p2align	6, 0x0
	.amdhsa_kernel _ZN7rocprim17ROCPRIM_400000_NS6detail17trampoline_kernelINS0_14default_configENS1_35adjacent_difference_config_selectorILb1EiEEZNS1_24adjacent_difference_implIS3_Lb1ELb0EPiS7_N6thrust23THRUST_200600_302600_NS4plusIiEEEE10hipError_tPvRmT2_T3_mT4_P12ihipStream_tbEUlT_E_NS1_11comp_targetILNS1_3genE2ELNS1_11target_archE906ELNS1_3gpuE6ELNS1_3repE0EEENS1_30default_config_static_selectorELNS0_4arch9wavefront6targetE0EEEvT1_
		.amdhsa_group_segment_fixed_size 0
		.amdhsa_private_segment_fixed_size 0
		.amdhsa_kernarg_size 56
		.amdhsa_user_sgpr_count 15
		.amdhsa_user_sgpr_dispatch_ptr 0
		.amdhsa_user_sgpr_queue_ptr 0
		.amdhsa_user_sgpr_kernarg_segment_ptr 1
		.amdhsa_user_sgpr_dispatch_id 0
		.amdhsa_user_sgpr_private_segment_size 0
		.amdhsa_wavefront_size32 1
		.amdhsa_uses_dynamic_stack 0
		.amdhsa_enable_private_segment 0
		.amdhsa_system_sgpr_workgroup_id_x 1
		.amdhsa_system_sgpr_workgroup_id_y 0
		.amdhsa_system_sgpr_workgroup_id_z 0
		.amdhsa_system_sgpr_workgroup_info 0
		.amdhsa_system_vgpr_workitem_id 0
		.amdhsa_next_free_vgpr 1
		.amdhsa_next_free_sgpr 1
		.amdhsa_reserve_vcc 0
		.amdhsa_float_round_mode_32 0
		.amdhsa_float_round_mode_16_64 0
		.amdhsa_float_denorm_mode_32 3
		.amdhsa_float_denorm_mode_16_64 3
		.amdhsa_dx10_clamp 1
		.amdhsa_ieee_mode 1
		.amdhsa_fp16_overflow 0
		.amdhsa_workgroup_processor_mode 1
		.amdhsa_memory_ordered 1
		.amdhsa_forward_progress 0
		.amdhsa_shared_vgpr_count 0
		.amdhsa_exception_fp_ieee_invalid_op 0
		.amdhsa_exception_fp_denorm_src 0
		.amdhsa_exception_fp_ieee_div_zero 0
		.amdhsa_exception_fp_ieee_overflow 0
		.amdhsa_exception_fp_ieee_underflow 0
		.amdhsa_exception_fp_ieee_inexact 0
		.amdhsa_exception_int_div_zero 0
	.end_amdhsa_kernel
	.section	.text._ZN7rocprim17ROCPRIM_400000_NS6detail17trampoline_kernelINS0_14default_configENS1_35adjacent_difference_config_selectorILb1EiEEZNS1_24adjacent_difference_implIS3_Lb1ELb0EPiS7_N6thrust23THRUST_200600_302600_NS4plusIiEEEE10hipError_tPvRmT2_T3_mT4_P12ihipStream_tbEUlT_E_NS1_11comp_targetILNS1_3genE2ELNS1_11target_archE906ELNS1_3gpuE6ELNS1_3repE0EEENS1_30default_config_static_selectorELNS0_4arch9wavefront6targetE0EEEvT1_,"axG",@progbits,_ZN7rocprim17ROCPRIM_400000_NS6detail17trampoline_kernelINS0_14default_configENS1_35adjacent_difference_config_selectorILb1EiEEZNS1_24adjacent_difference_implIS3_Lb1ELb0EPiS7_N6thrust23THRUST_200600_302600_NS4plusIiEEEE10hipError_tPvRmT2_T3_mT4_P12ihipStream_tbEUlT_E_NS1_11comp_targetILNS1_3genE2ELNS1_11target_archE906ELNS1_3gpuE6ELNS1_3repE0EEENS1_30default_config_static_selectorELNS0_4arch9wavefront6targetE0EEEvT1_,comdat
.Lfunc_end354:
	.size	_ZN7rocprim17ROCPRIM_400000_NS6detail17trampoline_kernelINS0_14default_configENS1_35adjacent_difference_config_selectorILb1EiEEZNS1_24adjacent_difference_implIS3_Lb1ELb0EPiS7_N6thrust23THRUST_200600_302600_NS4plusIiEEEE10hipError_tPvRmT2_T3_mT4_P12ihipStream_tbEUlT_E_NS1_11comp_targetILNS1_3genE2ELNS1_11target_archE906ELNS1_3gpuE6ELNS1_3repE0EEENS1_30default_config_static_selectorELNS0_4arch9wavefront6targetE0EEEvT1_, .Lfunc_end354-_ZN7rocprim17ROCPRIM_400000_NS6detail17trampoline_kernelINS0_14default_configENS1_35adjacent_difference_config_selectorILb1EiEEZNS1_24adjacent_difference_implIS3_Lb1ELb0EPiS7_N6thrust23THRUST_200600_302600_NS4plusIiEEEE10hipError_tPvRmT2_T3_mT4_P12ihipStream_tbEUlT_E_NS1_11comp_targetILNS1_3genE2ELNS1_11target_archE906ELNS1_3gpuE6ELNS1_3repE0EEENS1_30default_config_static_selectorELNS0_4arch9wavefront6targetE0EEEvT1_
                                        ; -- End function
	.section	.AMDGPU.csdata,"",@progbits
; Kernel info:
; codeLenInByte = 0
; NumSgprs: 0
; NumVgprs: 0
; ScratchSize: 0
; MemoryBound: 0
; FloatMode: 240
; IeeeMode: 1
; LDSByteSize: 0 bytes/workgroup (compile time only)
; SGPRBlocks: 0
; VGPRBlocks: 0
; NumSGPRsForWavesPerEU: 1
; NumVGPRsForWavesPerEU: 1
; Occupancy: 16
; WaveLimiterHint : 0
; COMPUTE_PGM_RSRC2:SCRATCH_EN: 0
; COMPUTE_PGM_RSRC2:USER_SGPR: 15
; COMPUTE_PGM_RSRC2:TRAP_HANDLER: 0
; COMPUTE_PGM_RSRC2:TGID_X_EN: 1
; COMPUTE_PGM_RSRC2:TGID_Y_EN: 0
; COMPUTE_PGM_RSRC2:TGID_Z_EN: 0
; COMPUTE_PGM_RSRC2:TIDIG_COMP_CNT: 0
	.section	.text._ZN7rocprim17ROCPRIM_400000_NS6detail17trampoline_kernelINS0_14default_configENS1_35adjacent_difference_config_selectorILb1EiEEZNS1_24adjacent_difference_implIS3_Lb1ELb0EPiS7_N6thrust23THRUST_200600_302600_NS4plusIiEEEE10hipError_tPvRmT2_T3_mT4_P12ihipStream_tbEUlT_E_NS1_11comp_targetILNS1_3genE9ELNS1_11target_archE1100ELNS1_3gpuE3ELNS1_3repE0EEENS1_30default_config_static_selectorELNS0_4arch9wavefront6targetE0EEEvT1_,"axG",@progbits,_ZN7rocprim17ROCPRIM_400000_NS6detail17trampoline_kernelINS0_14default_configENS1_35adjacent_difference_config_selectorILb1EiEEZNS1_24adjacent_difference_implIS3_Lb1ELb0EPiS7_N6thrust23THRUST_200600_302600_NS4plusIiEEEE10hipError_tPvRmT2_T3_mT4_P12ihipStream_tbEUlT_E_NS1_11comp_targetILNS1_3genE9ELNS1_11target_archE1100ELNS1_3gpuE3ELNS1_3repE0EEENS1_30default_config_static_selectorELNS0_4arch9wavefront6targetE0EEEvT1_,comdat
	.protected	_ZN7rocprim17ROCPRIM_400000_NS6detail17trampoline_kernelINS0_14default_configENS1_35adjacent_difference_config_selectorILb1EiEEZNS1_24adjacent_difference_implIS3_Lb1ELb0EPiS7_N6thrust23THRUST_200600_302600_NS4plusIiEEEE10hipError_tPvRmT2_T3_mT4_P12ihipStream_tbEUlT_E_NS1_11comp_targetILNS1_3genE9ELNS1_11target_archE1100ELNS1_3gpuE3ELNS1_3repE0EEENS1_30default_config_static_selectorELNS0_4arch9wavefront6targetE0EEEvT1_ ; -- Begin function _ZN7rocprim17ROCPRIM_400000_NS6detail17trampoline_kernelINS0_14default_configENS1_35adjacent_difference_config_selectorILb1EiEEZNS1_24adjacent_difference_implIS3_Lb1ELb0EPiS7_N6thrust23THRUST_200600_302600_NS4plusIiEEEE10hipError_tPvRmT2_T3_mT4_P12ihipStream_tbEUlT_E_NS1_11comp_targetILNS1_3genE9ELNS1_11target_archE1100ELNS1_3gpuE3ELNS1_3repE0EEENS1_30default_config_static_selectorELNS0_4arch9wavefront6targetE0EEEvT1_
	.globl	_ZN7rocprim17ROCPRIM_400000_NS6detail17trampoline_kernelINS0_14default_configENS1_35adjacent_difference_config_selectorILb1EiEEZNS1_24adjacent_difference_implIS3_Lb1ELb0EPiS7_N6thrust23THRUST_200600_302600_NS4plusIiEEEE10hipError_tPvRmT2_T3_mT4_P12ihipStream_tbEUlT_E_NS1_11comp_targetILNS1_3genE9ELNS1_11target_archE1100ELNS1_3gpuE3ELNS1_3repE0EEENS1_30default_config_static_selectorELNS0_4arch9wavefront6targetE0EEEvT1_
	.p2align	8
	.type	_ZN7rocprim17ROCPRIM_400000_NS6detail17trampoline_kernelINS0_14default_configENS1_35adjacent_difference_config_selectorILb1EiEEZNS1_24adjacent_difference_implIS3_Lb1ELb0EPiS7_N6thrust23THRUST_200600_302600_NS4plusIiEEEE10hipError_tPvRmT2_T3_mT4_P12ihipStream_tbEUlT_E_NS1_11comp_targetILNS1_3genE9ELNS1_11target_archE1100ELNS1_3gpuE3ELNS1_3repE0EEENS1_30default_config_static_selectorELNS0_4arch9wavefront6targetE0EEEvT1_,@function
_ZN7rocprim17ROCPRIM_400000_NS6detail17trampoline_kernelINS0_14default_configENS1_35adjacent_difference_config_selectorILb1EiEEZNS1_24adjacent_difference_implIS3_Lb1ELb0EPiS7_N6thrust23THRUST_200600_302600_NS4plusIiEEEE10hipError_tPvRmT2_T3_mT4_P12ihipStream_tbEUlT_E_NS1_11comp_targetILNS1_3genE9ELNS1_11target_archE1100ELNS1_3gpuE3ELNS1_3repE0EEENS1_30default_config_static_selectorELNS0_4arch9wavefront6targetE0EEEvT1_: ; @_ZN7rocprim17ROCPRIM_400000_NS6detail17trampoline_kernelINS0_14default_configENS1_35adjacent_difference_config_selectorILb1EiEEZNS1_24adjacent_difference_implIS3_Lb1ELb0EPiS7_N6thrust23THRUST_200600_302600_NS4plusIiEEEE10hipError_tPvRmT2_T3_mT4_P12ihipStream_tbEUlT_E_NS1_11comp_targetILNS1_3genE9ELNS1_11target_archE1100ELNS1_3gpuE3ELNS1_3repE0EEENS1_30default_config_static_selectorELNS0_4arch9wavefront6targetE0EEEvT1_
; %bb.0:
	s_load_b256 s[36:43], s[0:1], 0x0
	s_mov_b32 s2, 0x411a7a30
	s_mov_b32 s8, s15
	s_delay_alu instid0(SALU_CYCLE_1) | instskip(SKIP_2) | instid1(SALU_CYCLE_1)
	s_mul_i32 s30, s8, 0xe80
	s_waitcnt lgkmcnt(0)
	s_lshl_b64 s[34:35], s[38:39], 2
	s_add_u32 s14, s36, s34
	s_addc_u32 s15, s37, s35
	s_add_u32 s2, 0x76, s2
	s_addc_u32 s3, 0, 0
	v_add_co_u32 v1, s2, 0x20000000, s2
	s_delay_alu instid0(VALU_DEP_1) | instskip(SKIP_1) | instid1(VALU_DEP_1)
	s_cmp_lg_u32 s2, 0
	s_addc_u32 s3, s3, 0x11a7b9
	v_readfirstlane_b32 s2, v1
	s_mul_i32 s4, s3, 0xfffff180
	s_delay_alu instid0(VALU_DEP_1)
	s_mul_hi_u32 s5, s2, 0xfffff180
	s_mul_i32 s6, s2, 0xfffff180
	s_sub_i32 s5, s5, s2
	s_mul_hi_u32 s7, s2, s6
	s_add_i32 s5, s5, s4
	s_mul_hi_u32 s9, s3, s6
	s_mul_i32 s4, s3, s6
	s_mul_hi_u32 s6, s2, s5
	s_mul_i32 s2, s2, s5
	s_mul_hi_u32 s10, s3, s5
	s_add_u32 s2, s7, s2
	s_addc_u32 s6, 0, s6
	s_add_u32 s2, s2, s4
	s_mul_i32 s5, s3, s5
	s_addc_u32 s2, s6, s9
	s_addc_u32 s4, s10, 0
	s_add_u32 s2, s2, s5
	s_addc_u32 s4, 0, s4
	v_add_co_u32 v1, s2, v1, s2
	s_delay_alu instid0(VALU_DEP_1) | instskip(SKIP_1) | instid1(VALU_DEP_1)
	s_cmp_lg_u32 s2, 0
	s_addc_u32 s2, s3, s4
	v_readfirstlane_b32 s3, v1
	s_mul_i32 s5, s42, s2
	s_mul_hi_u32 s4, s42, s2
	s_mul_hi_u32 s6, s43, s2
	s_mul_i32 s2, s43, s2
	s_mul_hi_u32 s7, s42, s3
	s_mul_hi_u32 s9, s43, s3
	s_mul_i32 s3, s43, s3
	s_add_u32 s5, s7, s5
	s_addc_u32 s4, 0, s4
	s_add_u32 s3, s5, s3
	s_addc_u32 s3, s4, s9
	s_addc_u32 s4, s6, 0
	s_add_u32 s5, s3, s2
	s_addc_u32 s4, 0, s4
	s_mul_i32 s3, s5, 0xe80
	s_add_u32 s2, s5, 1
	v_sub_co_u32 v1, s3, s42, s3
	s_mul_hi_u32 s6, s5, 0xe80
	s_addc_u32 s7, s4, 0
	s_mul_i32 s9, s4, 0xe80
	s_delay_alu instid0(VALU_DEP_1)
	v_subrev_co_u32 v2, s10, 0xe80, v1
	s_add_u32 s11, s5, 2
	s_addc_u32 s12, s4, 0
	s_add_i32 s6, s6, s9
	s_cmp_lg_u32 s3, 0
	v_readfirstlane_b32 s3, v2
	s_subb_u32 s6, s43, s6
	s_cmp_lg_u32 s10, 0
	s_subb_u32 s9, s6, 0
	s_delay_alu instid0(VALU_DEP_1) | instskip(SKIP_4) | instid1(SALU_CYCLE_1)
	s_cmpk_gt_u32 s3, 0xe7f
	s_cselect_b32 s3, -1, 0
	s_cmp_eq_u32 s9, 0
	v_readfirstlane_b32 s9, v1
	s_cselect_b32 s3, s3, -1
	s_cmp_lg_u32 s3, 0
	s_cselect_b32 s10, s11, s2
	s_cselect_b32 s7, s12, s7
	s_cmpk_gt_u32 s9, 0xe7f
	s_mov_b32 s12, -1
	s_cselect_b32 s2, -1, 0
	s_cmp_eq_u32 s6, 0
	s_cselect_b32 s2, s2, -1
	s_delay_alu instid0(SALU_CYCLE_1)
	s_cmp_lg_u32 s2, 0
	s_load_b128 s[0:3], s[0:1], 0x28
	s_cselect_b32 s6, s7, s4
	s_cselect_b32 s7, s10, s5
	s_mul_i32 s4, s6, 0xe80
	s_mul_hi_u32 s5, s7, 0xe80
	s_mul_i32 s9, s7, 0xe80
	s_add_i32 s5, s5, s4
	s_sub_u32 s4, s42, s9
	s_subb_u32 s5, s43, s5
	s_mov_b32 s9, 0
	s_cmp_lg_u64 s[4:5], 0
	s_cselect_b32 s4, -1, 0
	s_delay_alu instid0(SALU_CYCLE_1) | instskip(NEXT) | instid1(VALU_DEP_1)
	v_cndmask_b32_e64 v1, 0, 1, s4
	v_readfirstlane_b32 s4, v1
	s_delay_alu instid0(VALU_DEP_1)
	s_add_u32 s4, s7, s4
	s_addc_u32 s5, s6, 0
	s_waitcnt lgkmcnt(0)
	s_add_u32 s6, s2, s8
	s_addc_u32 s7, s3, 0
	s_add_u32 s10, s4, -1
	s_addc_u32 s11, s5, -1
	s_mul_i32 s29, s10, 0xfffff180
	v_cmp_ge_u64_e64 s33, s[6:7], s[10:11]
	s_delay_alu instid0(VALU_DEP_1)
	s_and_b32 vcc_lo, exec_lo, s33
	s_cbranch_vccz .LBB355_60
; %bb.1:
	s_mov_b32 s31, s9
	s_add_i32 s16, s29, s42
	s_lshl_b64 s[12:13], s[30:31], 2
	s_mov_b32 s17, exec_lo
	s_add_u32 s12, s14, s12
	s_addc_u32 s13, s15, s13
                                        ; implicit-def: $vgpr1
	v_cmpx_gt_u32_e64 s16, v0
	s_cbranch_execz .LBB355_3
; %bb.2:
	v_lshlrev_b32_e32 v1, 2, v0
	global_load_b32 v1, v1, s[12:13]
.LBB355_3:
	s_or_b32 exec_lo, exec_lo, s17
	v_or_b32_e32 v2, 0x80, v0
	s_delay_alu instid0(VALU_DEP_1)
	v_cmp_gt_u32_e32 vcc_lo, s16, v2
                                        ; implicit-def: $vgpr2
	s_and_saveexec_b32 s17, vcc_lo
	s_cbranch_execz .LBB355_5
; %bb.4:
	v_lshlrev_b32_e32 v2, 2, v0
	global_load_b32 v2, v2, s[12:13] offset:512
.LBB355_5:
	s_or_b32 exec_lo, exec_lo, s17
	v_or_b32_e32 v3, 0x100, v0
	s_delay_alu instid0(VALU_DEP_1)
	v_cmp_gt_u32_e32 vcc_lo, s16, v3
                                        ; implicit-def: $vgpr3
	s_and_saveexec_b32 s17, vcc_lo
	s_cbranch_execz .LBB355_7
; %bb.6:
	v_lshlrev_b32_e32 v3, 2, v0
	global_load_b32 v3, v3, s[12:13] offset:1024
.LBB355_7:
	s_or_b32 exec_lo, exec_lo, s17
	v_or_b32_e32 v4, 0x180, v0
	s_delay_alu instid0(VALU_DEP_1)
	v_cmp_gt_u32_e32 vcc_lo, s16, v4
                                        ; implicit-def: $vgpr4
	s_and_saveexec_b32 s17, vcc_lo
	s_cbranch_execz .LBB355_9
; %bb.8:
	v_lshlrev_b32_e32 v4, 2, v0
	global_load_b32 v4, v4, s[12:13] offset:1536
.LBB355_9:
	s_or_b32 exec_lo, exec_lo, s17
	v_or_b32_e32 v5, 0x200, v0
	s_delay_alu instid0(VALU_DEP_1)
	v_cmp_gt_u32_e32 vcc_lo, s16, v5
                                        ; implicit-def: $vgpr5
	s_and_saveexec_b32 s17, vcc_lo
	s_cbranch_execz .LBB355_11
; %bb.10:
	v_lshlrev_b32_e32 v5, 2, v0
	global_load_b32 v5, v5, s[12:13] offset:2048
.LBB355_11:
	s_or_b32 exec_lo, exec_lo, s17
	v_or_b32_e32 v6, 0x280, v0
	s_delay_alu instid0(VALU_DEP_1)
	v_cmp_gt_u32_e32 vcc_lo, s16, v6
                                        ; implicit-def: $vgpr6
	s_and_saveexec_b32 s17, vcc_lo
	s_cbranch_execz .LBB355_13
; %bb.12:
	v_lshlrev_b32_e32 v6, 2, v0
	global_load_b32 v6, v6, s[12:13] offset:2560
.LBB355_13:
	s_or_b32 exec_lo, exec_lo, s17
	v_or_b32_e32 v7, 0x300, v0
	s_delay_alu instid0(VALU_DEP_1)
	v_cmp_gt_u32_e32 vcc_lo, s16, v7
                                        ; implicit-def: $vgpr7
	s_and_saveexec_b32 s17, vcc_lo
	s_cbranch_execz .LBB355_15
; %bb.14:
	v_lshlrev_b32_e32 v7, 2, v0
	global_load_b32 v7, v7, s[12:13] offset:3072
.LBB355_15:
	s_or_b32 exec_lo, exec_lo, s17
	v_or_b32_e32 v8, 0x380, v0
	s_delay_alu instid0(VALU_DEP_1)
	v_cmp_gt_u32_e32 vcc_lo, s16, v8
                                        ; implicit-def: $vgpr8
	s_and_saveexec_b32 s17, vcc_lo
	s_cbranch_execz .LBB355_17
; %bb.16:
	v_lshlrev_b32_e32 v8, 2, v0
	global_load_b32 v8, v8, s[12:13] offset:3584
.LBB355_17:
	s_or_b32 exec_lo, exec_lo, s17
	v_or_b32_e32 v10, 0x400, v0
	s_mov_b32 s17, exec_lo
                                        ; implicit-def: $vgpr9
	s_delay_alu instid0(VALU_DEP_1)
	v_cmpx_gt_u32_e64 s16, v10
	s_cbranch_execz .LBB355_19
; %bb.18:
	v_lshlrev_b32_e32 v9, 2, v10
	global_load_b32 v9, v9, s[12:13]
.LBB355_19:
	s_or_b32 exec_lo, exec_lo, s17
	v_or_b32_e32 v11, 0x480, v0
	s_mov_b32 s17, exec_lo
                                        ; implicit-def: $vgpr10
	s_delay_alu instid0(VALU_DEP_1)
	v_cmpx_gt_u32_e64 s16, v11
	s_cbranch_execz .LBB355_21
; %bb.20:
	v_lshlrev_b32_e32 v10, 2, v11
	global_load_b32 v10, v10, s[12:13]
.LBB355_21:
	s_or_b32 exec_lo, exec_lo, s17
	v_or_b32_e32 v12, 0x500, v0
	s_mov_b32 s17, exec_lo
                                        ; implicit-def: $vgpr11
	s_delay_alu instid0(VALU_DEP_1)
	v_cmpx_gt_u32_e64 s16, v12
	s_cbranch_execz .LBB355_23
; %bb.22:
	v_lshlrev_b32_e32 v11, 2, v12
	global_load_b32 v11, v11, s[12:13]
.LBB355_23:
	s_or_b32 exec_lo, exec_lo, s17
	v_or_b32_e32 v13, 0x580, v0
	s_mov_b32 s17, exec_lo
                                        ; implicit-def: $vgpr12
	s_delay_alu instid0(VALU_DEP_1)
	v_cmpx_gt_u32_e64 s16, v13
	s_cbranch_execz .LBB355_25
; %bb.24:
	v_lshlrev_b32_e32 v12, 2, v13
	global_load_b32 v12, v12, s[12:13]
.LBB355_25:
	s_or_b32 exec_lo, exec_lo, s17
	v_or_b32_e32 v14, 0x600, v0
	s_mov_b32 s17, exec_lo
                                        ; implicit-def: $vgpr13
	s_delay_alu instid0(VALU_DEP_1)
	v_cmpx_gt_u32_e64 s16, v14
	s_cbranch_execz .LBB355_27
; %bb.26:
	v_lshlrev_b32_e32 v13, 2, v14
	global_load_b32 v13, v13, s[12:13]
.LBB355_27:
	s_or_b32 exec_lo, exec_lo, s17
	v_or_b32_e32 v15, 0x680, v0
	s_mov_b32 s17, exec_lo
                                        ; implicit-def: $vgpr14
	s_delay_alu instid0(VALU_DEP_1)
	v_cmpx_gt_u32_e64 s16, v15
	s_cbranch_execz .LBB355_29
; %bb.28:
	v_lshlrev_b32_e32 v14, 2, v15
	global_load_b32 v14, v14, s[12:13]
.LBB355_29:
	s_or_b32 exec_lo, exec_lo, s17
	v_or_b32_e32 v16, 0x700, v0
	s_mov_b32 s17, exec_lo
                                        ; implicit-def: $vgpr15
	s_delay_alu instid0(VALU_DEP_1)
	v_cmpx_gt_u32_e64 s16, v16
	s_cbranch_execz .LBB355_31
; %bb.30:
	v_lshlrev_b32_e32 v15, 2, v16
	global_load_b32 v15, v15, s[12:13]
.LBB355_31:
	s_or_b32 exec_lo, exec_lo, s17
	v_or_b32_e32 v17, 0x780, v0
	s_mov_b32 s17, exec_lo
                                        ; implicit-def: $vgpr16
	s_delay_alu instid0(VALU_DEP_1)
	v_cmpx_gt_u32_e64 s16, v17
	s_cbranch_execz .LBB355_33
; %bb.32:
	v_lshlrev_b32_e32 v16, 2, v17
	global_load_b32 v16, v16, s[12:13]
.LBB355_33:
	s_or_b32 exec_lo, exec_lo, s17
	v_or_b32_e32 v18, 0x800, v0
	s_mov_b32 s17, exec_lo
                                        ; implicit-def: $vgpr17
	s_delay_alu instid0(VALU_DEP_1)
	v_cmpx_gt_u32_e64 s16, v18
	s_cbranch_execz .LBB355_35
; %bb.34:
	v_lshlrev_b32_e32 v17, 2, v18
	global_load_b32 v17, v17, s[12:13]
.LBB355_35:
	s_or_b32 exec_lo, exec_lo, s17
	v_or_b32_e32 v19, 0x880, v0
	s_mov_b32 s17, exec_lo
                                        ; implicit-def: $vgpr18
	s_delay_alu instid0(VALU_DEP_1)
	v_cmpx_gt_u32_e64 s16, v19
	s_cbranch_execz .LBB355_37
; %bb.36:
	v_lshlrev_b32_e32 v18, 2, v19
	global_load_b32 v18, v18, s[12:13]
.LBB355_37:
	s_or_b32 exec_lo, exec_lo, s17
	v_or_b32_e32 v20, 0x900, v0
	s_mov_b32 s17, exec_lo
                                        ; implicit-def: $vgpr19
	s_delay_alu instid0(VALU_DEP_1)
	v_cmpx_gt_u32_e64 s16, v20
	s_cbranch_execz .LBB355_39
; %bb.38:
	v_lshlrev_b32_e32 v19, 2, v20
	global_load_b32 v19, v19, s[12:13]
.LBB355_39:
	s_or_b32 exec_lo, exec_lo, s17
	v_or_b32_e32 v21, 0x980, v0
	s_mov_b32 s17, exec_lo
                                        ; implicit-def: $vgpr20
	s_delay_alu instid0(VALU_DEP_1)
	v_cmpx_gt_u32_e64 s16, v21
	s_cbranch_execz .LBB355_41
; %bb.40:
	v_lshlrev_b32_e32 v20, 2, v21
	global_load_b32 v20, v20, s[12:13]
.LBB355_41:
	s_or_b32 exec_lo, exec_lo, s17
	v_or_b32_e32 v22, 0xa00, v0
	s_mov_b32 s17, exec_lo
                                        ; implicit-def: $vgpr21
	s_delay_alu instid0(VALU_DEP_1)
	v_cmpx_gt_u32_e64 s16, v22
	s_cbranch_execz .LBB355_43
; %bb.42:
	v_lshlrev_b32_e32 v21, 2, v22
	global_load_b32 v21, v21, s[12:13]
.LBB355_43:
	s_or_b32 exec_lo, exec_lo, s17
	v_or_b32_e32 v23, 0xa80, v0
	s_mov_b32 s17, exec_lo
                                        ; implicit-def: $vgpr22
	s_delay_alu instid0(VALU_DEP_1)
	v_cmpx_gt_u32_e64 s16, v23
	s_cbranch_execz .LBB355_45
; %bb.44:
	v_lshlrev_b32_e32 v22, 2, v23
	global_load_b32 v22, v22, s[12:13]
.LBB355_45:
	s_or_b32 exec_lo, exec_lo, s17
	v_or_b32_e32 v24, 0xb00, v0
	s_mov_b32 s17, exec_lo
                                        ; implicit-def: $vgpr23
	s_delay_alu instid0(VALU_DEP_1)
	v_cmpx_gt_u32_e64 s16, v24
	s_cbranch_execz .LBB355_47
; %bb.46:
	v_lshlrev_b32_e32 v23, 2, v24
	global_load_b32 v23, v23, s[12:13]
.LBB355_47:
	s_or_b32 exec_lo, exec_lo, s17
	v_or_b32_e32 v25, 0xb80, v0
	s_mov_b32 s17, exec_lo
                                        ; implicit-def: $vgpr24
	s_delay_alu instid0(VALU_DEP_1)
	v_cmpx_gt_u32_e64 s16, v25
	s_cbranch_execz .LBB355_49
; %bb.48:
	v_lshlrev_b32_e32 v24, 2, v25
	global_load_b32 v24, v24, s[12:13]
.LBB355_49:
	s_or_b32 exec_lo, exec_lo, s17
	v_or_b32_e32 v26, 0xc00, v0
	s_mov_b32 s17, exec_lo
                                        ; implicit-def: $vgpr25
	s_delay_alu instid0(VALU_DEP_1)
	v_cmpx_gt_u32_e64 s16, v26
	s_cbranch_execz .LBB355_51
; %bb.50:
	v_lshlrev_b32_e32 v25, 2, v26
	global_load_b32 v25, v25, s[12:13]
.LBB355_51:
	s_or_b32 exec_lo, exec_lo, s17
	v_or_b32_e32 v27, 0xc80, v0
	s_mov_b32 s17, exec_lo
                                        ; implicit-def: $vgpr26
	s_delay_alu instid0(VALU_DEP_1)
	v_cmpx_gt_u32_e64 s16, v27
	s_cbranch_execz .LBB355_53
; %bb.52:
	v_lshlrev_b32_e32 v26, 2, v27
	global_load_b32 v26, v26, s[12:13]
.LBB355_53:
	s_or_b32 exec_lo, exec_lo, s17
	v_or_b32_e32 v28, 0xd00, v0
	s_mov_b32 s17, exec_lo
                                        ; implicit-def: $vgpr27
	s_delay_alu instid0(VALU_DEP_1)
	v_cmpx_gt_u32_e64 s16, v28
	s_cbranch_execz .LBB355_55
; %bb.54:
	v_lshlrev_b32_e32 v27, 2, v28
	global_load_b32 v27, v27, s[12:13]
.LBB355_55:
	s_or_b32 exec_lo, exec_lo, s17
	v_or_b32_e32 v29, 0xd80, v0
	s_mov_b32 s17, exec_lo
                                        ; implicit-def: $vgpr28
	s_delay_alu instid0(VALU_DEP_1)
	v_cmpx_gt_u32_e64 s16, v29
	s_cbranch_execz .LBB355_57
; %bb.56:
	v_lshlrev_b32_e32 v28, 2, v29
	global_load_b32 v28, v28, s[12:13]
.LBB355_57:
	s_or_b32 exec_lo, exec_lo, s17
	v_or_b32_e32 v30, 0xe00, v0
                                        ; implicit-def: $vgpr29
	s_delay_alu instid0(VALU_DEP_1)
	v_cmp_gt_u32_e32 vcc_lo, s16, v30
	s_and_saveexec_b32 s16, vcc_lo
	s_cbranch_execz .LBB355_59
; %bb.58:
	v_lshlrev_b32_e32 v29, 2, v30
	global_load_b32 v29, v29, s[12:13]
.LBB355_59:
	s_or_b32 exec_lo, exec_lo, s16
	v_lshlrev_b32_e32 v30, 2, v0
	s_mov_b32 s12, 0
	s_waitcnt vmcnt(0)
	ds_store_2addr_stride64_b32 v30, v1, v2 offset1:2
	ds_store_2addr_stride64_b32 v30, v3, v4 offset0:4 offset1:6
	ds_store_2addr_stride64_b32 v30, v5, v6 offset0:8 offset1:10
	;; [unrolled: 1-line block ×13, first 2 shown]
	ds_store_b32 v30, v29 offset:14336
	s_waitcnt lgkmcnt(0)
	s_barrier
.LBB355_60:
	v_lshlrev_b32_e32 v31, 2, v0
	s_and_b32 vcc_lo, exec_lo, s12
	s_cbranch_vccz .LBB355_62
; %bb.61:
	s_mov_b32 s31, 0
	s_delay_alu instid0(SALU_CYCLE_1) | instskip(NEXT) | instid1(SALU_CYCLE_1)
	s_lshl_b64 s[12:13], s[30:31], 2
	s_add_u32 s12, s14, s12
	s_addc_u32 s13, s15, s13
	v_add_co_u32 v7, s14, s12, v31
	s_delay_alu instid0(VALU_DEP_1)
	v_add_co_ci_u32_e64 v8, null, s13, 0, s14
	s_clause 0x6
	global_load_b32 v9, v31, s[12:13] offset:512
	global_load_b32 v10, v31, s[12:13] offset:1024
	;; [unrolled: 1-line block ×7, first 2 shown]
	v_add_co_u32 v1, vcc_lo, v7, 0x2000
	v_add_co_ci_u32_e32 v2, vcc_lo, 0, v8, vcc_lo
	v_add_co_u32 v3, vcc_lo, 0x1000, v7
	v_add_co_ci_u32_e32 v4, vcc_lo, 0, v8, vcc_lo
	;; [unrolled: 2-line block ×3, first 2 shown]
	s_clause 0xa
	global_load_b32 v16, v[1:2], off offset:-4096
	global_load_b32 v17, v31, s[12:13]
	global_load_b32 v18, v[1:2], off
	global_load_b32 v19, v[3:4], off offset:512
	global_load_b32 v20, v[3:4], off offset:1024
	;; [unrolled: 1-line block ×8, first 2 shown]
	v_add_co_u32 v1, vcc_lo, 0x3000, v7
	v_add_co_ci_u32_e32 v2, vcc_lo, 0, v8, vcc_lo
	s_clause 0xa
	global_load_b32 v7, v[5:6], off offset:1024
	global_load_b32 v8, v[5:6], off offset:1536
	;; [unrolled: 1-line block ×6, first 2 shown]
	global_load_b32 v6, v[1:2], off
	global_load_b32 v28, v[1:2], off offset:512
	global_load_b32 v29, v[1:2], off offset:1024
	;; [unrolled: 1-line block ×4, first 2 shown]
	s_waitcnt vmcnt(20)
	ds_store_2addr_stride64_b32 v31, v17, v9 offset1:2
	ds_store_2addr_stride64_b32 v31, v10, v11 offset0:4 offset1:6
	ds_store_2addr_stride64_b32 v31, v12, v13 offset0:8 offset1:10
	;; [unrolled: 1-line block ×3, first 2 shown]
	s_waitcnt vmcnt(18)
	ds_store_2addr_stride64_b32 v31, v16, v19 offset0:16 offset1:18
	s_waitcnt vmcnt(16)
	ds_store_2addr_stride64_b32 v31, v20, v21 offset0:20 offset1:22
	;; [unrolled: 2-line block ×10, first 2 shown]
	s_waitcnt vmcnt(0)
	ds_store_b32 v31, v1 offset:14336
	s_waitcnt lgkmcnt(0)
	s_barrier
.LBB355_62:
	v_mul_u32_u24_e32 v1, 29, v0
	buffer_gl0_inv
	s_cmp_eq_u64 s[6:7], 0
	v_lshlrev_b32_e32 v27, 2, v1
	ds_load_b32 v29, v27 offset:112
	ds_load_2addr_b32 v[1:2], v27 offset0:26 offset1:27
	ds_load_2addr_b32 v[3:4], v27 offset0:24 offset1:25
	ds_load_2addr_b32 v[5:6], v27 offset1:1
	ds_load_2addr_b32 v[7:8], v27 offset0:2 offset1:3
	ds_load_2addr_b32 v[9:10], v27 offset0:4 offset1:5
	;; [unrolled: 1-line block ×11, first 2 shown]
	s_waitcnt lgkmcnt(0)
	s_barrier
	buffer_gl0_inv
	s_cbranch_scc1 .LBB355_67
; %bb.63:
	s_lshl_b64 s[2:3], s[2:3], 2
	s_delay_alu instid0(SALU_CYCLE_1) | instskip(SKIP_2) | instid1(SALU_CYCLE_1)
	s_add_u32 s2, s0, s2
	s_addc_u32 s3, s1, s3
	s_lshl_b64 s[0:1], s[8:9], 2
	s_add_u32 s0, s2, s0
	s_addc_u32 s1, s3, s1
	s_add_u32 s0, s0, -4
	s_addc_u32 s1, s1, -1
	s_cmp_eq_u64 s[6:7], s[10:11]
	s_load_b32 s0, s[0:1], 0x0
	s_cbranch_scc1 .LBB355_68
; %bb.64:
	s_waitcnt lgkmcnt(0)
	v_mov_b32_e32 v30, s0
	s_mov_b32 s1, 0
	s_mov_b32 s2, exec_lo
	ds_store_b32 v31, v29
	s_waitcnt lgkmcnt(0)
	s_barrier
	buffer_gl0_inv
	v_cmpx_ne_u32_e32 0, v0
	s_cbranch_execz .LBB355_66
; %bb.65:
	v_add_nc_u32_e32 v30, -4, v31
	ds_load_b32 v30, v30
.LBB355_66:
	s_or_b32 exec_lo, exec_lo, s2
	s_waitcnt lgkmcnt(0)
	v_add_nc_u32_e32 v32, v30, v5
	s_branch .LBB355_69
.LBB355_67:
                                        ; implicit-def: $vgpr32
                                        ; implicit-def: $vgpr34
                                        ; implicit-def: $vgpr35
                                        ; implicit-def: $vgpr36
                                        ; implicit-def: $vgpr37
                                        ; implicit-def: $vgpr38
                                        ; implicit-def: $vgpr39
                                        ; implicit-def: $vgpr40
                                        ; implicit-def: $vgpr41
                                        ; implicit-def: $vgpr42
                                        ; implicit-def: $vgpr43
                                        ; implicit-def: $vgpr45
                                        ; implicit-def: $vgpr46
                                        ; implicit-def: $vgpr49
                                        ; implicit-def: $vgpr50
                                        ; implicit-def: $vgpr52
                                        ; implicit-def: $vgpr53
                                        ; implicit-def: $vgpr54
                                        ; implicit-def: $vgpr55
                                        ; implicit-def: $vgpr56
                                        ; implicit-def: $vgpr57
                                        ; implicit-def: $vgpr58
                                        ; implicit-def: $vgpr59
                                        ; implicit-def: $vgpr51
                                        ; implicit-def: $vgpr44
                                        ; implicit-def: $vgpr47
                                        ; implicit-def: $vgpr48
                                        ; implicit-def: $vgpr30
                                        ; implicit-def: $vgpr33
	s_branch .LBB355_74
.LBB355_68:
	s_mov_b32 s1, -1
                                        ; implicit-def: $vgpr32
.LBB355_69:
	v_dual_mov_b32 v34, v5 :: v_dual_mov_b32 v35, v6
	v_dual_mov_b32 v36, v7 :: v_dual_mov_b32 v37, v8
	;; [unrolled: 1-line block ×14, first 2 shown]
	s_and_b32 vcc_lo, exec_lo, s1
	s_cbranch_vccz .LBB355_73
; %bb.70:
	v_mul_u32_u24_e32 v32, 29, v0
	s_waitcnt lgkmcnt(0)
	v_mov_b32_e32 v34, s0
	s_mov_b32 s0, exec_lo
	ds_store_b32 v31, v29
	s_waitcnt lgkmcnt(0)
	s_barrier
	buffer_gl0_inv
	v_cmpx_ne_u32_e32 0, v0
	s_cbranch_execz .LBB355_72
; %bb.71:
	v_add_nc_u32_e32 v30, -4, v31
	ds_load_b32 v34, v30
.LBB355_72:
	s_or_b32 exec_lo, exec_lo, s0
	v_add_nc_u32_e32 v30, 28, v32
	s_mul_i32 s0, s6, 0xfffff180
	v_add_nc_u32_e32 v35, 27, v32
	s_add_i32 s0, s0, s42
	v_add_nc_u32_e32 v36, 26, v32
	v_cmp_gt_u32_e32 vcc_lo, s0, v30
	v_add_nc_u32_e32 v37, 24, v32
	v_add_nc_u32_e32 v60, 2, v32
	;; [unrolled: 1-line block ×3, first 2 shown]
	v_cndmask_b32_e32 v33, 0, v2, vcc_lo
	v_cmp_gt_u32_e32 vcc_lo, s0, v35
	v_dual_cndmask_b32 v30, 0, v1 :: v_dual_add_nc_u32 v35, 25, v32
	v_cmp_gt_u32_e32 vcc_lo, s0, v36
	v_add_nc_u32_e32 v36, 23, v32
	v_cndmask_b32_e32 v48, 0, v4, vcc_lo
	s_delay_alu instid0(VALU_DEP_4)
	v_cmp_gt_u32_e32 vcc_lo, s0, v35
	v_add_nc_u32_e32 v35, 22, v32
	v_cndmask_b32_e32 v47, 0, v3, vcc_lo
	v_cmp_gt_u32_e32 vcc_lo, s0, v37
	v_add_nc_u32_e32 v37, 20, v32
	v_cndmask_b32_e32 v44, 0, v28, vcc_lo
	v_cmp_gt_u32_e32 vcc_lo, s0, v36
	v_dual_cndmask_b32 v51, 0, v27 :: v_dual_add_nc_u32 v36, 21, v32
	v_cmp_gt_u32_e32 vcc_lo, s0, v35
	v_add_nc_u32_e32 v35, 19, v32
	v_cndmask_b32_e32 v59, 0, v26, vcc_lo
	s_delay_alu instid0(VALU_DEP_4)
	v_cmp_gt_u32_e32 vcc_lo, s0, v36
	v_add_nc_u32_e32 v36, 18, v32
	v_cndmask_b32_e32 v58, 0, v25, vcc_lo
	v_cmp_gt_u32_e32 vcc_lo, s0, v37
	v_add_nc_u32_e32 v37, 16, v32
	v_cndmask_b32_e32 v57, 0, v24, vcc_lo
	v_cmp_gt_u32_e32 vcc_lo, s0, v35
	v_dual_cndmask_b32 v56, 0, v23 :: v_dual_add_nc_u32 v35, 17, v32
	v_cmp_gt_u32_e32 vcc_lo, s0, v36
	v_dual_cndmask_b32 v55, 0, v22 :: v_dual_add_nc_u32 v36, 15, v32
	s_delay_alu instid0(VALU_DEP_3)
	v_cmp_gt_u32_e32 vcc_lo, s0, v35
	v_dual_cndmask_b32 v54, 0, v21 :: v_dual_add_nc_u32 v35, 14, v32
	v_cmp_gt_u32_e32 vcc_lo, s0, v37
	v_add_nc_u32_e32 v37, 12, v32
	v_cndmask_b32_e32 v53, 0, v20, vcc_lo
	v_cmp_gt_u32_e32 vcc_lo, s0, v36
	v_add_nc_u32_e32 v36, 13, v32
	v_cndmask_b32_e32 v52, 0, v19, vcc_lo
	v_cmp_gt_u32_e32 vcc_lo, s0, v35
	v_dual_cndmask_b32 v50, 0, v18 :: v_dual_add_nc_u32 v35, 11, v32
	s_delay_alu instid0(VALU_DEP_4)
	v_cmp_gt_u32_e32 vcc_lo, s0, v36
	v_dual_cndmask_b32 v49, 0, v17 :: v_dual_add_nc_u32 v36, 10, v32
	v_cmp_gt_u32_e32 vcc_lo, s0, v37
	v_add_nc_u32_e32 v37, 8, v32
	v_cndmask_b32_e32 v46, 0, v16, vcc_lo
	v_cmp_gt_u32_e32 vcc_lo, s0, v35
	v_add_nc_u32_e32 v35, 9, v32
	v_cndmask_b32_e32 v45, 0, v15, vcc_lo
	v_cmp_gt_u32_e32 vcc_lo, s0, v36
	v_dual_cndmask_b32 v43, 0, v14 :: v_dual_add_nc_u32 v36, 7, v32
	s_delay_alu instid0(VALU_DEP_4)
	v_cmp_gt_u32_e32 vcc_lo, s0, v35
	v_dual_cndmask_b32 v42, 0, v13 :: v_dual_add_nc_u32 v35, 6, v32
	v_cmp_gt_u32_e32 vcc_lo, s0, v37
	v_add_nc_u32_e32 v37, 4, v32
	v_cndmask_b32_e32 v41, 0, v12, vcc_lo
	v_cmp_gt_u32_e32 vcc_lo, s0, v36
	v_add_nc_u32_e32 v36, 5, v32
	v_cndmask_b32_e32 v40, 0, v11, vcc_lo
	;; [unrolled: 3-line block ×3, first 2 shown]
	v_cmp_gt_u32_e32 vcc_lo, s0, v36
	v_cndmask_b32_e32 v38, 0, v9, vcc_lo
	v_cmp_gt_u32_e32 vcc_lo, s0, v37
	v_cndmask_b32_e32 v37, 0, v8, vcc_lo
	;; [unrolled: 2-line block ×3, first 2 shown]
	v_cmp_gt_u32_e32 vcc_lo, s0, v32
	s_waitcnt lgkmcnt(0)
	v_cndmask_b32_e32 v32, 0, v34, vcc_lo
	v_cmp_gt_u32_e32 vcc_lo, s0, v60
	s_delay_alu instid0(VALU_DEP_2)
	v_dual_cndmask_b32 v35, 0, v6 :: v_dual_add_nc_u32 v32, v32, v5
	v_cmp_gt_u32_e32 vcc_lo, s0, v61
	v_cndmask_b32_e32 v34, 0, v5, vcc_lo
.LBB355_73:
	s_waitcnt lgkmcnt(0)
	s_cbranch_execnz .LBB355_84
.LBB355_74:
	v_cmp_ne_u32_e32 vcc_lo, 0, v0
	s_cmp_eq_u64 s[4:5], 1
	s_cbranch_scc1 .LBB355_78
; %bb.75:
	v_mov_b32_e32 v32, v5
	s_mov_b32 s0, 0
	ds_store_b32 v31, v29
	s_waitcnt lgkmcnt(0)
	s_barrier
	buffer_gl0_inv
	s_and_saveexec_b32 s1, vcc_lo
	s_cbranch_execz .LBB355_77
; %bb.76:
	v_add_nc_u32_e32 v30, -4, v31
	ds_load_b32 v30, v30
	s_waitcnt lgkmcnt(0)
	v_add_nc_u32_e32 v32, v30, v5
.LBB355_77:
	s_or_b32 exec_lo, exec_lo, s1
	s_branch .LBB355_79
.LBB355_78:
	s_mov_b32 s0, -1
                                        ; implicit-def: $vgpr32
.LBB355_79:
	v_dual_mov_b32 v35, v6 :: v_dual_mov_b32 v36, v7
	v_dual_mov_b32 v37, v8 :: v_dual_mov_b32 v38, v9
	v_dual_mov_b32 v39, v10 :: v_dual_mov_b32 v40, v11
	v_dual_mov_b32 v41, v12 :: v_dual_mov_b32 v42, v13
	v_dual_mov_b32 v43, v14 :: v_dual_mov_b32 v46, v16
	v_dual_mov_b32 v45, v15 :: v_dual_mov_b32 v50, v18
	v_dual_mov_b32 v49, v17 :: v_dual_mov_b32 v52, v19
	v_dual_mov_b32 v53, v20 :: v_dual_mov_b32 v54, v21
	v_dual_mov_b32 v55, v22 :: v_dual_mov_b32 v56, v23
	v_dual_mov_b32 v57, v24 :: v_dual_mov_b32 v58, v25
	v_dual_mov_b32 v59, v26 :: v_dual_mov_b32 v44, v28
	v_dual_mov_b32 v51, v27 :: v_dual_mov_b32 v48, v4
	v_dual_mov_b32 v47, v3 :: v_dual_mov_b32 v30, v1
	v_mov_b32_e32 v33, v2
	s_and_not1_b32 vcc_lo, exec_lo, s0
	s_cbranch_vccnz .LBB355_83
; %bb.80:
	v_mad_u32_u24 v30, v0, 29, 28
	v_mad_u32_u24 v32, v0, 29, 27
	v_mad_u32_u24 v34, v0, 29, 26
	v_mad_u32_u24 v35, v0, 29, 22
	v_mul_u32_u24_e32 v33, 29, v0
	v_cmp_gt_u32_e32 vcc_lo, s42, v30
	v_mad_u32_u24 v30, v0, 29, 25
	v_cmp_gt_u32_e64 s0, s42, v32
	v_mad_u32_u24 v32, v0, 29, 24
	v_cmp_gt_u32_e64 s1, s42, v34
	;; [unrolled: 2-line block ×5, first 2 shown]
	v_cmp_gt_u32_e64 s5, s42, v35
	v_cmp_gt_u32_e64 s6, s42, v30
	v_mad_u32_u24 v30, v0, 29, 18
	v_cmp_gt_u32_e64 s7, s42, v32
	v_mad_u32_u24 v32, v0, 29, 16
	v_mad_u32_u24 v34, v0, 29, 19
	;; [unrolled: 1-line block ×3, first 2 shown]
	v_cmp_gt_u32_e64 s9, s42, v30
	v_mad_u32_u24 v30, v0, 29, 15
	v_cmp_gt_u32_e64 s11, s42, v32
	v_mad_u32_u24 v32, v0, 29, 13
	v_cmp_gt_u32_e64 s8, s42, v34
	v_cmp_gt_u32_e64 s10, s42, v35
	;; [unrolled: 1-line block ×3, first 2 shown]
	v_mad_u32_u24 v30, v0, 29, 11
	v_mad_u32_u24 v34, v0, 29, 14
	;; [unrolled: 1-line block ×3, first 2 shown]
	v_cmp_gt_u32_e64 s14, s42, v32
	v_mad_u32_u24 v32, v0, 29, 10
	v_cmp_gt_u32_e64 s16, s42, v30
	v_mad_u32_u24 v30, v0, 29, 8
	v_cmp_gt_u32_e64 s13, s42, v34
	v_cmp_gt_u32_e64 s15, s42, v35
	v_mad_u32_u24 v34, v0, 29, 9
	v_mad_u32_u24 v35, v0, 29, 7
	v_cmp_gt_u32_e64 s17, s42, v32
	v_mad_u32_u24 v32, v0, 29, 6
	v_cmp_gt_u32_e64 s19, s42, v30
	;; [unrolled: 2-line block ×3, first 2 shown]
	v_cmp_gt_u32_e64 s20, s42, v35
	v_mad_u32_u24 v34, v0, 29, 4
	v_cmp_gt_u32_e64 s21, s42, v32
	v_mad_u32_u24 v32, v0, 29, 3
	v_mad_u32_u24 v35, v0, 29, 2
	v_cmp_gt_u32_e64 s22, s42, v30
	v_mad_u32_u24 v30, v0, 29, 1
	v_cmp_ne_u32_e64 s27, 0, v0
	v_cmp_gt_u32_e64 s28, s42, v33
	v_cmp_gt_u32_e64 s23, s42, v34
	;; [unrolled: 1-line block ×5, first 2 shown]
	v_mov_b32_e32 v32, v5
	s_and_b32 s28, s27, s28
	ds_store_b32 v31, v29
	s_waitcnt lgkmcnt(0)
	s_barrier
	buffer_gl0_inv
	s_and_saveexec_b32 s27, s28
	s_cbranch_execz .LBB355_82
; %bb.81:
	v_add_nc_u32_e32 v30, -4, v31
	ds_load_b32 v30, v30
	s_waitcnt lgkmcnt(0)
	v_add_nc_u32_e32 v32, v30, v5
.LBB355_82:
	s_or_b32 exec_lo, exec_lo, s27
	v_cndmask_b32_e32 v33, 0, v2, vcc_lo
	v_cndmask_b32_e64 v30, 0, v1, s0
	v_cndmask_b32_e64 v48, 0, v4, s1
	;; [unrolled: 1-line block ×27, first 2 shown]
.LBB355_83:
	s_delay_alu instid0(VALU_DEP_1)
	v_mov_b32_e32 v34, v5
.LBB355_84:
	s_delay_alu instid0(VALU_DEP_2) | instskip(NEXT) | instid1(VALU_DEP_2)
	v_add_nc_u32_e32 v33, v33, v29
	v_add_nc_u32_e32 v34, v34, v6
	;; [unrolled: 1-line block ×28, first 2 shown]
	v_mul_u32_u24_e32 v61, 0x74, v0
	v_mul_i32_i24_e32 v62, 0xffffff90, v0
	s_add_u32 s1, s40, s34
	s_addc_u32 s0, s41, s35
	s_and_b32 vcc_lo, exec_lo, s33
	s_barrier
	buffer_gl0_inv
	s_cbranch_vccz .LBB355_142
; %bb.85:
	v_mad_u32_u24 v1, 0x74, v0, v62
	ds_store_2addr_b32 v61, v32, v34 offset1:1
	ds_store_2addr_b32 v61, v35, v36 offset0:2 offset1:3
	ds_store_2addr_b32 v61, v37, v38 offset0:4 offset1:5
	;; [unrolled: 1-line block ×13, first 2 shown]
	ds_store_b32 v61, v33 offset:112
	s_waitcnt lgkmcnt(0)
	s_barrier
	buffer_gl0_inv
	ds_load_2addr_stride64_b32 v[29:30], v1 offset0:2 offset1:4
	ds_load_2addr_stride64_b32 v[27:28], v1 offset0:6 offset1:8
	;; [unrolled: 1-line block ×14, first 2 shown]
	s_mov_b32 s31, 0
	s_add_i32 s29, s29, s42
	s_lshl_b64 s[2:3], s[30:31], 2
	s_delay_alu instid0(SALU_CYCLE_1) | instskip(SKIP_2) | instid1(VALU_DEP_1)
	s_add_u32 s2, s1, s2
	s_addc_u32 s3, s0, s3
	v_add_co_u32 v3, s2, s2, v31
	v_add_co_ci_u32_e64 v4, null, s3, 0, s2
	s_mov_b32 s2, exec_lo
	v_cmpx_gt_u32_e64 s29, v0
	s_cbranch_execz .LBB355_87
; %bb.86:
	v_add_nc_u32_e32 v63, v61, v62
	ds_load_b32 v63, v63
	s_waitcnt lgkmcnt(0)
	global_store_b32 v[3:4], v63, off
.LBB355_87:
	s_or_b32 exec_lo, exec_lo, s2
	v_or_b32_e32 v63, 0x80, v0
	s_mov_b32 s2, exec_lo
	s_delay_alu instid0(VALU_DEP_1)
	v_cmpx_gt_u32_e64 s29, v63
	s_cbranch_execz .LBB355_89
; %bb.88:
	s_waitcnt lgkmcnt(13)
	global_store_b32 v[3:4], v29, off offset:512
.LBB355_89:
	s_or_b32 exec_lo, exec_lo, s2
	s_waitcnt lgkmcnt(13)
	v_or_b32_e32 v29, 0x100, v0
	s_mov_b32 s2, exec_lo
	s_delay_alu instid0(VALU_DEP_1)
	v_cmpx_gt_u32_e64 s29, v29
	s_cbranch_execz .LBB355_91
; %bb.90:
	global_store_b32 v[3:4], v30, off offset:1024
.LBB355_91:
	s_or_b32 exec_lo, exec_lo, s2
	v_or_b32_e32 v29, 0x180, v0
	s_mov_b32 s2, exec_lo
	s_delay_alu instid0(VALU_DEP_1)
	v_cmpx_gt_u32_e64 s29, v29
	s_cbranch_execz .LBB355_93
; %bb.92:
	s_waitcnt lgkmcnt(12)
	global_store_b32 v[3:4], v27, off offset:1536
.LBB355_93:
	s_or_b32 exec_lo, exec_lo, s2
	s_waitcnt lgkmcnt(12)
	v_or_b32_e32 v27, 0x200, v0
	s_mov_b32 s2, exec_lo
	s_delay_alu instid0(VALU_DEP_1)
	v_cmpx_gt_u32_e64 s29, v27
	s_cbranch_execz .LBB355_95
; %bb.94:
	global_store_b32 v[3:4], v28, off offset:2048
.LBB355_95:
	;; [unrolled: 20-line block ×3, first 2 shown]
	s_or_b32 exec_lo, exec_lo, s2
	v_or_b32_e32 v25, 0x380, v0
	s_mov_b32 s2, exec_lo
	s_delay_alu instid0(VALU_DEP_1)
	v_cmpx_gt_u32_e64 s29, v25
	s_cbranch_execz .LBB355_101
; %bb.100:
	s_waitcnt lgkmcnt(10)
	global_store_b32 v[3:4], v23, off offset:3584
.LBB355_101:
	s_or_b32 exec_lo, exec_lo, s2
	s_waitcnt lgkmcnt(10)
	v_or_b32_e32 v23, 0x400, v0
	s_mov_b32 s2, exec_lo
	s_delay_alu instid0(VALU_DEP_1)
	v_cmpx_gt_u32_e64 s29, v23
	s_cbranch_execz .LBB355_103
; %bb.102:
	v_add_co_u32 v25, vcc_lo, 0x1000, v3
	v_add_co_ci_u32_e32 v26, vcc_lo, 0, v4, vcc_lo
	global_store_b32 v[25:26], v24, off
.LBB355_103:
	s_or_b32 exec_lo, exec_lo, s2
	v_or_b32_e32 v23, 0x480, v0
	s_mov_b32 s2, exec_lo
	s_delay_alu instid0(VALU_DEP_1)
	v_cmpx_gt_u32_e64 s29, v23
	s_cbranch_execz .LBB355_105
; %bb.104:
	v_add_co_u32 v23, vcc_lo, 0x1000, v3
	v_add_co_ci_u32_e32 v24, vcc_lo, 0, v4, vcc_lo
	s_waitcnt lgkmcnt(9)
	global_store_b32 v[23:24], v21, off offset:512
.LBB355_105:
	s_or_b32 exec_lo, exec_lo, s2
	s_waitcnt lgkmcnt(9)
	v_or_b32_e32 v21, 0x500, v0
	s_mov_b32 s2, exec_lo
	s_delay_alu instid0(VALU_DEP_1)
	v_cmpx_gt_u32_e64 s29, v21
	s_cbranch_execz .LBB355_107
; %bb.106:
	v_add_co_u32 v23, vcc_lo, 0x1000, v3
	v_add_co_ci_u32_e32 v24, vcc_lo, 0, v4, vcc_lo
	global_store_b32 v[23:24], v22, off offset:1024
.LBB355_107:
	s_or_b32 exec_lo, exec_lo, s2
	v_or_b32_e32 v21, 0x580, v0
	s_mov_b32 s2, exec_lo
	s_delay_alu instid0(VALU_DEP_1)
	v_cmpx_gt_u32_e64 s29, v21
	s_cbranch_execz .LBB355_109
; %bb.108:
	v_add_co_u32 v21, vcc_lo, 0x1000, v3
	v_add_co_ci_u32_e32 v22, vcc_lo, 0, v4, vcc_lo
	s_waitcnt lgkmcnt(8)
	global_store_b32 v[21:22], v19, off offset:1536
.LBB355_109:
	s_or_b32 exec_lo, exec_lo, s2
	s_waitcnt lgkmcnt(8)
	v_or_b32_e32 v19, 0x600, v0
	s_mov_b32 s2, exec_lo
	s_delay_alu instid0(VALU_DEP_1)
	v_cmpx_gt_u32_e64 s29, v19
	s_cbranch_execz .LBB355_111
; %bb.110:
	v_add_co_u32 v21, vcc_lo, 0x1000, v3
	v_add_co_ci_u32_e32 v22, vcc_lo, 0, v4, vcc_lo
	global_store_b32 v[21:22], v20, off offset:2048
.LBB355_111:
	;; [unrolled: 24-line block ×3, first 2 shown]
	s_or_b32 exec_lo, exec_lo, s2
	v_or_b32_e32 v17, 0x780, v0
	s_mov_b32 s2, exec_lo
	s_delay_alu instid0(VALU_DEP_1)
	v_cmpx_gt_u32_e64 s29, v17
	s_cbranch_execz .LBB355_117
; %bb.116:
	v_add_co_u32 v17, vcc_lo, 0x1000, v3
	v_add_co_ci_u32_e32 v18, vcc_lo, 0, v4, vcc_lo
	s_waitcnt lgkmcnt(6)
	global_store_b32 v[17:18], v15, off offset:3584
.LBB355_117:
	s_or_b32 exec_lo, exec_lo, s2
	s_waitcnt lgkmcnt(6)
	v_or_b32_e32 v15, 0x800, v0
	s_mov_b32 s2, exec_lo
	s_delay_alu instid0(VALU_DEP_1)
	v_cmpx_gt_u32_e64 s29, v15
	s_cbranch_execz .LBB355_119
; %bb.118:
	v_add_co_u32 v17, vcc_lo, 0x2000, v3
	v_add_co_ci_u32_e32 v18, vcc_lo, 0, v4, vcc_lo
	global_store_b32 v[17:18], v16, off
.LBB355_119:
	s_or_b32 exec_lo, exec_lo, s2
	v_or_b32_e32 v15, 0x880, v0
	s_mov_b32 s2, exec_lo
	s_delay_alu instid0(VALU_DEP_1)
	v_cmpx_gt_u32_e64 s29, v15
	s_cbranch_execz .LBB355_121
; %bb.120:
	v_add_co_u32 v15, vcc_lo, 0x2000, v3
	v_add_co_ci_u32_e32 v16, vcc_lo, 0, v4, vcc_lo
	s_waitcnt lgkmcnt(5)
	global_store_b32 v[15:16], v13, off offset:512
.LBB355_121:
	s_or_b32 exec_lo, exec_lo, s2
	s_waitcnt lgkmcnt(5)
	v_or_b32_e32 v13, 0x900, v0
	s_mov_b32 s2, exec_lo
	s_delay_alu instid0(VALU_DEP_1)
	v_cmpx_gt_u32_e64 s29, v13
	s_cbranch_execz .LBB355_123
; %bb.122:
	v_add_co_u32 v15, vcc_lo, 0x2000, v3
	v_add_co_ci_u32_e32 v16, vcc_lo, 0, v4, vcc_lo
	global_store_b32 v[15:16], v14, off offset:1024
.LBB355_123:
	s_or_b32 exec_lo, exec_lo, s2
	v_or_b32_e32 v13, 0x980, v0
	s_mov_b32 s2, exec_lo
	s_delay_alu instid0(VALU_DEP_1)
	v_cmpx_gt_u32_e64 s29, v13
	s_cbranch_execz .LBB355_125
; %bb.124:
	v_add_co_u32 v13, vcc_lo, 0x2000, v3
	v_add_co_ci_u32_e32 v14, vcc_lo, 0, v4, vcc_lo
	s_waitcnt lgkmcnt(4)
	global_store_b32 v[13:14], v11, off offset:1536
.LBB355_125:
	s_or_b32 exec_lo, exec_lo, s2
	s_waitcnt lgkmcnt(4)
	v_or_b32_e32 v11, 0xa00, v0
	s_mov_b32 s2, exec_lo
	s_delay_alu instid0(VALU_DEP_1)
	v_cmpx_gt_u32_e64 s29, v11
	s_cbranch_execz .LBB355_127
; %bb.126:
	v_add_co_u32 v13, vcc_lo, 0x2000, v3
	v_add_co_ci_u32_e32 v14, vcc_lo, 0, v4, vcc_lo
	global_store_b32 v[13:14], v12, off offset:2048
.LBB355_127:
	;; [unrolled: 24-line block ×3, first 2 shown]
	s_or_b32 exec_lo, exec_lo, s2
	v_or_b32_e32 v9, 0xb80, v0
	s_mov_b32 s2, exec_lo
	s_delay_alu instid0(VALU_DEP_1)
	v_cmpx_gt_u32_e64 s29, v9
	s_cbranch_execz .LBB355_133
; %bb.132:
	v_add_co_u32 v9, vcc_lo, 0x2000, v3
	v_add_co_ci_u32_e32 v10, vcc_lo, 0, v4, vcc_lo
	s_waitcnt lgkmcnt(2)
	global_store_b32 v[9:10], v7, off offset:3584
.LBB355_133:
	s_or_b32 exec_lo, exec_lo, s2
	s_waitcnt lgkmcnt(2)
	v_or_b32_e32 v7, 0xc00, v0
	s_mov_b32 s2, exec_lo
	s_delay_alu instid0(VALU_DEP_1)
	v_cmpx_gt_u32_e64 s29, v7
	s_cbranch_execz .LBB355_135
; %bb.134:
	v_add_co_u32 v9, vcc_lo, 0x3000, v3
	v_add_co_ci_u32_e32 v10, vcc_lo, 0, v4, vcc_lo
	global_store_b32 v[9:10], v8, off
.LBB355_135:
	s_or_b32 exec_lo, exec_lo, s2
	v_or_b32_e32 v7, 0xc80, v0
	s_mov_b32 s2, exec_lo
	s_delay_alu instid0(VALU_DEP_1)
	v_cmpx_gt_u32_e64 s29, v7
	s_cbranch_execz .LBB355_137
; %bb.136:
	v_add_co_u32 v7, vcc_lo, 0x3000, v3
	v_add_co_ci_u32_e32 v8, vcc_lo, 0, v4, vcc_lo
	s_waitcnt lgkmcnt(1)
	global_store_b32 v[7:8], v5, off offset:512
.LBB355_137:
	s_or_b32 exec_lo, exec_lo, s2
	s_waitcnt lgkmcnt(1)
	v_or_b32_e32 v5, 0xd00, v0
	s_mov_b32 s2, exec_lo
	s_delay_alu instid0(VALU_DEP_1)
	v_cmpx_gt_u32_e64 s29, v5
	s_cbranch_execz .LBB355_139
; %bb.138:
	v_add_co_u32 v7, vcc_lo, 0x3000, v3
	v_add_co_ci_u32_e32 v8, vcc_lo, 0, v4, vcc_lo
	global_store_b32 v[7:8], v6, off offset:1024
.LBB355_139:
	s_or_b32 exec_lo, exec_lo, s2
	v_or_b32_e32 v5, 0xd80, v0
	s_mov_b32 s2, exec_lo
	s_delay_alu instid0(VALU_DEP_1)
	v_cmpx_gt_u32_e64 s29, v5
	s_cbranch_execz .LBB355_141
; %bb.140:
	v_add_co_u32 v5, vcc_lo, 0x3000, v3
	v_add_co_ci_u32_e32 v6, vcc_lo, 0, v4, vcc_lo
	s_waitcnt lgkmcnt(0)
	global_store_b32 v[5:6], v1, off offset:1536
.LBB355_141:
	s_or_b32 exec_lo, exec_lo, s2
	s_waitcnt lgkmcnt(0)
	v_or_b32_e32 v1, 0xe00, v0
	s_delay_alu instid0(VALU_DEP_1)
	v_cmp_gt_u32_e64 s2, s29, v1
	s_branch .LBB355_144
.LBB355_142:
	s_mov_b32 s2, 0
                                        ; implicit-def: $vgpr2
                                        ; implicit-def: $vgpr3_vgpr4
	s_cbranch_execz .LBB355_144
; %bb.143:
	v_mad_u32_u24 v2, 0x74, v0, v62
	ds_store_2addr_b32 v61, v32, v34 offset1:1
	ds_store_2addr_b32 v61, v35, v36 offset0:2 offset1:3
	ds_store_2addr_b32 v61, v37, v38 offset0:4 offset1:5
	;; [unrolled: 1-line block ×13, first 2 shown]
	ds_store_b32 v61, v33 offset:112
	s_waitcnt lgkmcnt(0)
	s_waitcnt_vscnt null, 0x0
	s_barrier
	buffer_gl0_inv
	ds_load_2addr_stride64_b32 v[0:1], v2 offset1:2
	ds_load_2addr_stride64_b32 v[5:6], v2 offset0:4 offset1:6
	s_mov_b32 s31, 0
	ds_load_2addr_stride64_b32 v[7:8], v2 offset0:8 offset1:10
	ds_load_2addr_stride64_b32 v[9:10], v2 offset0:12 offset1:14
	;; [unrolled: 1-line block ×12, first 2 shown]
	ds_load_b32 v2, v2 offset:14336
	s_lshl_b64 s[4:5], s[30:31], 2
	s_delay_alu instid0(SALU_CYCLE_1) | instskip(SKIP_2) | instid1(VALU_DEP_1)
	s_add_u32 s4, s1, s4
	s_addc_u32 s5, s0, s5
	v_add_co_u32 v3, s0, s4, v31
	v_add_co_ci_u32_e64 v4, null, s5, 0, s0
	s_or_b32 s2, s2, exec_lo
	s_waitcnt lgkmcnt(14)
	global_store_b32 v31, v1, s[4:5] offset:512
	s_waitcnt lgkmcnt(13)
	s_clause 0x1
	global_store_b32 v31, v5, s[4:5] offset:1024
	global_store_b32 v31, v6, s[4:5] offset:1536
	s_waitcnt lgkmcnt(12)
	s_clause 0x1
	global_store_b32 v31, v7, s[4:5] offset:2048
	;; [unrolled: 4-line block ×3, first 2 shown]
	global_store_b32 v31, v10, s[4:5] offset:3584
	v_add_co_u32 v5, vcc_lo, v3, 0x2000
	v_add_co_ci_u32_e32 v6, vcc_lo, 0, v4, vcc_lo
	v_add_co_u32 v7, vcc_lo, 0x3000, v3
	v_add_co_ci_u32_e32 v8, vcc_lo, 0, v4, vcc_lo
	;; [unrolled: 2-line block ×3, first 2 shown]
	v_add_co_u32 v32, vcc_lo, 0x2000, v3
	s_waitcnt lgkmcnt(1)
	s_clause 0x1
	global_store_b32 v[7:8], v29, off offset:1024
	global_store_b32 v[5:6], v11, off offset:-4096
	v_add_co_ci_u32_e32 v33, vcc_lo, 0, v4, vcc_lo
	s_clause 0x12
	global_store_b32 v31, v0, s[4:5]
	global_store_b32 v[5:6], v19, off
	global_store_b32 v[9:10], v12, off offset:512
	global_store_b32 v[9:10], v13, off offset:1024
	;; [unrolled: 1-line block ×14, first 2 shown]
	global_store_b32 v[7:8], v27, off
	global_store_b32 v[7:8], v28, off offset:512
	global_store_b32 v[7:8], v30, off offset:1536
.LBB355_144:
	s_delay_alu instid0(VALU_DEP_1)
	s_and_saveexec_b32 s0, s2
	s_cbranch_execnz .LBB355_146
; %bb.145:
	s_nop 0
	s_sendmsg sendmsg(MSG_DEALLOC_VGPRS)
	s_endpgm
.LBB355_146:
	v_add_co_u32 v0, vcc_lo, 0x3000, v3
	v_add_co_ci_u32_e32 v1, vcc_lo, 0, v4, vcc_lo
	s_waitcnt lgkmcnt(0)
	global_store_b32 v[0:1], v2, off offset:2048
	s_nop 0
	s_sendmsg sendmsg(MSG_DEALLOC_VGPRS)
	s_endpgm
	.section	.rodata,"a",@progbits
	.p2align	6, 0x0
	.amdhsa_kernel _ZN7rocprim17ROCPRIM_400000_NS6detail17trampoline_kernelINS0_14default_configENS1_35adjacent_difference_config_selectorILb1EiEEZNS1_24adjacent_difference_implIS3_Lb1ELb0EPiS7_N6thrust23THRUST_200600_302600_NS4plusIiEEEE10hipError_tPvRmT2_T3_mT4_P12ihipStream_tbEUlT_E_NS1_11comp_targetILNS1_3genE9ELNS1_11target_archE1100ELNS1_3gpuE3ELNS1_3repE0EEENS1_30default_config_static_selectorELNS0_4arch9wavefront6targetE0EEEvT1_
		.amdhsa_group_segment_fixed_size 14848
		.amdhsa_private_segment_fixed_size 0
		.amdhsa_kernarg_size 56
		.amdhsa_user_sgpr_count 15
		.amdhsa_user_sgpr_dispatch_ptr 0
		.amdhsa_user_sgpr_queue_ptr 0
		.amdhsa_user_sgpr_kernarg_segment_ptr 1
		.amdhsa_user_sgpr_dispatch_id 0
		.amdhsa_user_sgpr_private_segment_size 0
		.amdhsa_wavefront_size32 1
		.amdhsa_uses_dynamic_stack 0
		.amdhsa_enable_private_segment 0
		.amdhsa_system_sgpr_workgroup_id_x 1
		.amdhsa_system_sgpr_workgroup_id_y 0
		.amdhsa_system_sgpr_workgroup_id_z 0
		.amdhsa_system_sgpr_workgroup_info 0
		.amdhsa_system_vgpr_workitem_id 0
		.amdhsa_next_free_vgpr 64
		.amdhsa_next_free_sgpr 44
		.amdhsa_reserve_vcc 1
		.amdhsa_float_round_mode_32 0
		.amdhsa_float_round_mode_16_64 0
		.amdhsa_float_denorm_mode_32 3
		.amdhsa_float_denorm_mode_16_64 3
		.amdhsa_dx10_clamp 1
		.amdhsa_ieee_mode 1
		.amdhsa_fp16_overflow 0
		.amdhsa_workgroup_processor_mode 1
		.amdhsa_memory_ordered 1
		.amdhsa_forward_progress 0
		.amdhsa_shared_vgpr_count 0
		.amdhsa_exception_fp_ieee_invalid_op 0
		.amdhsa_exception_fp_denorm_src 0
		.amdhsa_exception_fp_ieee_div_zero 0
		.amdhsa_exception_fp_ieee_overflow 0
		.amdhsa_exception_fp_ieee_underflow 0
		.amdhsa_exception_fp_ieee_inexact 0
		.amdhsa_exception_int_div_zero 0
	.end_amdhsa_kernel
	.section	.text._ZN7rocprim17ROCPRIM_400000_NS6detail17trampoline_kernelINS0_14default_configENS1_35adjacent_difference_config_selectorILb1EiEEZNS1_24adjacent_difference_implIS3_Lb1ELb0EPiS7_N6thrust23THRUST_200600_302600_NS4plusIiEEEE10hipError_tPvRmT2_T3_mT4_P12ihipStream_tbEUlT_E_NS1_11comp_targetILNS1_3genE9ELNS1_11target_archE1100ELNS1_3gpuE3ELNS1_3repE0EEENS1_30default_config_static_selectorELNS0_4arch9wavefront6targetE0EEEvT1_,"axG",@progbits,_ZN7rocprim17ROCPRIM_400000_NS6detail17trampoline_kernelINS0_14default_configENS1_35adjacent_difference_config_selectorILb1EiEEZNS1_24adjacent_difference_implIS3_Lb1ELb0EPiS7_N6thrust23THRUST_200600_302600_NS4plusIiEEEE10hipError_tPvRmT2_T3_mT4_P12ihipStream_tbEUlT_E_NS1_11comp_targetILNS1_3genE9ELNS1_11target_archE1100ELNS1_3gpuE3ELNS1_3repE0EEENS1_30default_config_static_selectorELNS0_4arch9wavefront6targetE0EEEvT1_,comdat
.Lfunc_end355:
	.size	_ZN7rocprim17ROCPRIM_400000_NS6detail17trampoline_kernelINS0_14default_configENS1_35adjacent_difference_config_selectorILb1EiEEZNS1_24adjacent_difference_implIS3_Lb1ELb0EPiS7_N6thrust23THRUST_200600_302600_NS4plusIiEEEE10hipError_tPvRmT2_T3_mT4_P12ihipStream_tbEUlT_E_NS1_11comp_targetILNS1_3genE9ELNS1_11target_archE1100ELNS1_3gpuE3ELNS1_3repE0EEENS1_30default_config_static_selectorELNS0_4arch9wavefront6targetE0EEEvT1_, .Lfunc_end355-_ZN7rocprim17ROCPRIM_400000_NS6detail17trampoline_kernelINS0_14default_configENS1_35adjacent_difference_config_selectorILb1EiEEZNS1_24adjacent_difference_implIS3_Lb1ELb0EPiS7_N6thrust23THRUST_200600_302600_NS4plusIiEEEE10hipError_tPvRmT2_T3_mT4_P12ihipStream_tbEUlT_E_NS1_11comp_targetILNS1_3genE9ELNS1_11target_archE1100ELNS1_3gpuE3ELNS1_3repE0EEENS1_30default_config_static_selectorELNS0_4arch9wavefront6targetE0EEEvT1_
                                        ; -- End function
	.section	.AMDGPU.csdata,"",@progbits
; Kernel info:
; codeLenInByte = 7068
; NumSgprs: 46
; NumVgprs: 64
; ScratchSize: 0
; MemoryBound: 0
; FloatMode: 240
; IeeeMode: 1
; LDSByteSize: 14848 bytes/workgroup (compile time only)
; SGPRBlocks: 5
; VGPRBlocks: 7
; NumSGPRsForWavesPerEU: 46
; NumVGPRsForWavesPerEU: 64
; Occupancy: 8
; WaveLimiterHint : 1
; COMPUTE_PGM_RSRC2:SCRATCH_EN: 0
; COMPUTE_PGM_RSRC2:USER_SGPR: 15
; COMPUTE_PGM_RSRC2:TRAP_HANDLER: 0
; COMPUTE_PGM_RSRC2:TGID_X_EN: 1
; COMPUTE_PGM_RSRC2:TGID_Y_EN: 0
; COMPUTE_PGM_RSRC2:TGID_Z_EN: 0
; COMPUTE_PGM_RSRC2:TIDIG_COMP_CNT: 0
	.section	.text._ZN7rocprim17ROCPRIM_400000_NS6detail17trampoline_kernelINS0_14default_configENS1_35adjacent_difference_config_selectorILb1EiEEZNS1_24adjacent_difference_implIS3_Lb1ELb0EPiS7_N6thrust23THRUST_200600_302600_NS4plusIiEEEE10hipError_tPvRmT2_T3_mT4_P12ihipStream_tbEUlT_E_NS1_11comp_targetILNS1_3genE8ELNS1_11target_archE1030ELNS1_3gpuE2ELNS1_3repE0EEENS1_30default_config_static_selectorELNS0_4arch9wavefront6targetE0EEEvT1_,"axG",@progbits,_ZN7rocprim17ROCPRIM_400000_NS6detail17trampoline_kernelINS0_14default_configENS1_35adjacent_difference_config_selectorILb1EiEEZNS1_24adjacent_difference_implIS3_Lb1ELb0EPiS7_N6thrust23THRUST_200600_302600_NS4plusIiEEEE10hipError_tPvRmT2_T3_mT4_P12ihipStream_tbEUlT_E_NS1_11comp_targetILNS1_3genE8ELNS1_11target_archE1030ELNS1_3gpuE2ELNS1_3repE0EEENS1_30default_config_static_selectorELNS0_4arch9wavefront6targetE0EEEvT1_,comdat
	.protected	_ZN7rocprim17ROCPRIM_400000_NS6detail17trampoline_kernelINS0_14default_configENS1_35adjacent_difference_config_selectorILb1EiEEZNS1_24adjacent_difference_implIS3_Lb1ELb0EPiS7_N6thrust23THRUST_200600_302600_NS4plusIiEEEE10hipError_tPvRmT2_T3_mT4_P12ihipStream_tbEUlT_E_NS1_11comp_targetILNS1_3genE8ELNS1_11target_archE1030ELNS1_3gpuE2ELNS1_3repE0EEENS1_30default_config_static_selectorELNS0_4arch9wavefront6targetE0EEEvT1_ ; -- Begin function _ZN7rocprim17ROCPRIM_400000_NS6detail17trampoline_kernelINS0_14default_configENS1_35adjacent_difference_config_selectorILb1EiEEZNS1_24adjacent_difference_implIS3_Lb1ELb0EPiS7_N6thrust23THRUST_200600_302600_NS4plusIiEEEE10hipError_tPvRmT2_T3_mT4_P12ihipStream_tbEUlT_E_NS1_11comp_targetILNS1_3genE8ELNS1_11target_archE1030ELNS1_3gpuE2ELNS1_3repE0EEENS1_30default_config_static_selectorELNS0_4arch9wavefront6targetE0EEEvT1_
	.globl	_ZN7rocprim17ROCPRIM_400000_NS6detail17trampoline_kernelINS0_14default_configENS1_35adjacent_difference_config_selectorILb1EiEEZNS1_24adjacent_difference_implIS3_Lb1ELb0EPiS7_N6thrust23THRUST_200600_302600_NS4plusIiEEEE10hipError_tPvRmT2_T3_mT4_P12ihipStream_tbEUlT_E_NS1_11comp_targetILNS1_3genE8ELNS1_11target_archE1030ELNS1_3gpuE2ELNS1_3repE0EEENS1_30default_config_static_selectorELNS0_4arch9wavefront6targetE0EEEvT1_
	.p2align	8
	.type	_ZN7rocprim17ROCPRIM_400000_NS6detail17trampoline_kernelINS0_14default_configENS1_35adjacent_difference_config_selectorILb1EiEEZNS1_24adjacent_difference_implIS3_Lb1ELb0EPiS7_N6thrust23THRUST_200600_302600_NS4plusIiEEEE10hipError_tPvRmT2_T3_mT4_P12ihipStream_tbEUlT_E_NS1_11comp_targetILNS1_3genE8ELNS1_11target_archE1030ELNS1_3gpuE2ELNS1_3repE0EEENS1_30default_config_static_selectorELNS0_4arch9wavefront6targetE0EEEvT1_,@function
_ZN7rocprim17ROCPRIM_400000_NS6detail17trampoline_kernelINS0_14default_configENS1_35adjacent_difference_config_selectorILb1EiEEZNS1_24adjacent_difference_implIS3_Lb1ELb0EPiS7_N6thrust23THRUST_200600_302600_NS4plusIiEEEE10hipError_tPvRmT2_T3_mT4_P12ihipStream_tbEUlT_E_NS1_11comp_targetILNS1_3genE8ELNS1_11target_archE1030ELNS1_3gpuE2ELNS1_3repE0EEENS1_30default_config_static_selectorELNS0_4arch9wavefront6targetE0EEEvT1_: ; @_ZN7rocprim17ROCPRIM_400000_NS6detail17trampoline_kernelINS0_14default_configENS1_35adjacent_difference_config_selectorILb1EiEEZNS1_24adjacent_difference_implIS3_Lb1ELb0EPiS7_N6thrust23THRUST_200600_302600_NS4plusIiEEEE10hipError_tPvRmT2_T3_mT4_P12ihipStream_tbEUlT_E_NS1_11comp_targetILNS1_3genE8ELNS1_11target_archE1030ELNS1_3gpuE2ELNS1_3repE0EEENS1_30default_config_static_selectorELNS0_4arch9wavefront6targetE0EEEvT1_
; %bb.0:
	.section	.rodata,"a",@progbits
	.p2align	6, 0x0
	.amdhsa_kernel _ZN7rocprim17ROCPRIM_400000_NS6detail17trampoline_kernelINS0_14default_configENS1_35adjacent_difference_config_selectorILb1EiEEZNS1_24adjacent_difference_implIS3_Lb1ELb0EPiS7_N6thrust23THRUST_200600_302600_NS4plusIiEEEE10hipError_tPvRmT2_T3_mT4_P12ihipStream_tbEUlT_E_NS1_11comp_targetILNS1_3genE8ELNS1_11target_archE1030ELNS1_3gpuE2ELNS1_3repE0EEENS1_30default_config_static_selectorELNS0_4arch9wavefront6targetE0EEEvT1_
		.amdhsa_group_segment_fixed_size 0
		.amdhsa_private_segment_fixed_size 0
		.amdhsa_kernarg_size 56
		.amdhsa_user_sgpr_count 15
		.amdhsa_user_sgpr_dispatch_ptr 0
		.amdhsa_user_sgpr_queue_ptr 0
		.amdhsa_user_sgpr_kernarg_segment_ptr 1
		.amdhsa_user_sgpr_dispatch_id 0
		.amdhsa_user_sgpr_private_segment_size 0
		.amdhsa_wavefront_size32 1
		.amdhsa_uses_dynamic_stack 0
		.amdhsa_enable_private_segment 0
		.amdhsa_system_sgpr_workgroup_id_x 1
		.amdhsa_system_sgpr_workgroup_id_y 0
		.amdhsa_system_sgpr_workgroup_id_z 0
		.amdhsa_system_sgpr_workgroup_info 0
		.amdhsa_system_vgpr_workitem_id 0
		.amdhsa_next_free_vgpr 1
		.amdhsa_next_free_sgpr 1
		.amdhsa_reserve_vcc 0
		.amdhsa_float_round_mode_32 0
		.amdhsa_float_round_mode_16_64 0
		.amdhsa_float_denorm_mode_32 3
		.amdhsa_float_denorm_mode_16_64 3
		.amdhsa_dx10_clamp 1
		.amdhsa_ieee_mode 1
		.amdhsa_fp16_overflow 0
		.amdhsa_workgroup_processor_mode 1
		.amdhsa_memory_ordered 1
		.amdhsa_forward_progress 0
		.amdhsa_shared_vgpr_count 0
		.amdhsa_exception_fp_ieee_invalid_op 0
		.amdhsa_exception_fp_denorm_src 0
		.amdhsa_exception_fp_ieee_div_zero 0
		.amdhsa_exception_fp_ieee_overflow 0
		.amdhsa_exception_fp_ieee_underflow 0
		.amdhsa_exception_fp_ieee_inexact 0
		.amdhsa_exception_int_div_zero 0
	.end_amdhsa_kernel
	.section	.text._ZN7rocprim17ROCPRIM_400000_NS6detail17trampoline_kernelINS0_14default_configENS1_35adjacent_difference_config_selectorILb1EiEEZNS1_24adjacent_difference_implIS3_Lb1ELb0EPiS7_N6thrust23THRUST_200600_302600_NS4plusIiEEEE10hipError_tPvRmT2_T3_mT4_P12ihipStream_tbEUlT_E_NS1_11comp_targetILNS1_3genE8ELNS1_11target_archE1030ELNS1_3gpuE2ELNS1_3repE0EEENS1_30default_config_static_selectorELNS0_4arch9wavefront6targetE0EEEvT1_,"axG",@progbits,_ZN7rocprim17ROCPRIM_400000_NS6detail17trampoline_kernelINS0_14default_configENS1_35adjacent_difference_config_selectorILb1EiEEZNS1_24adjacent_difference_implIS3_Lb1ELb0EPiS7_N6thrust23THRUST_200600_302600_NS4plusIiEEEE10hipError_tPvRmT2_T3_mT4_P12ihipStream_tbEUlT_E_NS1_11comp_targetILNS1_3genE8ELNS1_11target_archE1030ELNS1_3gpuE2ELNS1_3repE0EEENS1_30default_config_static_selectorELNS0_4arch9wavefront6targetE0EEEvT1_,comdat
.Lfunc_end356:
	.size	_ZN7rocprim17ROCPRIM_400000_NS6detail17trampoline_kernelINS0_14default_configENS1_35adjacent_difference_config_selectorILb1EiEEZNS1_24adjacent_difference_implIS3_Lb1ELb0EPiS7_N6thrust23THRUST_200600_302600_NS4plusIiEEEE10hipError_tPvRmT2_T3_mT4_P12ihipStream_tbEUlT_E_NS1_11comp_targetILNS1_3genE8ELNS1_11target_archE1030ELNS1_3gpuE2ELNS1_3repE0EEENS1_30default_config_static_selectorELNS0_4arch9wavefront6targetE0EEEvT1_, .Lfunc_end356-_ZN7rocprim17ROCPRIM_400000_NS6detail17trampoline_kernelINS0_14default_configENS1_35adjacent_difference_config_selectorILb1EiEEZNS1_24adjacent_difference_implIS3_Lb1ELb0EPiS7_N6thrust23THRUST_200600_302600_NS4plusIiEEEE10hipError_tPvRmT2_T3_mT4_P12ihipStream_tbEUlT_E_NS1_11comp_targetILNS1_3genE8ELNS1_11target_archE1030ELNS1_3gpuE2ELNS1_3repE0EEENS1_30default_config_static_selectorELNS0_4arch9wavefront6targetE0EEEvT1_
                                        ; -- End function
	.section	.AMDGPU.csdata,"",@progbits
; Kernel info:
; codeLenInByte = 0
; NumSgprs: 0
; NumVgprs: 0
; ScratchSize: 0
; MemoryBound: 0
; FloatMode: 240
; IeeeMode: 1
; LDSByteSize: 0 bytes/workgroup (compile time only)
; SGPRBlocks: 0
; VGPRBlocks: 0
; NumSGPRsForWavesPerEU: 1
; NumVGPRsForWavesPerEU: 1
; Occupancy: 16
; WaveLimiterHint : 0
; COMPUTE_PGM_RSRC2:SCRATCH_EN: 0
; COMPUTE_PGM_RSRC2:USER_SGPR: 15
; COMPUTE_PGM_RSRC2:TRAP_HANDLER: 0
; COMPUTE_PGM_RSRC2:TGID_X_EN: 1
; COMPUTE_PGM_RSRC2:TGID_Y_EN: 0
; COMPUTE_PGM_RSRC2:TGID_Z_EN: 0
; COMPUTE_PGM_RSRC2:TIDIG_COMP_CNT: 0
	.section	.text._ZN6thrust23THRUST_200600_302600_NS11hip_rocprim14__parallel_for6kernelILj256ENS1_20__uninitialized_fill7functorINS0_10device_ptrIsEEsEEmLj1EEEvT0_T1_SA_,"axG",@progbits,_ZN6thrust23THRUST_200600_302600_NS11hip_rocprim14__parallel_for6kernelILj256ENS1_20__uninitialized_fill7functorINS0_10device_ptrIsEEsEEmLj1EEEvT0_T1_SA_,comdat
	.protected	_ZN6thrust23THRUST_200600_302600_NS11hip_rocprim14__parallel_for6kernelILj256ENS1_20__uninitialized_fill7functorINS0_10device_ptrIsEEsEEmLj1EEEvT0_T1_SA_ ; -- Begin function _ZN6thrust23THRUST_200600_302600_NS11hip_rocprim14__parallel_for6kernelILj256ENS1_20__uninitialized_fill7functorINS0_10device_ptrIsEEsEEmLj1EEEvT0_T1_SA_
	.globl	_ZN6thrust23THRUST_200600_302600_NS11hip_rocprim14__parallel_for6kernelILj256ENS1_20__uninitialized_fill7functorINS0_10device_ptrIsEEsEEmLj1EEEvT0_T1_SA_
	.p2align	8
	.type	_ZN6thrust23THRUST_200600_302600_NS11hip_rocprim14__parallel_for6kernelILj256ENS1_20__uninitialized_fill7functorINS0_10device_ptrIsEEsEEmLj1EEEvT0_T1_SA_,@function
_ZN6thrust23THRUST_200600_302600_NS11hip_rocprim14__parallel_for6kernelILj256ENS1_20__uninitialized_fill7functorINS0_10device_ptrIsEEsEEmLj1EEEvT0_T1_SA_: ; @_ZN6thrust23THRUST_200600_302600_NS11hip_rocprim14__parallel_for6kernelILj256ENS1_20__uninitialized_fill7functorINS0_10device_ptrIsEEsEEmLj1EEEvT0_T1_SA_
; %bb.0:
	s_load_b128 s[4:7], s[0:1], 0x10
	s_lshl_b32 s2, s15, 8
	s_waitcnt lgkmcnt(0)
	s_add_u32 s2, s2, s6
	s_addc_u32 s3, 0, s7
	s_sub_u32 s4, s4, s2
	s_subb_u32 s5, s5, s3
	s_delay_alu instid0(SALU_CYCLE_1) | instskip(NEXT) | instid1(VALU_DEP_1)
	v_cmp_gt_u64_e64 s5, 0x100, s[4:5]
	s_and_b32 vcc_lo, exec_lo, s5
	s_mov_b32 s5, 0
	s_cbranch_vccz .LBB357_2
; %bb.1:
	v_cmp_gt_u32_e32 vcc_lo, s4, v0
	s_and_b32 s5, vcc_lo, exec_lo
	s_cbranch_execz .LBB357_3
	s_branch .LBB357_4
.LBB357_2:
.LBB357_3:
	s_or_b32 s5, s5, exec_lo
.LBB357_4:
	s_delay_alu instid0(SALU_CYCLE_1)
	s_and_saveexec_b32 s4, s5
	s_cbranch_execnz .LBB357_6
; %bb.5:
	s_endpgm
.LBB357_6:
	s_clause 0x1
	s_load_b64 s[4:5], s[0:1], 0x0
	s_load_b32 s6, s[0:1], 0x8
	v_mov_b32_e32 v1, 0
	s_lshl_b64 s[0:1], s[2:3], 1
	s_waitcnt lgkmcnt(0)
	s_add_u32 s0, s4, s0
	v_mov_b32_e32 v2, s6
	v_lshlrev_b64 v[0:1], 1, v[0:1]
	s_addc_u32 s1, s5, s1
	s_delay_alu instid0(VALU_DEP_1) | instskip(NEXT) | instid1(VALU_DEP_2)
	v_add_co_u32 v0, vcc_lo, s0, v0
	v_add_co_ci_u32_e32 v1, vcc_lo, s1, v1, vcc_lo
	flat_store_b16 v[0:1], v2
	s_endpgm
	.section	.rodata,"a",@progbits
	.p2align	6, 0x0
	.amdhsa_kernel _ZN6thrust23THRUST_200600_302600_NS11hip_rocprim14__parallel_for6kernelILj256ENS1_20__uninitialized_fill7functorINS0_10device_ptrIsEEsEEmLj1EEEvT0_T1_SA_
		.amdhsa_group_segment_fixed_size 0
		.amdhsa_private_segment_fixed_size 0
		.amdhsa_kernarg_size 32
		.amdhsa_user_sgpr_count 15
		.amdhsa_user_sgpr_dispatch_ptr 0
		.amdhsa_user_sgpr_queue_ptr 0
		.amdhsa_user_sgpr_kernarg_segment_ptr 1
		.amdhsa_user_sgpr_dispatch_id 0
		.amdhsa_user_sgpr_private_segment_size 0
		.amdhsa_wavefront_size32 1
		.amdhsa_uses_dynamic_stack 0
		.amdhsa_enable_private_segment 0
		.amdhsa_system_sgpr_workgroup_id_x 1
		.amdhsa_system_sgpr_workgroup_id_y 0
		.amdhsa_system_sgpr_workgroup_id_z 0
		.amdhsa_system_sgpr_workgroup_info 0
		.amdhsa_system_vgpr_workitem_id 0
		.amdhsa_next_free_vgpr 3
		.amdhsa_next_free_sgpr 16
		.amdhsa_reserve_vcc 1
		.amdhsa_float_round_mode_32 0
		.amdhsa_float_round_mode_16_64 0
		.amdhsa_float_denorm_mode_32 3
		.amdhsa_float_denorm_mode_16_64 3
		.amdhsa_dx10_clamp 1
		.amdhsa_ieee_mode 1
		.amdhsa_fp16_overflow 0
		.amdhsa_workgroup_processor_mode 1
		.amdhsa_memory_ordered 1
		.amdhsa_forward_progress 0
		.amdhsa_shared_vgpr_count 0
		.amdhsa_exception_fp_ieee_invalid_op 0
		.amdhsa_exception_fp_denorm_src 0
		.amdhsa_exception_fp_ieee_div_zero 0
		.amdhsa_exception_fp_ieee_overflow 0
		.amdhsa_exception_fp_ieee_underflow 0
		.amdhsa_exception_fp_ieee_inexact 0
		.amdhsa_exception_int_div_zero 0
	.end_amdhsa_kernel
	.section	.text._ZN6thrust23THRUST_200600_302600_NS11hip_rocprim14__parallel_for6kernelILj256ENS1_20__uninitialized_fill7functorINS0_10device_ptrIsEEsEEmLj1EEEvT0_T1_SA_,"axG",@progbits,_ZN6thrust23THRUST_200600_302600_NS11hip_rocprim14__parallel_for6kernelILj256ENS1_20__uninitialized_fill7functorINS0_10device_ptrIsEEsEEmLj1EEEvT0_T1_SA_,comdat
.Lfunc_end357:
	.size	_ZN6thrust23THRUST_200600_302600_NS11hip_rocprim14__parallel_for6kernelILj256ENS1_20__uninitialized_fill7functorINS0_10device_ptrIsEEsEEmLj1EEEvT0_T1_SA_, .Lfunc_end357-_ZN6thrust23THRUST_200600_302600_NS11hip_rocprim14__parallel_for6kernelILj256ENS1_20__uninitialized_fill7functorINS0_10device_ptrIsEEsEEmLj1EEEvT0_T1_SA_
                                        ; -- End function
	.section	.AMDGPU.csdata,"",@progbits
; Kernel info:
; codeLenInByte = 176
; NumSgprs: 18
; NumVgprs: 3
; ScratchSize: 0
; MemoryBound: 0
; FloatMode: 240
; IeeeMode: 1
; LDSByteSize: 0 bytes/workgroup (compile time only)
; SGPRBlocks: 2
; VGPRBlocks: 0
; NumSGPRsForWavesPerEU: 18
; NumVGPRsForWavesPerEU: 3
; Occupancy: 16
; WaveLimiterHint : 0
; COMPUTE_PGM_RSRC2:SCRATCH_EN: 0
; COMPUTE_PGM_RSRC2:USER_SGPR: 15
; COMPUTE_PGM_RSRC2:TRAP_HANDLER: 0
; COMPUTE_PGM_RSRC2:TGID_X_EN: 1
; COMPUTE_PGM_RSRC2:TGID_Y_EN: 0
; COMPUTE_PGM_RSRC2:TGID_Z_EN: 0
; COMPUTE_PGM_RSRC2:TIDIG_COMP_CNT: 0
	.section	.text._ZN7rocprim17ROCPRIM_400000_NS6detail17trampoline_kernelINS0_14default_configENS1_35adjacent_difference_config_selectorILb0EsEEZNS1_24adjacent_difference_implIS3_Lb0ELb0EPsS7_N6thrust23THRUST_200600_302600_NS5minusIsEEEE10hipError_tPvRmT2_T3_mT4_P12ihipStream_tbEUlT_E_NS1_11comp_targetILNS1_3genE0ELNS1_11target_archE4294967295ELNS1_3gpuE0ELNS1_3repE0EEENS1_30default_config_static_selectorELNS0_4arch9wavefront6targetE0EEEvT1_,"axG",@progbits,_ZN7rocprim17ROCPRIM_400000_NS6detail17trampoline_kernelINS0_14default_configENS1_35adjacent_difference_config_selectorILb0EsEEZNS1_24adjacent_difference_implIS3_Lb0ELb0EPsS7_N6thrust23THRUST_200600_302600_NS5minusIsEEEE10hipError_tPvRmT2_T3_mT4_P12ihipStream_tbEUlT_E_NS1_11comp_targetILNS1_3genE0ELNS1_11target_archE4294967295ELNS1_3gpuE0ELNS1_3repE0EEENS1_30default_config_static_selectorELNS0_4arch9wavefront6targetE0EEEvT1_,comdat
	.protected	_ZN7rocprim17ROCPRIM_400000_NS6detail17trampoline_kernelINS0_14default_configENS1_35adjacent_difference_config_selectorILb0EsEEZNS1_24adjacent_difference_implIS3_Lb0ELb0EPsS7_N6thrust23THRUST_200600_302600_NS5minusIsEEEE10hipError_tPvRmT2_T3_mT4_P12ihipStream_tbEUlT_E_NS1_11comp_targetILNS1_3genE0ELNS1_11target_archE4294967295ELNS1_3gpuE0ELNS1_3repE0EEENS1_30default_config_static_selectorELNS0_4arch9wavefront6targetE0EEEvT1_ ; -- Begin function _ZN7rocprim17ROCPRIM_400000_NS6detail17trampoline_kernelINS0_14default_configENS1_35adjacent_difference_config_selectorILb0EsEEZNS1_24adjacent_difference_implIS3_Lb0ELb0EPsS7_N6thrust23THRUST_200600_302600_NS5minusIsEEEE10hipError_tPvRmT2_T3_mT4_P12ihipStream_tbEUlT_E_NS1_11comp_targetILNS1_3genE0ELNS1_11target_archE4294967295ELNS1_3gpuE0ELNS1_3repE0EEENS1_30default_config_static_selectorELNS0_4arch9wavefront6targetE0EEEvT1_
	.globl	_ZN7rocprim17ROCPRIM_400000_NS6detail17trampoline_kernelINS0_14default_configENS1_35adjacent_difference_config_selectorILb0EsEEZNS1_24adjacent_difference_implIS3_Lb0ELb0EPsS7_N6thrust23THRUST_200600_302600_NS5minusIsEEEE10hipError_tPvRmT2_T3_mT4_P12ihipStream_tbEUlT_E_NS1_11comp_targetILNS1_3genE0ELNS1_11target_archE4294967295ELNS1_3gpuE0ELNS1_3repE0EEENS1_30default_config_static_selectorELNS0_4arch9wavefront6targetE0EEEvT1_
	.p2align	8
	.type	_ZN7rocprim17ROCPRIM_400000_NS6detail17trampoline_kernelINS0_14default_configENS1_35adjacent_difference_config_selectorILb0EsEEZNS1_24adjacent_difference_implIS3_Lb0ELb0EPsS7_N6thrust23THRUST_200600_302600_NS5minusIsEEEE10hipError_tPvRmT2_T3_mT4_P12ihipStream_tbEUlT_E_NS1_11comp_targetILNS1_3genE0ELNS1_11target_archE4294967295ELNS1_3gpuE0ELNS1_3repE0EEENS1_30default_config_static_selectorELNS0_4arch9wavefront6targetE0EEEvT1_,@function
_ZN7rocprim17ROCPRIM_400000_NS6detail17trampoline_kernelINS0_14default_configENS1_35adjacent_difference_config_selectorILb0EsEEZNS1_24adjacent_difference_implIS3_Lb0ELb0EPsS7_N6thrust23THRUST_200600_302600_NS5minusIsEEEE10hipError_tPvRmT2_T3_mT4_P12ihipStream_tbEUlT_E_NS1_11comp_targetILNS1_3genE0ELNS1_11target_archE4294967295ELNS1_3gpuE0ELNS1_3repE0EEENS1_30default_config_static_selectorELNS0_4arch9wavefront6targetE0EEEvT1_: ; @_ZN7rocprim17ROCPRIM_400000_NS6detail17trampoline_kernelINS0_14default_configENS1_35adjacent_difference_config_selectorILb0EsEEZNS1_24adjacent_difference_implIS3_Lb0ELb0EPsS7_N6thrust23THRUST_200600_302600_NS5minusIsEEEE10hipError_tPvRmT2_T3_mT4_P12ihipStream_tbEUlT_E_NS1_11comp_targetILNS1_3genE0ELNS1_11target_archE4294967295ELNS1_3gpuE0ELNS1_3repE0EEENS1_30default_config_static_selectorELNS0_4arch9wavefront6targetE0EEEvT1_
; %bb.0:
	.section	.rodata,"a",@progbits
	.p2align	6, 0x0
	.amdhsa_kernel _ZN7rocprim17ROCPRIM_400000_NS6detail17trampoline_kernelINS0_14default_configENS1_35adjacent_difference_config_selectorILb0EsEEZNS1_24adjacent_difference_implIS3_Lb0ELb0EPsS7_N6thrust23THRUST_200600_302600_NS5minusIsEEEE10hipError_tPvRmT2_T3_mT4_P12ihipStream_tbEUlT_E_NS1_11comp_targetILNS1_3genE0ELNS1_11target_archE4294967295ELNS1_3gpuE0ELNS1_3repE0EEENS1_30default_config_static_selectorELNS0_4arch9wavefront6targetE0EEEvT1_
		.amdhsa_group_segment_fixed_size 0
		.amdhsa_private_segment_fixed_size 0
		.amdhsa_kernarg_size 56
		.amdhsa_user_sgpr_count 15
		.amdhsa_user_sgpr_dispatch_ptr 0
		.amdhsa_user_sgpr_queue_ptr 0
		.amdhsa_user_sgpr_kernarg_segment_ptr 1
		.amdhsa_user_sgpr_dispatch_id 0
		.amdhsa_user_sgpr_private_segment_size 0
		.amdhsa_wavefront_size32 1
		.amdhsa_uses_dynamic_stack 0
		.amdhsa_enable_private_segment 0
		.amdhsa_system_sgpr_workgroup_id_x 1
		.amdhsa_system_sgpr_workgroup_id_y 0
		.amdhsa_system_sgpr_workgroup_id_z 0
		.amdhsa_system_sgpr_workgroup_info 0
		.amdhsa_system_vgpr_workitem_id 0
		.amdhsa_next_free_vgpr 1
		.amdhsa_next_free_sgpr 1
		.amdhsa_reserve_vcc 0
		.amdhsa_float_round_mode_32 0
		.amdhsa_float_round_mode_16_64 0
		.amdhsa_float_denorm_mode_32 3
		.amdhsa_float_denorm_mode_16_64 3
		.amdhsa_dx10_clamp 1
		.amdhsa_ieee_mode 1
		.amdhsa_fp16_overflow 0
		.amdhsa_workgroup_processor_mode 1
		.amdhsa_memory_ordered 1
		.amdhsa_forward_progress 0
		.amdhsa_shared_vgpr_count 0
		.amdhsa_exception_fp_ieee_invalid_op 0
		.amdhsa_exception_fp_denorm_src 0
		.amdhsa_exception_fp_ieee_div_zero 0
		.amdhsa_exception_fp_ieee_overflow 0
		.amdhsa_exception_fp_ieee_underflow 0
		.amdhsa_exception_fp_ieee_inexact 0
		.amdhsa_exception_int_div_zero 0
	.end_amdhsa_kernel
	.section	.text._ZN7rocprim17ROCPRIM_400000_NS6detail17trampoline_kernelINS0_14default_configENS1_35adjacent_difference_config_selectorILb0EsEEZNS1_24adjacent_difference_implIS3_Lb0ELb0EPsS7_N6thrust23THRUST_200600_302600_NS5minusIsEEEE10hipError_tPvRmT2_T3_mT4_P12ihipStream_tbEUlT_E_NS1_11comp_targetILNS1_3genE0ELNS1_11target_archE4294967295ELNS1_3gpuE0ELNS1_3repE0EEENS1_30default_config_static_selectorELNS0_4arch9wavefront6targetE0EEEvT1_,"axG",@progbits,_ZN7rocprim17ROCPRIM_400000_NS6detail17trampoline_kernelINS0_14default_configENS1_35adjacent_difference_config_selectorILb0EsEEZNS1_24adjacent_difference_implIS3_Lb0ELb0EPsS7_N6thrust23THRUST_200600_302600_NS5minusIsEEEE10hipError_tPvRmT2_T3_mT4_P12ihipStream_tbEUlT_E_NS1_11comp_targetILNS1_3genE0ELNS1_11target_archE4294967295ELNS1_3gpuE0ELNS1_3repE0EEENS1_30default_config_static_selectorELNS0_4arch9wavefront6targetE0EEEvT1_,comdat
.Lfunc_end358:
	.size	_ZN7rocprim17ROCPRIM_400000_NS6detail17trampoline_kernelINS0_14default_configENS1_35adjacent_difference_config_selectorILb0EsEEZNS1_24adjacent_difference_implIS3_Lb0ELb0EPsS7_N6thrust23THRUST_200600_302600_NS5minusIsEEEE10hipError_tPvRmT2_T3_mT4_P12ihipStream_tbEUlT_E_NS1_11comp_targetILNS1_3genE0ELNS1_11target_archE4294967295ELNS1_3gpuE0ELNS1_3repE0EEENS1_30default_config_static_selectorELNS0_4arch9wavefront6targetE0EEEvT1_, .Lfunc_end358-_ZN7rocprim17ROCPRIM_400000_NS6detail17trampoline_kernelINS0_14default_configENS1_35adjacent_difference_config_selectorILb0EsEEZNS1_24adjacent_difference_implIS3_Lb0ELb0EPsS7_N6thrust23THRUST_200600_302600_NS5minusIsEEEE10hipError_tPvRmT2_T3_mT4_P12ihipStream_tbEUlT_E_NS1_11comp_targetILNS1_3genE0ELNS1_11target_archE4294967295ELNS1_3gpuE0ELNS1_3repE0EEENS1_30default_config_static_selectorELNS0_4arch9wavefront6targetE0EEEvT1_
                                        ; -- End function
	.section	.AMDGPU.csdata,"",@progbits
; Kernel info:
; codeLenInByte = 0
; NumSgprs: 0
; NumVgprs: 0
; ScratchSize: 0
; MemoryBound: 0
; FloatMode: 240
; IeeeMode: 1
; LDSByteSize: 0 bytes/workgroup (compile time only)
; SGPRBlocks: 0
; VGPRBlocks: 0
; NumSGPRsForWavesPerEU: 1
; NumVGPRsForWavesPerEU: 1
; Occupancy: 16
; WaveLimiterHint : 0
; COMPUTE_PGM_RSRC2:SCRATCH_EN: 0
; COMPUTE_PGM_RSRC2:USER_SGPR: 15
; COMPUTE_PGM_RSRC2:TRAP_HANDLER: 0
; COMPUTE_PGM_RSRC2:TGID_X_EN: 1
; COMPUTE_PGM_RSRC2:TGID_Y_EN: 0
; COMPUTE_PGM_RSRC2:TGID_Z_EN: 0
; COMPUTE_PGM_RSRC2:TIDIG_COMP_CNT: 0
	.section	.text._ZN7rocprim17ROCPRIM_400000_NS6detail17trampoline_kernelINS0_14default_configENS1_35adjacent_difference_config_selectorILb0EsEEZNS1_24adjacent_difference_implIS3_Lb0ELb0EPsS7_N6thrust23THRUST_200600_302600_NS5minusIsEEEE10hipError_tPvRmT2_T3_mT4_P12ihipStream_tbEUlT_E_NS1_11comp_targetILNS1_3genE10ELNS1_11target_archE1201ELNS1_3gpuE5ELNS1_3repE0EEENS1_30default_config_static_selectorELNS0_4arch9wavefront6targetE0EEEvT1_,"axG",@progbits,_ZN7rocprim17ROCPRIM_400000_NS6detail17trampoline_kernelINS0_14default_configENS1_35adjacent_difference_config_selectorILb0EsEEZNS1_24adjacent_difference_implIS3_Lb0ELb0EPsS7_N6thrust23THRUST_200600_302600_NS5minusIsEEEE10hipError_tPvRmT2_T3_mT4_P12ihipStream_tbEUlT_E_NS1_11comp_targetILNS1_3genE10ELNS1_11target_archE1201ELNS1_3gpuE5ELNS1_3repE0EEENS1_30default_config_static_selectorELNS0_4arch9wavefront6targetE0EEEvT1_,comdat
	.protected	_ZN7rocprim17ROCPRIM_400000_NS6detail17trampoline_kernelINS0_14default_configENS1_35adjacent_difference_config_selectorILb0EsEEZNS1_24adjacent_difference_implIS3_Lb0ELb0EPsS7_N6thrust23THRUST_200600_302600_NS5minusIsEEEE10hipError_tPvRmT2_T3_mT4_P12ihipStream_tbEUlT_E_NS1_11comp_targetILNS1_3genE10ELNS1_11target_archE1201ELNS1_3gpuE5ELNS1_3repE0EEENS1_30default_config_static_selectorELNS0_4arch9wavefront6targetE0EEEvT1_ ; -- Begin function _ZN7rocprim17ROCPRIM_400000_NS6detail17trampoline_kernelINS0_14default_configENS1_35adjacent_difference_config_selectorILb0EsEEZNS1_24adjacent_difference_implIS3_Lb0ELb0EPsS7_N6thrust23THRUST_200600_302600_NS5minusIsEEEE10hipError_tPvRmT2_T3_mT4_P12ihipStream_tbEUlT_E_NS1_11comp_targetILNS1_3genE10ELNS1_11target_archE1201ELNS1_3gpuE5ELNS1_3repE0EEENS1_30default_config_static_selectorELNS0_4arch9wavefront6targetE0EEEvT1_
	.globl	_ZN7rocprim17ROCPRIM_400000_NS6detail17trampoline_kernelINS0_14default_configENS1_35adjacent_difference_config_selectorILb0EsEEZNS1_24adjacent_difference_implIS3_Lb0ELb0EPsS7_N6thrust23THRUST_200600_302600_NS5minusIsEEEE10hipError_tPvRmT2_T3_mT4_P12ihipStream_tbEUlT_E_NS1_11comp_targetILNS1_3genE10ELNS1_11target_archE1201ELNS1_3gpuE5ELNS1_3repE0EEENS1_30default_config_static_selectorELNS0_4arch9wavefront6targetE0EEEvT1_
	.p2align	8
	.type	_ZN7rocprim17ROCPRIM_400000_NS6detail17trampoline_kernelINS0_14default_configENS1_35adjacent_difference_config_selectorILb0EsEEZNS1_24adjacent_difference_implIS3_Lb0ELb0EPsS7_N6thrust23THRUST_200600_302600_NS5minusIsEEEE10hipError_tPvRmT2_T3_mT4_P12ihipStream_tbEUlT_E_NS1_11comp_targetILNS1_3genE10ELNS1_11target_archE1201ELNS1_3gpuE5ELNS1_3repE0EEENS1_30default_config_static_selectorELNS0_4arch9wavefront6targetE0EEEvT1_,@function
_ZN7rocprim17ROCPRIM_400000_NS6detail17trampoline_kernelINS0_14default_configENS1_35adjacent_difference_config_selectorILb0EsEEZNS1_24adjacent_difference_implIS3_Lb0ELb0EPsS7_N6thrust23THRUST_200600_302600_NS5minusIsEEEE10hipError_tPvRmT2_T3_mT4_P12ihipStream_tbEUlT_E_NS1_11comp_targetILNS1_3genE10ELNS1_11target_archE1201ELNS1_3gpuE5ELNS1_3repE0EEENS1_30default_config_static_selectorELNS0_4arch9wavefront6targetE0EEEvT1_: ; @_ZN7rocprim17ROCPRIM_400000_NS6detail17trampoline_kernelINS0_14default_configENS1_35adjacent_difference_config_selectorILb0EsEEZNS1_24adjacent_difference_implIS3_Lb0ELb0EPsS7_N6thrust23THRUST_200600_302600_NS5minusIsEEEE10hipError_tPvRmT2_T3_mT4_P12ihipStream_tbEUlT_E_NS1_11comp_targetILNS1_3genE10ELNS1_11target_archE1201ELNS1_3gpuE5ELNS1_3repE0EEENS1_30default_config_static_selectorELNS0_4arch9wavefront6targetE0EEEvT1_
; %bb.0:
	.section	.rodata,"a",@progbits
	.p2align	6, 0x0
	.amdhsa_kernel _ZN7rocprim17ROCPRIM_400000_NS6detail17trampoline_kernelINS0_14default_configENS1_35adjacent_difference_config_selectorILb0EsEEZNS1_24adjacent_difference_implIS3_Lb0ELb0EPsS7_N6thrust23THRUST_200600_302600_NS5minusIsEEEE10hipError_tPvRmT2_T3_mT4_P12ihipStream_tbEUlT_E_NS1_11comp_targetILNS1_3genE10ELNS1_11target_archE1201ELNS1_3gpuE5ELNS1_3repE0EEENS1_30default_config_static_selectorELNS0_4arch9wavefront6targetE0EEEvT1_
		.amdhsa_group_segment_fixed_size 0
		.amdhsa_private_segment_fixed_size 0
		.amdhsa_kernarg_size 56
		.amdhsa_user_sgpr_count 15
		.amdhsa_user_sgpr_dispatch_ptr 0
		.amdhsa_user_sgpr_queue_ptr 0
		.amdhsa_user_sgpr_kernarg_segment_ptr 1
		.amdhsa_user_sgpr_dispatch_id 0
		.amdhsa_user_sgpr_private_segment_size 0
		.amdhsa_wavefront_size32 1
		.amdhsa_uses_dynamic_stack 0
		.amdhsa_enable_private_segment 0
		.amdhsa_system_sgpr_workgroup_id_x 1
		.amdhsa_system_sgpr_workgroup_id_y 0
		.amdhsa_system_sgpr_workgroup_id_z 0
		.amdhsa_system_sgpr_workgroup_info 0
		.amdhsa_system_vgpr_workitem_id 0
		.amdhsa_next_free_vgpr 1
		.amdhsa_next_free_sgpr 1
		.amdhsa_reserve_vcc 0
		.amdhsa_float_round_mode_32 0
		.amdhsa_float_round_mode_16_64 0
		.amdhsa_float_denorm_mode_32 3
		.amdhsa_float_denorm_mode_16_64 3
		.amdhsa_dx10_clamp 1
		.amdhsa_ieee_mode 1
		.amdhsa_fp16_overflow 0
		.amdhsa_workgroup_processor_mode 1
		.amdhsa_memory_ordered 1
		.amdhsa_forward_progress 0
		.amdhsa_shared_vgpr_count 0
		.amdhsa_exception_fp_ieee_invalid_op 0
		.amdhsa_exception_fp_denorm_src 0
		.amdhsa_exception_fp_ieee_div_zero 0
		.amdhsa_exception_fp_ieee_overflow 0
		.amdhsa_exception_fp_ieee_underflow 0
		.amdhsa_exception_fp_ieee_inexact 0
		.amdhsa_exception_int_div_zero 0
	.end_amdhsa_kernel
	.section	.text._ZN7rocprim17ROCPRIM_400000_NS6detail17trampoline_kernelINS0_14default_configENS1_35adjacent_difference_config_selectorILb0EsEEZNS1_24adjacent_difference_implIS3_Lb0ELb0EPsS7_N6thrust23THRUST_200600_302600_NS5minusIsEEEE10hipError_tPvRmT2_T3_mT4_P12ihipStream_tbEUlT_E_NS1_11comp_targetILNS1_3genE10ELNS1_11target_archE1201ELNS1_3gpuE5ELNS1_3repE0EEENS1_30default_config_static_selectorELNS0_4arch9wavefront6targetE0EEEvT1_,"axG",@progbits,_ZN7rocprim17ROCPRIM_400000_NS6detail17trampoline_kernelINS0_14default_configENS1_35adjacent_difference_config_selectorILb0EsEEZNS1_24adjacent_difference_implIS3_Lb0ELb0EPsS7_N6thrust23THRUST_200600_302600_NS5minusIsEEEE10hipError_tPvRmT2_T3_mT4_P12ihipStream_tbEUlT_E_NS1_11comp_targetILNS1_3genE10ELNS1_11target_archE1201ELNS1_3gpuE5ELNS1_3repE0EEENS1_30default_config_static_selectorELNS0_4arch9wavefront6targetE0EEEvT1_,comdat
.Lfunc_end359:
	.size	_ZN7rocprim17ROCPRIM_400000_NS6detail17trampoline_kernelINS0_14default_configENS1_35adjacent_difference_config_selectorILb0EsEEZNS1_24adjacent_difference_implIS3_Lb0ELb0EPsS7_N6thrust23THRUST_200600_302600_NS5minusIsEEEE10hipError_tPvRmT2_T3_mT4_P12ihipStream_tbEUlT_E_NS1_11comp_targetILNS1_3genE10ELNS1_11target_archE1201ELNS1_3gpuE5ELNS1_3repE0EEENS1_30default_config_static_selectorELNS0_4arch9wavefront6targetE0EEEvT1_, .Lfunc_end359-_ZN7rocprim17ROCPRIM_400000_NS6detail17trampoline_kernelINS0_14default_configENS1_35adjacent_difference_config_selectorILb0EsEEZNS1_24adjacent_difference_implIS3_Lb0ELb0EPsS7_N6thrust23THRUST_200600_302600_NS5minusIsEEEE10hipError_tPvRmT2_T3_mT4_P12ihipStream_tbEUlT_E_NS1_11comp_targetILNS1_3genE10ELNS1_11target_archE1201ELNS1_3gpuE5ELNS1_3repE0EEENS1_30default_config_static_selectorELNS0_4arch9wavefront6targetE0EEEvT1_
                                        ; -- End function
	.section	.AMDGPU.csdata,"",@progbits
; Kernel info:
; codeLenInByte = 0
; NumSgprs: 0
; NumVgprs: 0
; ScratchSize: 0
; MemoryBound: 0
; FloatMode: 240
; IeeeMode: 1
; LDSByteSize: 0 bytes/workgroup (compile time only)
; SGPRBlocks: 0
; VGPRBlocks: 0
; NumSGPRsForWavesPerEU: 1
; NumVGPRsForWavesPerEU: 1
; Occupancy: 16
; WaveLimiterHint : 0
; COMPUTE_PGM_RSRC2:SCRATCH_EN: 0
; COMPUTE_PGM_RSRC2:USER_SGPR: 15
; COMPUTE_PGM_RSRC2:TRAP_HANDLER: 0
; COMPUTE_PGM_RSRC2:TGID_X_EN: 1
; COMPUTE_PGM_RSRC2:TGID_Y_EN: 0
; COMPUTE_PGM_RSRC2:TGID_Z_EN: 0
; COMPUTE_PGM_RSRC2:TIDIG_COMP_CNT: 0
	.section	.text._ZN7rocprim17ROCPRIM_400000_NS6detail17trampoline_kernelINS0_14default_configENS1_35adjacent_difference_config_selectorILb0EsEEZNS1_24adjacent_difference_implIS3_Lb0ELb0EPsS7_N6thrust23THRUST_200600_302600_NS5minusIsEEEE10hipError_tPvRmT2_T3_mT4_P12ihipStream_tbEUlT_E_NS1_11comp_targetILNS1_3genE5ELNS1_11target_archE942ELNS1_3gpuE9ELNS1_3repE0EEENS1_30default_config_static_selectorELNS0_4arch9wavefront6targetE0EEEvT1_,"axG",@progbits,_ZN7rocprim17ROCPRIM_400000_NS6detail17trampoline_kernelINS0_14default_configENS1_35adjacent_difference_config_selectorILb0EsEEZNS1_24adjacent_difference_implIS3_Lb0ELb0EPsS7_N6thrust23THRUST_200600_302600_NS5minusIsEEEE10hipError_tPvRmT2_T3_mT4_P12ihipStream_tbEUlT_E_NS1_11comp_targetILNS1_3genE5ELNS1_11target_archE942ELNS1_3gpuE9ELNS1_3repE0EEENS1_30default_config_static_selectorELNS0_4arch9wavefront6targetE0EEEvT1_,comdat
	.protected	_ZN7rocprim17ROCPRIM_400000_NS6detail17trampoline_kernelINS0_14default_configENS1_35adjacent_difference_config_selectorILb0EsEEZNS1_24adjacent_difference_implIS3_Lb0ELb0EPsS7_N6thrust23THRUST_200600_302600_NS5minusIsEEEE10hipError_tPvRmT2_T3_mT4_P12ihipStream_tbEUlT_E_NS1_11comp_targetILNS1_3genE5ELNS1_11target_archE942ELNS1_3gpuE9ELNS1_3repE0EEENS1_30default_config_static_selectorELNS0_4arch9wavefront6targetE0EEEvT1_ ; -- Begin function _ZN7rocprim17ROCPRIM_400000_NS6detail17trampoline_kernelINS0_14default_configENS1_35adjacent_difference_config_selectorILb0EsEEZNS1_24adjacent_difference_implIS3_Lb0ELb0EPsS7_N6thrust23THRUST_200600_302600_NS5minusIsEEEE10hipError_tPvRmT2_T3_mT4_P12ihipStream_tbEUlT_E_NS1_11comp_targetILNS1_3genE5ELNS1_11target_archE942ELNS1_3gpuE9ELNS1_3repE0EEENS1_30default_config_static_selectorELNS0_4arch9wavefront6targetE0EEEvT1_
	.globl	_ZN7rocprim17ROCPRIM_400000_NS6detail17trampoline_kernelINS0_14default_configENS1_35adjacent_difference_config_selectorILb0EsEEZNS1_24adjacent_difference_implIS3_Lb0ELb0EPsS7_N6thrust23THRUST_200600_302600_NS5minusIsEEEE10hipError_tPvRmT2_T3_mT4_P12ihipStream_tbEUlT_E_NS1_11comp_targetILNS1_3genE5ELNS1_11target_archE942ELNS1_3gpuE9ELNS1_3repE0EEENS1_30default_config_static_selectorELNS0_4arch9wavefront6targetE0EEEvT1_
	.p2align	8
	.type	_ZN7rocprim17ROCPRIM_400000_NS6detail17trampoline_kernelINS0_14default_configENS1_35adjacent_difference_config_selectorILb0EsEEZNS1_24adjacent_difference_implIS3_Lb0ELb0EPsS7_N6thrust23THRUST_200600_302600_NS5minusIsEEEE10hipError_tPvRmT2_T3_mT4_P12ihipStream_tbEUlT_E_NS1_11comp_targetILNS1_3genE5ELNS1_11target_archE942ELNS1_3gpuE9ELNS1_3repE0EEENS1_30default_config_static_selectorELNS0_4arch9wavefront6targetE0EEEvT1_,@function
_ZN7rocprim17ROCPRIM_400000_NS6detail17trampoline_kernelINS0_14default_configENS1_35adjacent_difference_config_selectorILb0EsEEZNS1_24adjacent_difference_implIS3_Lb0ELb0EPsS7_N6thrust23THRUST_200600_302600_NS5minusIsEEEE10hipError_tPvRmT2_T3_mT4_P12ihipStream_tbEUlT_E_NS1_11comp_targetILNS1_3genE5ELNS1_11target_archE942ELNS1_3gpuE9ELNS1_3repE0EEENS1_30default_config_static_selectorELNS0_4arch9wavefront6targetE0EEEvT1_: ; @_ZN7rocprim17ROCPRIM_400000_NS6detail17trampoline_kernelINS0_14default_configENS1_35adjacent_difference_config_selectorILb0EsEEZNS1_24adjacent_difference_implIS3_Lb0ELb0EPsS7_N6thrust23THRUST_200600_302600_NS5minusIsEEEE10hipError_tPvRmT2_T3_mT4_P12ihipStream_tbEUlT_E_NS1_11comp_targetILNS1_3genE5ELNS1_11target_archE942ELNS1_3gpuE9ELNS1_3repE0EEENS1_30default_config_static_selectorELNS0_4arch9wavefront6targetE0EEEvT1_
; %bb.0:
	.section	.rodata,"a",@progbits
	.p2align	6, 0x0
	.amdhsa_kernel _ZN7rocprim17ROCPRIM_400000_NS6detail17trampoline_kernelINS0_14default_configENS1_35adjacent_difference_config_selectorILb0EsEEZNS1_24adjacent_difference_implIS3_Lb0ELb0EPsS7_N6thrust23THRUST_200600_302600_NS5minusIsEEEE10hipError_tPvRmT2_T3_mT4_P12ihipStream_tbEUlT_E_NS1_11comp_targetILNS1_3genE5ELNS1_11target_archE942ELNS1_3gpuE9ELNS1_3repE0EEENS1_30default_config_static_selectorELNS0_4arch9wavefront6targetE0EEEvT1_
		.amdhsa_group_segment_fixed_size 0
		.amdhsa_private_segment_fixed_size 0
		.amdhsa_kernarg_size 56
		.amdhsa_user_sgpr_count 15
		.amdhsa_user_sgpr_dispatch_ptr 0
		.amdhsa_user_sgpr_queue_ptr 0
		.amdhsa_user_sgpr_kernarg_segment_ptr 1
		.amdhsa_user_sgpr_dispatch_id 0
		.amdhsa_user_sgpr_private_segment_size 0
		.amdhsa_wavefront_size32 1
		.amdhsa_uses_dynamic_stack 0
		.amdhsa_enable_private_segment 0
		.amdhsa_system_sgpr_workgroup_id_x 1
		.amdhsa_system_sgpr_workgroup_id_y 0
		.amdhsa_system_sgpr_workgroup_id_z 0
		.amdhsa_system_sgpr_workgroup_info 0
		.amdhsa_system_vgpr_workitem_id 0
		.amdhsa_next_free_vgpr 1
		.amdhsa_next_free_sgpr 1
		.amdhsa_reserve_vcc 0
		.amdhsa_float_round_mode_32 0
		.amdhsa_float_round_mode_16_64 0
		.amdhsa_float_denorm_mode_32 3
		.amdhsa_float_denorm_mode_16_64 3
		.amdhsa_dx10_clamp 1
		.amdhsa_ieee_mode 1
		.amdhsa_fp16_overflow 0
		.amdhsa_workgroup_processor_mode 1
		.amdhsa_memory_ordered 1
		.amdhsa_forward_progress 0
		.amdhsa_shared_vgpr_count 0
		.amdhsa_exception_fp_ieee_invalid_op 0
		.amdhsa_exception_fp_denorm_src 0
		.amdhsa_exception_fp_ieee_div_zero 0
		.amdhsa_exception_fp_ieee_overflow 0
		.amdhsa_exception_fp_ieee_underflow 0
		.amdhsa_exception_fp_ieee_inexact 0
		.amdhsa_exception_int_div_zero 0
	.end_amdhsa_kernel
	.section	.text._ZN7rocprim17ROCPRIM_400000_NS6detail17trampoline_kernelINS0_14default_configENS1_35adjacent_difference_config_selectorILb0EsEEZNS1_24adjacent_difference_implIS3_Lb0ELb0EPsS7_N6thrust23THRUST_200600_302600_NS5minusIsEEEE10hipError_tPvRmT2_T3_mT4_P12ihipStream_tbEUlT_E_NS1_11comp_targetILNS1_3genE5ELNS1_11target_archE942ELNS1_3gpuE9ELNS1_3repE0EEENS1_30default_config_static_selectorELNS0_4arch9wavefront6targetE0EEEvT1_,"axG",@progbits,_ZN7rocprim17ROCPRIM_400000_NS6detail17trampoline_kernelINS0_14default_configENS1_35adjacent_difference_config_selectorILb0EsEEZNS1_24adjacent_difference_implIS3_Lb0ELb0EPsS7_N6thrust23THRUST_200600_302600_NS5minusIsEEEE10hipError_tPvRmT2_T3_mT4_P12ihipStream_tbEUlT_E_NS1_11comp_targetILNS1_3genE5ELNS1_11target_archE942ELNS1_3gpuE9ELNS1_3repE0EEENS1_30default_config_static_selectorELNS0_4arch9wavefront6targetE0EEEvT1_,comdat
.Lfunc_end360:
	.size	_ZN7rocprim17ROCPRIM_400000_NS6detail17trampoline_kernelINS0_14default_configENS1_35adjacent_difference_config_selectorILb0EsEEZNS1_24adjacent_difference_implIS3_Lb0ELb0EPsS7_N6thrust23THRUST_200600_302600_NS5minusIsEEEE10hipError_tPvRmT2_T3_mT4_P12ihipStream_tbEUlT_E_NS1_11comp_targetILNS1_3genE5ELNS1_11target_archE942ELNS1_3gpuE9ELNS1_3repE0EEENS1_30default_config_static_selectorELNS0_4arch9wavefront6targetE0EEEvT1_, .Lfunc_end360-_ZN7rocprim17ROCPRIM_400000_NS6detail17trampoline_kernelINS0_14default_configENS1_35adjacent_difference_config_selectorILb0EsEEZNS1_24adjacent_difference_implIS3_Lb0ELb0EPsS7_N6thrust23THRUST_200600_302600_NS5minusIsEEEE10hipError_tPvRmT2_T3_mT4_P12ihipStream_tbEUlT_E_NS1_11comp_targetILNS1_3genE5ELNS1_11target_archE942ELNS1_3gpuE9ELNS1_3repE0EEENS1_30default_config_static_selectorELNS0_4arch9wavefront6targetE0EEEvT1_
                                        ; -- End function
	.section	.AMDGPU.csdata,"",@progbits
; Kernel info:
; codeLenInByte = 0
; NumSgprs: 0
; NumVgprs: 0
; ScratchSize: 0
; MemoryBound: 0
; FloatMode: 240
; IeeeMode: 1
; LDSByteSize: 0 bytes/workgroup (compile time only)
; SGPRBlocks: 0
; VGPRBlocks: 0
; NumSGPRsForWavesPerEU: 1
; NumVGPRsForWavesPerEU: 1
; Occupancy: 16
; WaveLimiterHint : 0
; COMPUTE_PGM_RSRC2:SCRATCH_EN: 0
; COMPUTE_PGM_RSRC2:USER_SGPR: 15
; COMPUTE_PGM_RSRC2:TRAP_HANDLER: 0
; COMPUTE_PGM_RSRC2:TGID_X_EN: 1
; COMPUTE_PGM_RSRC2:TGID_Y_EN: 0
; COMPUTE_PGM_RSRC2:TGID_Z_EN: 0
; COMPUTE_PGM_RSRC2:TIDIG_COMP_CNT: 0
	.section	.text._ZN7rocprim17ROCPRIM_400000_NS6detail17trampoline_kernelINS0_14default_configENS1_35adjacent_difference_config_selectorILb0EsEEZNS1_24adjacent_difference_implIS3_Lb0ELb0EPsS7_N6thrust23THRUST_200600_302600_NS5minusIsEEEE10hipError_tPvRmT2_T3_mT4_P12ihipStream_tbEUlT_E_NS1_11comp_targetILNS1_3genE4ELNS1_11target_archE910ELNS1_3gpuE8ELNS1_3repE0EEENS1_30default_config_static_selectorELNS0_4arch9wavefront6targetE0EEEvT1_,"axG",@progbits,_ZN7rocprim17ROCPRIM_400000_NS6detail17trampoline_kernelINS0_14default_configENS1_35adjacent_difference_config_selectorILb0EsEEZNS1_24adjacent_difference_implIS3_Lb0ELb0EPsS7_N6thrust23THRUST_200600_302600_NS5minusIsEEEE10hipError_tPvRmT2_T3_mT4_P12ihipStream_tbEUlT_E_NS1_11comp_targetILNS1_3genE4ELNS1_11target_archE910ELNS1_3gpuE8ELNS1_3repE0EEENS1_30default_config_static_selectorELNS0_4arch9wavefront6targetE0EEEvT1_,comdat
	.protected	_ZN7rocprim17ROCPRIM_400000_NS6detail17trampoline_kernelINS0_14default_configENS1_35adjacent_difference_config_selectorILb0EsEEZNS1_24adjacent_difference_implIS3_Lb0ELb0EPsS7_N6thrust23THRUST_200600_302600_NS5minusIsEEEE10hipError_tPvRmT2_T3_mT4_P12ihipStream_tbEUlT_E_NS1_11comp_targetILNS1_3genE4ELNS1_11target_archE910ELNS1_3gpuE8ELNS1_3repE0EEENS1_30default_config_static_selectorELNS0_4arch9wavefront6targetE0EEEvT1_ ; -- Begin function _ZN7rocprim17ROCPRIM_400000_NS6detail17trampoline_kernelINS0_14default_configENS1_35adjacent_difference_config_selectorILb0EsEEZNS1_24adjacent_difference_implIS3_Lb0ELb0EPsS7_N6thrust23THRUST_200600_302600_NS5minusIsEEEE10hipError_tPvRmT2_T3_mT4_P12ihipStream_tbEUlT_E_NS1_11comp_targetILNS1_3genE4ELNS1_11target_archE910ELNS1_3gpuE8ELNS1_3repE0EEENS1_30default_config_static_selectorELNS0_4arch9wavefront6targetE0EEEvT1_
	.globl	_ZN7rocprim17ROCPRIM_400000_NS6detail17trampoline_kernelINS0_14default_configENS1_35adjacent_difference_config_selectorILb0EsEEZNS1_24adjacent_difference_implIS3_Lb0ELb0EPsS7_N6thrust23THRUST_200600_302600_NS5minusIsEEEE10hipError_tPvRmT2_T3_mT4_P12ihipStream_tbEUlT_E_NS1_11comp_targetILNS1_3genE4ELNS1_11target_archE910ELNS1_3gpuE8ELNS1_3repE0EEENS1_30default_config_static_selectorELNS0_4arch9wavefront6targetE0EEEvT1_
	.p2align	8
	.type	_ZN7rocprim17ROCPRIM_400000_NS6detail17trampoline_kernelINS0_14default_configENS1_35adjacent_difference_config_selectorILb0EsEEZNS1_24adjacent_difference_implIS3_Lb0ELb0EPsS7_N6thrust23THRUST_200600_302600_NS5minusIsEEEE10hipError_tPvRmT2_T3_mT4_P12ihipStream_tbEUlT_E_NS1_11comp_targetILNS1_3genE4ELNS1_11target_archE910ELNS1_3gpuE8ELNS1_3repE0EEENS1_30default_config_static_selectorELNS0_4arch9wavefront6targetE0EEEvT1_,@function
_ZN7rocprim17ROCPRIM_400000_NS6detail17trampoline_kernelINS0_14default_configENS1_35adjacent_difference_config_selectorILb0EsEEZNS1_24adjacent_difference_implIS3_Lb0ELb0EPsS7_N6thrust23THRUST_200600_302600_NS5minusIsEEEE10hipError_tPvRmT2_T3_mT4_P12ihipStream_tbEUlT_E_NS1_11comp_targetILNS1_3genE4ELNS1_11target_archE910ELNS1_3gpuE8ELNS1_3repE0EEENS1_30default_config_static_selectorELNS0_4arch9wavefront6targetE0EEEvT1_: ; @_ZN7rocprim17ROCPRIM_400000_NS6detail17trampoline_kernelINS0_14default_configENS1_35adjacent_difference_config_selectorILb0EsEEZNS1_24adjacent_difference_implIS3_Lb0ELb0EPsS7_N6thrust23THRUST_200600_302600_NS5minusIsEEEE10hipError_tPvRmT2_T3_mT4_P12ihipStream_tbEUlT_E_NS1_11comp_targetILNS1_3genE4ELNS1_11target_archE910ELNS1_3gpuE8ELNS1_3repE0EEENS1_30default_config_static_selectorELNS0_4arch9wavefront6targetE0EEEvT1_
; %bb.0:
	.section	.rodata,"a",@progbits
	.p2align	6, 0x0
	.amdhsa_kernel _ZN7rocprim17ROCPRIM_400000_NS6detail17trampoline_kernelINS0_14default_configENS1_35adjacent_difference_config_selectorILb0EsEEZNS1_24adjacent_difference_implIS3_Lb0ELb0EPsS7_N6thrust23THRUST_200600_302600_NS5minusIsEEEE10hipError_tPvRmT2_T3_mT4_P12ihipStream_tbEUlT_E_NS1_11comp_targetILNS1_3genE4ELNS1_11target_archE910ELNS1_3gpuE8ELNS1_3repE0EEENS1_30default_config_static_selectorELNS0_4arch9wavefront6targetE0EEEvT1_
		.amdhsa_group_segment_fixed_size 0
		.amdhsa_private_segment_fixed_size 0
		.amdhsa_kernarg_size 56
		.amdhsa_user_sgpr_count 15
		.amdhsa_user_sgpr_dispatch_ptr 0
		.amdhsa_user_sgpr_queue_ptr 0
		.amdhsa_user_sgpr_kernarg_segment_ptr 1
		.amdhsa_user_sgpr_dispatch_id 0
		.amdhsa_user_sgpr_private_segment_size 0
		.amdhsa_wavefront_size32 1
		.amdhsa_uses_dynamic_stack 0
		.amdhsa_enable_private_segment 0
		.amdhsa_system_sgpr_workgroup_id_x 1
		.amdhsa_system_sgpr_workgroup_id_y 0
		.amdhsa_system_sgpr_workgroup_id_z 0
		.amdhsa_system_sgpr_workgroup_info 0
		.amdhsa_system_vgpr_workitem_id 0
		.amdhsa_next_free_vgpr 1
		.amdhsa_next_free_sgpr 1
		.amdhsa_reserve_vcc 0
		.amdhsa_float_round_mode_32 0
		.amdhsa_float_round_mode_16_64 0
		.amdhsa_float_denorm_mode_32 3
		.amdhsa_float_denorm_mode_16_64 3
		.amdhsa_dx10_clamp 1
		.amdhsa_ieee_mode 1
		.amdhsa_fp16_overflow 0
		.amdhsa_workgroup_processor_mode 1
		.amdhsa_memory_ordered 1
		.amdhsa_forward_progress 0
		.amdhsa_shared_vgpr_count 0
		.amdhsa_exception_fp_ieee_invalid_op 0
		.amdhsa_exception_fp_denorm_src 0
		.amdhsa_exception_fp_ieee_div_zero 0
		.amdhsa_exception_fp_ieee_overflow 0
		.amdhsa_exception_fp_ieee_underflow 0
		.amdhsa_exception_fp_ieee_inexact 0
		.amdhsa_exception_int_div_zero 0
	.end_amdhsa_kernel
	.section	.text._ZN7rocprim17ROCPRIM_400000_NS6detail17trampoline_kernelINS0_14default_configENS1_35adjacent_difference_config_selectorILb0EsEEZNS1_24adjacent_difference_implIS3_Lb0ELb0EPsS7_N6thrust23THRUST_200600_302600_NS5minusIsEEEE10hipError_tPvRmT2_T3_mT4_P12ihipStream_tbEUlT_E_NS1_11comp_targetILNS1_3genE4ELNS1_11target_archE910ELNS1_3gpuE8ELNS1_3repE0EEENS1_30default_config_static_selectorELNS0_4arch9wavefront6targetE0EEEvT1_,"axG",@progbits,_ZN7rocprim17ROCPRIM_400000_NS6detail17trampoline_kernelINS0_14default_configENS1_35adjacent_difference_config_selectorILb0EsEEZNS1_24adjacent_difference_implIS3_Lb0ELb0EPsS7_N6thrust23THRUST_200600_302600_NS5minusIsEEEE10hipError_tPvRmT2_T3_mT4_P12ihipStream_tbEUlT_E_NS1_11comp_targetILNS1_3genE4ELNS1_11target_archE910ELNS1_3gpuE8ELNS1_3repE0EEENS1_30default_config_static_selectorELNS0_4arch9wavefront6targetE0EEEvT1_,comdat
.Lfunc_end361:
	.size	_ZN7rocprim17ROCPRIM_400000_NS6detail17trampoline_kernelINS0_14default_configENS1_35adjacent_difference_config_selectorILb0EsEEZNS1_24adjacent_difference_implIS3_Lb0ELb0EPsS7_N6thrust23THRUST_200600_302600_NS5minusIsEEEE10hipError_tPvRmT2_T3_mT4_P12ihipStream_tbEUlT_E_NS1_11comp_targetILNS1_3genE4ELNS1_11target_archE910ELNS1_3gpuE8ELNS1_3repE0EEENS1_30default_config_static_selectorELNS0_4arch9wavefront6targetE0EEEvT1_, .Lfunc_end361-_ZN7rocprim17ROCPRIM_400000_NS6detail17trampoline_kernelINS0_14default_configENS1_35adjacent_difference_config_selectorILb0EsEEZNS1_24adjacent_difference_implIS3_Lb0ELb0EPsS7_N6thrust23THRUST_200600_302600_NS5minusIsEEEE10hipError_tPvRmT2_T3_mT4_P12ihipStream_tbEUlT_E_NS1_11comp_targetILNS1_3genE4ELNS1_11target_archE910ELNS1_3gpuE8ELNS1_3repE0EEENS1_30default_config_static_selectorELNS0_4arch9wavefront6targetE0EEEvT1_
                                        ; -- End function
	.section	.AMDGPU.csdata,"",@progbits
; Kernel info:
; codeLenInByte = 0
; NumSgprs: 0
; NumVgprs: 0
; ScratchSize: 0
; MemoryBound: 0
; FloatMode: 240
; IeeeMode: 1
; LDSByteSize: 0 bytes/workgroup (compile time only)
; SGPRBlocks: 0
; VGPRBlocks: 0
; NumSGPRsForWavesPerEU: 1
; NumVGPRsForWavesPerEU: 1
; Occupancy: 16
; WaveLimiterHint : 0
; COMPUTE_PGM_RSRC2:SCRATCH_EN: 0
; COMPUTE_PGM_RSRC2:USER_SGPR: 15
; COMPUTE_PGM_RSRC2:TRAP_HANDLER: 0
; COMPUTE_PGM_RSRC2:TGID_X_EN: 1
; COMPUTE_PGM_RSRC2:TGID_Y_EN: 0
; COMPUTE_PGM_RSRC2:TGID_Z_EN: 0
; COMPUTE_PGM_RSRC2:TIDIG_COMP_CNT: 0
	.section	.text._ZN7rocprim17ROCPRIM_400000_NS6detail17trampoline_kernelINS0_14default_configENS1_35adjacent_difference_config_selectorILb0EsEEZNS1_24adjacent_difference_implIS3_Lb0ELb0EPsS7_N6thrust23THRUST_200600_302600_NS5minusIsEEEE10hipError_tPvRmT2_T3_mT4_P12ihipStream_tbEUlT_E_NS1_11comp_targetILNS1_3genE3ELNS1_11target_archE908ELNS1_3gpuE7ELNS1_3repE0EEENS1_30default_config_static_selectorELNS0_4arch9wavefront6targetE0EEEvT1_,"axG",@progbits,_ZN7rocprim17ROCPRIM_400000_NS6detail17trampoline_kernelINS0_14default_configENS1_35adjacent_difference_config_selectorILb0EsEEZNS1_24adjacent_difference_implIS3_Lb0ELb0EPsS7_N6thrust23THRUST_200600_302600_NS5minusIsEEEE10hipError_tPvRmT2_T3_mT4_P12ihipStream_tbEUlT_E_NS1_11comp_targetILNS1_3genE3ELNS1_11target_archE908ELNS1_3gpuE7ELNS1_3repE0EEENS1_30default_config_static_selectorELNS0_4arch9wavefront6targetE0EEEvT1_,comdat
	.protected	_ZN7rocprim17ROCPRIM_400000_NS6detail17trampoline_kernelINS0_14default_configENS1_35adjacent_difference_config_selectorILb0EsEEZNS1_24adjacent_difference_implIS3_Lb0ELb0EPsS7_N6thrust23THRUST_200600_302600_NS5minusIsEEEE10hipError_tPvRmT2_T3_mT4_P12ihipStream_tbEUlT_E_NS1_11comp_targetILNS1_3genE3ELNS1_11target_archE908ELNS1_3gpuE7ELNS1_3repE0EEENS1_30default_config_static_selectorELNS0_4arch9wavefront6targetE0EEEvT1_ ; -- Begin function _ZN7rocprim17ROCPRIM_400000_NS6detail17trampoline_kernelINS0_14default_configENS1_35adjacent_difference_config_selectorILb0EsEEZNS1_24adjacent_difference_implIS3_Lb0ELb0EPsS7_N6thrust23THRUST_200600_302600_NS5minusIsEEEE10hipError_tPvRmT2_T3_mT4_P12ihipStream_tbEUlT_E_NS1_11comp_targetILNS1_3genE3ELNS1_11target_archE908ELNS1_3gpuE7ELNS1_3repE0EEENS1_30default_config_static_selectorELNS0_4arch9wavefront6targetE0EEEvT1_
	.globl	_ZN7rocprim17ROCPRIM_400000_NS6detail17trampoline_kernelINS0_14default_configENS1_35adjacent_difference_config_selectorILb0EsEEZNS1_24adjacent_difference_implIS3_Lb0ELb0EPsS7_N6thrust23THRUST_200600_302600_NS5minusIsEEEE10hipError_tPvRmT2_T3_mT4_P12ihipStream_tbEUlT_E_NS1_11comp_targetILNS1_3genE3ELNS1_11target_archE908ELNS1_3gpuE7ELNS1_3repE0EEENS1_30default_config_static_selectorELNS0_4arch9wavefront6targetE0EEEvT1_
	.p2align	8
	.type	_ZN7rocprim17ROCPRIM_400000_NS6detail17trampoline_kernelINS0_14default_configENS1_35adjacent_difference_config_selectorILb0EsEEZNS1_24adjacent_difference_implIS3_Lb0ELb0EPsS7_N6thrust23THRUST_200600_302600_NS5minusIsEEEE10hipError_tPvRmT2_T3_mT4_P12ihipStream_tbEUlT_E_NS1_11comp_targetILNS1_3genE3ELNS1_11target_archE908ELNS1_3gpuE7ELNS1_3repE0EEENS1_30default_config_static_selectorELNS0_4arch9wavefront6targetE0EEEvT1_,@function
_ZN7rocprim17ROCPRIM_400000_NS6detail17trampoline_kernelINS0_14default_configENS1_35adjacent_difference_config_selectorILb0EsEEZNS1_24adjacent_difference_implIS3_Lb0ELb0EPsS7_N6thrust23THRUST_200600_302600_NS5minusIsEEEE10hipError_tPvRmT2_T3_mT4_P12ihipStream_tbEUlT_E_NS1_11comp_targetILNS1_3genE3ELNS1_11target_archE908ELNS1_3gpuE7ELNS1_3repE0EEENS1_30default_config_static_selectorELNS0_4arch9wavefront6targetE0EEEvT1_: ; @_ZN7rocprim17ROCPRIM_400000_NS6detail17trampoline_kernelINS0_14default_configENS1_35adjacent_difference_config_selectorILb0EsEEZNS1_24adjacent_difference_implIS3_Lb0ELb0EPsS7_N6thrust23THRUST_200600_302600_NS5minusIsEEEE10hipError_tPvRmT2_T3_mT4_P12ihipStream_tbEUlT_E_NS1_11comp_targetILNS1_3genE3ELNS1_11target_archE908ELNS1_3gpuE7ELNS1_3repE0EEENS1_30default_config_static_selectorELNS0_4arch9wavefront6targetE0EEEvT1_
; %bb.0:
	.section	.rodata,"a",@progbits
	.p2align	6, 0x0
	.amdhsa_kernel _ZN7rocprim17ROCPRIM_400000_NS6detail17trampoline_kernelINS0_14default_configENS1_35adjacent_difference_config_selectorILb0EsEEZNS1_24adjacent_difference_implIS3_Lb0ELb0EPsS7_N6thrust23THRUST_200600_302600_NS5minusIsEEEE10hipError_tPvRmT2_T3_mT4_P12ihipStream_tbEUlT_E_NS1_11comp_targetILNS1_3genE3ELNS1_11target_archE908ELNS1_3gpuE7ELNS1_3repE0EEENS1_30default_config_static_selectorELNS0_4arch9wavefront6targetE0EEEvT1_
		.amdhsa_group_segment_fixed_size 0
		.amdhsa_private_segment_fixed_size 0
		.amdhsa_kernarg_size 56
		.amdhsa_user_sgpr_count 15
		.amdhsa_user_sgpr_dispatch_ptr 0
		.amdhsa_user_sgpr_queue_ptr 0
		.amdhsa_user_sgpr_kernarg_segment_ptr 1
		.amdhsa_user_sgpr_dispatch_id 0
		.amdhsa_user_sgpr_private_segment_size 0
		.amdhsa_wavefront_size32 1
		.amdhsa_uses_dynamic_stack 0
		.amdhsa_enable_private_segment 0
		.amdhsa_system_sgpr_workgroup_id_x 1
		.amdhsa_system_sgpr_workgroup_id_y 0
		.amdhsa_system_sgpr_workgroup_id_z 0
		.amdhsa_system_sgpr_workgroup_info 0
		.amdhsa_system_vgpr_workitem_id 0
		.amdhsa_next_free_vgpr 1
		.amdhsa_next_free_sgpr 1
		.amdhsa_reserve_vcc 0
		.amdhsa_float_round_mode_32 0
		.amdhsa_float_round_mode_16_64 0
		.amdhsa_float_denorm_mode_32 3
		.amdhsa_float_denorm_mode_16_64 3
		.amdhsa_dx10_clamp 1
		.amdhsa_ieee_mode 1
		.amdhsa_fp16_overflow 0
		.amdhsa_workgroup_processor_mode 1
		.amdhsa_memory_ordered 1
		.amdhsa_forward_progress 0
		.amdhsa_shared_vgpr_count 0
		.amdhsa_exception_fp_ieee_invalid_op 0
		.amdhsa_exception_fp_denorm_src 0
		.amdhsa_exception_fp_ieee_div_zero 0
		.amdhsa_exception_fp_ieee_overflow 0
		.amdhsa_exception_fp_ieee_underflow 0
		.amdhsa_exception_fp_ieee_inexact 0
		.amdhsa_exception_int_div_zero 0
	.end_amdhsa_kernel
	.section	.text._ZN7rocprim17ROCPRIM_400000_NS6detail17trampoline_kernelINS0_14default_configENS1_35adjacent_difference_config_selectorILb0EsEEZNS1_24adjacent_difference_implIS3_Lb0ELb0EPsS7_N6thrust23THRUST_200600_302600_NS5minusIsEEEE10hipError_tPvRmT2_T3_mT4_P12ihipStream_tbEUlT_E_NS1_11comp_targetILNS1_3genE3ELNS1_11target_archE908ELNS1_3gpuE7ELNS1_3repE0EEENS1_30default_config_static_selectorELNS0_4arch9wavefront6targetE0EEEvT1_,"axG",@progbits,_ZN7rocprim17ROCPRIM_400000_NS6detail17trampoline_kernelINS0_14default_configENS1_35adjacent_difference_config_selectorILb0EsEEZNS1_24adjacent_difference_implIS3_Lb0ELb0EPsS7_N6thrust23THRUST_200600_302600_NS5minusIsEEEE10hipError_tPvRmT2_T3_mT4_P12ihipStream_tbEUlT_E_NS1_11comp_targetILNS1_3genE3ELNS1_11target_archE908ELNS1_3gpuE7ELNS1_3repE0EEENS1_30default_config_static_selectorELNS0_4arch9wavefront6targetE0EEEvT1_,comdat
.Lfunc_end362:
	.size	_ZN7rocprim17ROCPRIM_400000_NS6detail17trampoline_kernelINS0_14default_configENS1_35adjacent_difference_config_selectorILb0EsEEZNS1_24adjacent_difference_implIS3_Lb0ELb0EPsS7_N6thrust23THRUST_200600_302600_NS5minusIsEEEE10hipError_tPvRmT2_T3_mT4_P12ihipStream_tbEUlT_E_NS1_11comp_targetILNS1_3genE3ELNS1_11target_archE908ELNS1_3gpuE7ELNS1_3repE0EEENS1_30default_config_static_selectorELNS0_4arch9wavefront6targetE0EEEvT1_, .Lfunc_end362-_ZN7rocprim17ROCPRIM_400000_NS6detail17trampoline_kernelINS0_14default_configENS1_35adjacent_difference_config_selectorILb0EsEEZNS1_24adjacent_difference_implIS3_Lb0ELb0EPsS7_N6thrust23THRUST_200600_302600_NS5minusIsEEEE10hipError_tPvRmT2_T3_mT4_P12ihipStream_tbEUlT_E_NS1_11comp_targetILNS1_3genE3ELNS1_11target_archE908ELNS1_3gpuE7ELNS1_3repE0EEENS1_30default_config_static_selectorELNS0_4arch9wavefront6targetE0EEEvT1_
                                        ; -- End function
	.section	.AMDGPU.csdata,"",@progbits
; Kernel info:
; codeLenInByte = 0
; NumSgprs: 0
; NumVgprs: 0
; ScratchSize: 0
; MemoryBound: 0
; FloatMode: 240
; IeeeMode: 1
; LDSByteSize: 0 bytes/workgroup (compile time only)
; SGPRBlocks: 0
; VGPRBlocks: 0
; NumSGPRsForWavesPerEU: 1
; NumVGPRsForWavesPerEU: 1
; Occupancy: 16
; WaveLimiterHint : 0
; COMPUTE_PGM_RSRC2:SCRATCH_EN: 0
; COMPUTE_PGM_RSRC2:USER_SGPR: 15
; COMPUTE_PGM_RSRC2:TRAP_HANDLER: 0
; COMPUTE_PGM_RSRC2:TGID_X_EN: 1
; COMPUTE_PGM_RSRC2:TGID_Y_EN: 0
; COMPUTE_PGM_RSRC2:TGID_Z_EN: 0
; COMPUTE_PGM_RSRC2:TIDIG_COMP_CNT: 0
	.section	.text._ZN7rocprim17ROCPRIM_400000_NS6detail17trampoline_kernelINS0_14default_configENS1_35adjacent_difference_config_selectorILb0EsEEZNS1_24adjacent_difference_implIS3_Lb0ELb0EPsS7_N6thrust23THRUST_200600_302600_NS5minusIsEEEE10hipError_tPvRmT2_T3_mT4_P12ihipStream_tbEUlT_E_NS1_11comp_targetILNS1_3genE2ELNS1_11target_archE906ELNS1_3gpuE6ELNS1_3repE0EEENS1_30default_config_static_selectorELNS0_4arch9wavefront6targetE0EEEvT1_,"axG",@progbits,_ZN7rocprim17ROCPRIM_400000_NS6detail17trampoline_kernelINS0_14default_configENS1_35adjacent_difference_config_selectorILb0EsEEZNS1_24adjacent_difference_implIS3_Lb0ELb0EPsS7_N6thrust23THRUST_200600_302600_NS5minusIsEEEE10hipError_tPvRmT2_T3_mT4_P12ihipStream_tbEUlT_E_NS1_11comp_targetILNS1_3genE2ELNS1_11target_archE906ELNS1_3gpuE6ELNS1_3repE0EEENS1_30default_config_static_selectorELNS0_4arch9wavefront6targetE0EEEvT1_,comdat
	.protected	_ZN7rocprim17ROCPRIM_400000_NS6detail17trampoline_kernelINS0_14default_configENS1_35adjacent_difference_config_selectorILb0EsEEZNS1_24adjacent_difference_implIS3_Lb0ELb0EPsS7_N6thrust23THRUST_200600_302600_NS5minusIsEEEE10hipError_tPvRmT2_T3_mT4_P12ihipStream_tbEUlT_E_NS1_11comp_targetILNS1_3genE2ELNS1_11target_archE906ELNS1_3gpuE6ELNS1_3repE0EEENS1_30default_config_static_selectorELNS0_4arch9wavefront6targetE0EEEvT1_ ; -- Begin function _ZN7rocprim17ROCPRIM_400000_NS6detail17trampoline_kernelINS0_14default_configENS1_35adjacent_difference_config_selectorILb0EsEEZNS1_24adjacent_difference_implIS3_Lb0ELb0EPsS7_N6thrust23THRUST_200600_302600_NS5minusIsEEEE10hipError_tPvRmT2_T3_mT4_P12ihipStream_tbEUlT_E_NS1_11comp_targetILNS1_3genE2ELNS1_11target_archE906ELNS1_3gpuE6ELNS1_3repE0EEENS1_30default_config_static_selectorELNS0_4arch9wavefront6targetE0EEEvT1_
	.globl	_ZN7rocprim17ROCPRIM_400000_NS6detail17trampoline_kernelINS0_14default_configENS1_35adjacent_difference_config_selectorILb0EsEEZNS1_24adjacent_difference_implIS3_Lb0ELb0EPsS7_N6thrust23THRUST_200600_302600_NS5minusIsEEEE10hipError_tPvRmT2_T3_mT4_P12ihipStream_tbEUlT_E_NS1_11comp_targetILNS1_3genE2ELNS1_11target_archE906ELNS1_3gpuE6ELNS1_3repE0EEENS1_30default_config_static_selectorELNS0_4arch9wavefront6targetE0EEEvT1_
	.p2align	8
	.type	_ZN7rocprim17ROCPRIM_400000_NS6detail17trampoline_kernelINS0_14default_configENS1_35adjacent_difference_config_selectorILb0EsEEZNS1_24adjacent_difference_implIS3_Lb0ELb0EPsS7_N6thrust23THRUST_200600_302600_NS5minusIsEEEE10hipError_tPvRmT2_T3_mT4_P12ihipStream_tbEUlT_E_NS1_11comp_targetILNS1_3genE2ELNS1_11target_archE906ELNS1_3gpuE6ELNS1_3repE0EEENS1_30default_config_static_selectorELNS0_4arch9wavefront6targetE0EEEvT1_,@function
_ZN7rocprim17ROCPRIM_400000_NS6detail17trampoline_kernelINS0_14default_configENS1_35adjacent_difference_config_selectorILb0EsEEZNS1_24adjacent_difference_implIS3_Lb0ELb0EPsS7_N6thrust23THRUST_200600_302600_NS5minusIsEEEE10hipError_tPvRmT2_T3_mT4_P12ihipStream_tbEUlT_E_NS1_11comp_targetILNS1_3genE2ELNS1_11target_archE906ELNS1_3gpuE6ELNS1_3repE0EEENS1_30default_config_static_selectorELNS0_4arch9wavefront6targetE0EEEvT1_: ; @_ZN7rocprim17ROCPRIM_400000_NS6detail17trampoline_kernelINS0_14default_configENS1_35adjacent_difference_config_selectorILb0EsEEZNS1_24adjacent_difference_implIS3_Lb0ELb0EPsS7_N6thrust23THRUST_200600_302600_NS5minusIsEEEE10hipError_tPvRmT2_T3_mT4_P12ihipStream_tbEUlT_E_NS1_11comp_targetILNS1_3genE2ELNS1_11target_archE906ELNS1_3gpuE6ELNS1_3repE0EEENS1_30default_config_static_selectorELNS0_4arch9wavefront6targetE0EEEvT1_
; %bb.0:
	.section	.rodata,"a",@progbits
	.p2align	6, 0x0
	.amdhsa_kernel _ZN7rocprim17ROCPRIM_400000_NS6detail17trampoline_kernelINS0_14default_configENS1_35adjacent_difference_config_selectorILb0EsEEZNS1_24adjacent_difference_implIS3_Lb0ELb0EPsS7_N6thrust23THRUST_200600_302600_NS5minusIsEEEE10hipError_tPvRmT2_T3_mT4_P12ihipStream_tbEUlT_E_NS1_11comp_targetILNS1_3genE2ELNS1_11target_archE906ELNS1_3gpuE6ELNS1_3repE0EEENS1_30default_config_static_selectorELNS0_4arch9wavefront6targetE0EEEvT1_
		.amdhsa_group_segment_fixed_size 0
		.amdhsa_private_segment_fixed_size 0
		.amdhsa_kernarg_size 56
		.amdhsa_user_sgpr_count 15
		.amdhsa_user_sgpr_dispatch_ptr 0
		.amdhsa_user_sgpr_queue_ptr 0
		.amdhsa_user_sgpr_kernarg_segment_ptr 1
		.amdhsa_user_sgpr_dispatch_id 0
		.amdhsa_user_sgpr_private_segment_size 0
		.amdhsa_wavefront_size32 1
		.amdhsa_uses_dynamic_stack 0
		.amdhsa_enable_private_segment 0
		.amdhsa_system_sgpr_workgroup_id_x 1
		.amdhsa_system_sgpr_workgroup_id_y 0
		.amdhsa_system_sgpr_workgroup_id_z 0
		.amdhsa_system_sgpr_workgroup_info 0
		.amdhsa_system_vgpr_workitem_id 0
		.amdhsa_next_free_vgpr 1
		.amdhsa_next_free_sgpr 1
		.amdhsa_reserve_vcc 0
		.amdhsa_float_round_mode_32 0
		.amdhsa_float_round_mode_16_64 0
		.amdhsa_float_denorm_mode_32 3
		.amdhsa_float_denorm_mode_16_64 3
		.amdhsa_dx10_clamp 1
		.amdhsa_ieee_mode 1
		.amdhsa_fp16_overflow 0
		.amdhsa_workgroup_processor_mode 1
		.amdhsa_memory_ordered 1
		.amdhsa_forward_progress 0
		.amdhsa_shared_vgpr_count 0
		.amdhsa_exception_fp_ieee_invalid_op 0
		.amdhsa_exception_fp_denorm_src 0
		.amdhsa_exception_fp_ieee_div_zero 0
		.amdhsa_exception_fp_ieee_overflow 0
		.amdhsa_exception_fp_ieee_underflow 0
		.amdhsa_exception_fp_ieee_inexact 0
		.amdhsa_exception_int_div_zero 0
	.end_amdhsa_kernel
	.section	.text._ZN7rocprim17ROCPRIM_400000_NS6detail17trampoline_kernelINS0_14default_configENS1_35adjacent_difference_config_selectorILb0EsEEZNS1_24adjacent_difference_implIS3_Lb0ELb0EPsS7_N6thrust23THRUST_200600_302600_NS5minusIsEEEE10hipError_tPvRmT2_T3_mT4_P12ihipStream_tbEUlT_E_NS1_11comp_targetILNS1_3genE2ELNS1_11target_archE906ELNS1_3gpuE6ELNS1_3repE0EEENS1_30default_config_static_selectorELNS0_4arch9wavefront6targetE0EEEvT1_,"axG",@progbits,_ZN7rocprim17ROCPRIM_400000_NS6detail17trampoline_kernelINS0_14default_configENS1_35adjacent_difference_config_selectorILb0EsEEZNS1_24adjacent_difference_implIS3_Lb0ELb0EPsS7_N6thrust23THRUST_200600_302600_NS5minusIsEEEE10hipError_tPvRmT2_T3_mT4_P12ihipStream_tbEUlT_E_NS1_11comp_targetILNS1_3genE2ELNS1_11target_archE906ELNS1_3gpuE6ELNS1_3repE0EEENS1_30default_config_static_selectorELNS0_4arch9wavefront6targetE0EEEvT1_,comdat
.Lfunc_end363:
	.size	_ZN7rocprim17ROCPRIM_400000_NS6detail17trampoline_kernelINS0_14default_configENS1_35adjacent_difference_config_selectorILb0EsEEZNS1_24adjacent_difference_implIS3_Lb0ELb0EPsS7_N6thrust23THRUST_200600_302600_NS5minusIsEEEE10hipError_tPvRmT2_T3_mT4_P12ihipStream_tbEUlT_E_NS1_11comp_targetILNS1_3genE2ELNS1_11target_archE906ELNS1_3gpuE6ELNS1_3repE0EEENS1_30default_config_static_selectorELNS0_4arch9wavefront6targetE0EEEvT1_, .Lfunc_end363-_ZN7rocprim17ROCPRIM_400000_NS6detail17trampoline_kernelINS0_14default_configENS1_35adjacent_difference_config_selectorILb0EsEEZNS1_24adjacent_difference_implIS3_Lb0ELb0EPsS7_N6thrust23THRUST_200600_302600_NS5minusIsEEEE10hipError_tPvRmT2_T3_mT4_P12ihipStream_tbEUlT_E_NS1_11comp_targetILNS1_3genE2ELNS1_11target_archE906ELNS1_3gpuE6ELNS1_3repE0EEENS1_30default_config_static_selectorELNS0_4arch9wavefront6targetE0EEEvT1_
                                        ; -- End function
	.section	.AMDGPU.csdata,"",@progbits
; Kernel info:
; codeLenInByte = 0
; NumSgprs: 0
; NumVgprs: 0
; ScratchSize: 0
; MemoryBound: 0
; FloatMode: 240
; IeeeMode: 1
; LDSByteSize: 0 bytes/workgroup (compile time only)
; SGPRBlocks: 0
; VGPRBlocks: 0
; NumSGPRsForWavesPerEU: 1
; NumVGPRsForWavesPerEU: 1
; Occupancy: 16
; WaveLimiterHint : 0
; COMPUTE_PGM_RSRC2:SCRATCH_EN: 0
; COMPUTE_PGM_RSRC2:USER_SGPR: 15
; COMPUTE_PGM_RSRC2:TRAP_HANDLER: 0
; COMPUTE_PGM_RSRC2:TGID_X_EN: 1
; COMPUTE_PGM_RSRC2:TGID_Y_EN: 0
; COMPUTE_PGM_RSRC2:TGID_Z_EN: 0
; COMPUTE_PGM_RSRC2:TIDIG_COMP_CNT: 0
	.section	.text._ZN7rocprim17ROCPRIM_400000_NS6detail17trampoline_kernelINS0_14default_configENS1_35adjacent_difference_config_selectorILb0EsEEZNS1_24adjacent_difference_implIS3_Lb0ELb0EPsS7_N6thrust23THRUST_200600_302600_NS5minusIsEEEE10hipError_tPvRmT2_T3_mT4_P12ihipStream_tbEUlT_E_NS1_11comp_targetILNS1_3genE9ELNS1_11target_archE1100ELNS1_3gpuE3ELNS1_3repE0EEENS1_30default_config_static_selectorELNS0_4arch9wavefront6targetE0EEEvT1_,"axG",@progbits,_ZN7rocprim17ROCPRIM_400000_NS6detail17trampoline_kernelINS0_14default_configENS1_35adjacent_difference_config_selectorILb0EsEEZNS1_24adjacent_difference_implIS3_Lb0ELb0EPsS7_N6thrust23THRUST_200600_302600_NS5minusIsEEEE10hipError_tPvRmT2_T3_mT4_P12ihipStream_tbEUlT_E_NS1_11comp_targetILNS1_3genE9ELNS1_11target_archE1100ELNS1_3gpuE3ELNS1_3repE0EEENS1_30default_config_static_selectorELNS0_4arch9wavefront6targetE0EEEvT1_,comdat
	.protected	_ZN7rocprim17ROCPRIM_400000_NS6detail17trampoline_kernelINS0_14default_configENS1_35adjacent_difference_config_selectorILb0EsEEZNS1_24adjacent_difference_implIS3_Lb0ELb0EPsS7_N6thrust23THRUST_200600_302600_NS5minusIsEEEE10hipError_tPvRmT2_T3_mT4_P12ihipStream_tbEUlT_E_NS1_11comp_targetILNS1_3genE9ELNS1_11target_archE1100ELNS1_3gpuE3ELNS1_3repE0EEENS1_30default_config_static_selectorELNS0_4arch9wavefront6targetE0EEEvT1_ ; -- Begin function _ZN7rocprim17ROCPRIM_400000_NS6detail17trampoline_kernelINS0_14default_configENS1_35adjacent_difference_config_selectorILb0EsEEZNS1_24adjacent_difference_implIS3_Lb0ELb0EPsS7_N6thrust23THRUST_200600_302600_NS5minusIsEEEE10hipError_tPvRmT2_T3_mT4_P12ihipStream_tbEUlT_E_NS1_11comp_targetILNS1_3genE9ELNS1_11target_archE1100ELNS1_3gpuE3ELNS1_3repE0EEENS1_30default_config_static_selectorELNS0_4arch9wavefront6targetE0EEEvT1_
	.globl	_ZN7rocprim17ROCPRIM_400000_NS6detail17trampoline_kernelINS0_14default_configENS1_35adjacent_difference_config_selectorILb0EsEEZNS1_24adjacent_difference_implIS3_Lb0ELb0EPsS7_N6thrust23THRUST_200600_302600_NS5minusIsEEEE10hipError_tPvRmT2_T3_mT4_P12ihipStream_tbEUlT_E_NS1_11comp_targetILNS1_3genE9ELNS1_11target_archE1100ELNS1_3gpuE3ELNS1_3repE0EEENS1_30default_config_static_selectorELNS0_4arch9wavefront6targetE0EEEvT1_
	.p2align	8
	.type	_ZN7rocprim17ROCPRIM_400000_NS6detail17trampoline_kernelINS0_14default_configENS1_35adjacent_difference_config_selectorILb0EsEEZNS1_24adjacent_difference_implIS3_Lb0ELb0EPsS7_N6thrust23THRUST_200600_302600_NS5minusIsEEEE10hipError_tPvRmT2_T3_mT4_P12ihipStream_tbEUlT_E_NS1_11comp_targetILNS1_3genE9ELNS1_11target_archE1100ELNS1_3gpuE3ELNS1_3repE0EEENS1_30default_config_static_selectorELNS0_4arch9wavefront6targetE0EEEvT1_,@function
_ZN7rocprim17ROCPRIM_400000_NS6detail17trampoline_kernelINS0_14default_configENS1_35adjacent_difference_config_selectorILb0EsEEZNS1_24adjacent_difference_implIS3_Lb0ELb0EPsS7_N6thrust23THRUST_200600_302600_NS5minusIsEEEE10hipError_tPvRmT2_T3_mT4_P12ihipStream_tbEUlT_E_NS1_11comp_targetILNS1_3genE9ELNS1_11target_archE1100ELNS1_3gpuE3ELNS1_3repE0EEENS1_30default_config_static_selectorELNS0_4arch9wavefront6targetE0EEEvT1_: ; @_ZN7rocprim17ROCPRIM_400000_NS6detail17trampoline_kernelINS0_14default_configENS1_35adjacent_difference_config_selectorILb0EsEEZNS1_24adjacent_difference_implIS3_Lb0ELb0EPsS7_N6thrust23THRUST_200600_302600_NS5minusIsEEEE10hipError_tPvRmT2_T3_mT4_P12ihipStream_tbEUlT_E_NS1_11comp_targetILNS1_3genE9ELNS1_11target_archE1100ELNS1_3gpuE3ELNS1_3repE0EEENS1_30default_config_static_selectorELNS0_4arch9wavefront6targetE0EEEvT1_
; %bb.0:
	s_load_b256 s[4:11], s[0:1], 0x0
	s_waitcnt lgkmcnt(0)
	s_lshl_b64 s[6:7], s[6:7], 1
	s_delay_alu instid0(SALU_CYCLE_1)
	s_add_u32 s17, s4, s6
	s_addc_u32 s18, s5, s7
	s_add_u32 s2, 0, 0x45249
	s_addc_u32 s3, 0, 0
	;; [unrolled: 2-line block ×3, first 2 shown]
	s_addc_u32 s3, 0, 0
	s_add_u32 s2, s2, 0
	s_addc_u32 s3, 0, s3
	v_add_co_u32 v1, s2, 0x92492040, s2
	s_delay_alu instid0(VALU_DEP_1) | instskip(SKIP_1) | instid1(VALU_DEP_1)
	s_cmp_lg_u32 s2, 0
	s_addc_u32 s2, s3, 0x924924
	v_readfirstlane_b32 s3, v1
	s_mul_i32 s5, s10, s2
	s_mul_hi_u32 s4, s10, s2
	s_mul_hi_u32 s12, s11, s2
	s_mul_i32 s2, s11, s2
	s_mul_hi_u32 s13, s10, s3
	s_mul_hi_u32 s14, s11, s3
	s_mul_i32 s3, s11, s3
	s_add_u32 s5, s13, s5
	s_addc_u32 s4, 0, s4
	s_add_u32 s3, s5, s3
	s_addc_u32 s3, s4, s14
	s_addc_u32 s4, s12, 0
	s_add_u32 s5, s3, s2
	s_addc_u32 s4, 0, s4
	s_mul_i32 s3, s5, 0x1c0
	s_add_u32 s2, s5, 1
	v_sub_co_u32 v1, s3, s10, s3
	s_mul_hi_u32 s12, s5, 0x1c0
	s_addc_u32 s13, s4, 0
	s_mul_i32 s14, s4, 0x1c0
	s_delay_alu instid0(VALU_DEP_1)
	v_subrev_co_u32 v2, s16, 0x1c0, v1
	s_add_u32 s19, s5, 2
	s_addc_u32 s20, s4, 0
	s_add_i32 s12, s12, s14
	s_cmp_lg_u32 s3, 0
	v_readfirstlane_b32 s3, v2
	s_subb_u32 s12, s11, s12
	s_cmp_lg_u32 s16, 0
	s_subb_u32 s14, s12, 0
	s_delay_alu instid0(VALU_DEP_1) | instskip(SKIP_4) | instid1(SALU_CYCLE_1)
	s_cmpk_gt_u32 s3, 0x1bf
	s_cselect_b32 s3, -1, 0
	s_cmp_eq_u32 s14, 0
	v_readfirstlane_b32 s14, v1
	s_cselect_b32 s3, s3, -1
	s_cmp_lg_u32 s3, 0
	s_cselect_b32 s16, s19, s2
	s_cselect_b32 s13, s20, s13
	s_cmpk_gt_u32 s14, 0x1bf
	s_mov_b32 s14, -1
	s_cselect_b32 s2, -1, 0
	s_cmp_eq_u32 s12, 0
	s_cselect_b32 s2, s2, -1
	s_delay_alu instid0(SALU_CYCLE_1)
	s_cmp_lg_u32 s2, 0
	s_load_b64 s[2:3], s[0:1], 0x30
	s_cselect_b32 s4, s13, s4
	s_cselect_b32 s5, s16, s5
	s_mul_i32 s0, s4, 0x1c0
	s_mul_hi_u32 s1, s5, 0x1c0
	s_mul_i32 s12, s5, 0x1c0
	s_add_i32 s1, s1, s0
	s_sub_u32 s0, s10, s12
	s_subb_u32 s1, s11, s1
	s_delay_alu instid0(SALU_CYCLE_1) | instskip(SKIP_1) | instid1(SALU_CYCLE_1)
	s_cmp_lg_u64 s[0:1], 0
	s_cselect_b32 s0, -1, 0
	v_cndmask_b32_e64 v1, 0, 1, s0
	s_delay_alu instid0(VALU_DEP_1) | instskip(NEXT) | instid1(VALU_DEP_1)
	v_readfirstlane_b32 s0, v1
	s_add_u32 s0, s5, s0
	s_addc_u32 s1, s4, 0
	s_waitcnt lgkmcnt(0)
	s_add_u32 s4, s2, s15
	s_addc_u32 s5, s3, 0
	s_add_u32 s12, s0, -1
	s_addc_u32 s13, s1, -1
	s_mul_i32 s2, s15, 0x1c0
	v_cmp_ge_u64_e64 s16, s[4:5], s[12:13]
	s_mov_b32 s3, 0
	s_mul_i32 s11, s12, 0xfffffe40
	s_delay_alu instid0(VALU_DEP_1)
	s_and_b32 vcc_lo, exec_lo, s16
	s_cbranch_vccz .LBB364_16
; %bb.1:
	s_lshl_b64 s[14:15], s[2:3], 1
	s_add_i32 s19, s11, s10
	s_add_u32 s14, s17, s14
	s_addc_u32 s15, s18, s15
	s_mov_b32 s3, exec_lo
                                        ; implicit-def: $vgpr1_vgpr2_vgpr3_vgpr4
	v_cmpx_gt_u32_e64 s19, v0
	s_cbranch_execz .LBB364_3
; %bb.2:
	v_lshlrev_b32_e32 v1, 1, v0
	global_load_d16_b16 v1, v1, s[14:15]
.LBB364_3:
	s_or_b32 exec_lo, exec_lo, s3
	v_or_b32_e32 v5, 64, v0
	s_mov_b32 s3, exec_lo
	s_delay_alu instid0(VALU_DEP_1)
	v_cmpx_gt_u32_e64 s19, v5
	s_cbranch_execz .LBB364_5
; %bb.4:
	v_lshlrev_b32_e32 v5, 1, v0
	global_load_d16_hi_b16 v1, v5, s[14:15] offset:128
.LBB364_5:
	s_or_b32 exec_lo, exec_lo, s3
	v_or_b32_e32 v5, 0x80, v0
	s_mov_b32 s3, exec_lo
	s_delay_alu instid0(VALU_DEP_1)
	v_cmpx_gt_u32_e64 s19, v5
	s_cbranch_execz .LBB364_7
; %bb.6:
	v_lshlrev_b32_e32 v5, 1, v0
	global_load_d16_b16 v2, v5, s[14:15] offset:256
.LBB364_7:
	s_or_b32 exec_lo, exec_lo, s3
	v_or_b32_e32 v5, 0xc0, v0
	s_mov_b32 s3, exec_lo
	s_delay_alu instid0(VALU_DEP_1)
	v_cmpx_gt_u32_e64 s19, v5
	s_cbranch_execz .LBB364_9
; %bb.8:
	v_lshlrev_b32_e32 v5, 1, v0
	global_load_d16_hi_b16 v2, v5, s[14:15] offset:384
.LBB364_9:
	s_or_b32 exec_lo, exec_lo, s3
	v_or_b32_e32 v5, 0x100, v0
	s_mov_b32 s3, exec_lo
	s_delay_alu instid0(VALU_DEP_1)
	v_cmpx_gt_u32_e64 s19, v5
	s_cbranch_execz .LBB364_11
; %bb.10:
	v_lshlrev_b32_e32 v5, 1, v0
	global_load_d16_b16 v3, v5, s[14:15] offset:512
.LBB364_11:
	;; [unrolled: 20-line block ×3, first 2 shown]
	s_or_b32 exec_lo, exec_lo, s3
	v_lshlrev_b32_e32 v5, 1, v0
	s_mov_b32 s14, 0
	s_waitcnt vmcnt(0)
	ds_store_b16 v5, v1
	ds_store_b16_d16_hi v5, v1 offset:128
	ds_store_b16 v5, v2 offset:256
	ds_store_b16_d16_hi v5, v2 offset:384
	ds_store_b16 v5, v3 offset:512
	ds_store_b16_d16_hi v5, v3 offset:640
	ds_store_b16 v5, v4 offset:768
	s_waitcnt lgkmcnt(0)
	s_barrier
.LBB364_16:
	v_lshlrev_b32_e32 v8, 1, v0
	s_and_b32 vcc_lo, exec_lo, s14
	s_cbranch_vccz .LBB364_18
; %bb.17:
	s_mov_b32 s3, 0
	s_delay_alu instid0(SALU_CYCLE_1) | instskip(NEXT) | instid1(SALU_CYCLE_1)
	s_lshl_b64 s[14:15], s[2:3], 1
	s_add_u32 s14, s17, s14
	s_addc_u32 s15, s18, s15
	s_clause 0x6
	global_load_u16 v1, v8, s[14:15]
	global_load_u16 v2, v8, s[14:15] offset:128
	global_load_u16 v3, v8, s[14:15] offset:256
	;; [unrolled: 1-line block ×6, first 2 shown]
	s_waitcnt vmcnt(6)
	ds_store_b16 v8, v1
	s_waitcnt vmcnt(5)
	ds_store_b16 v8, v2 offset:128
	s_waitcnt vmcnt(4)
	ds_store_b16 v8, v3 offset:256
	;; [unrolled: 2-line block ×6, first 2 shown]
	s_waitcnt lgkmcnt(0)
	s_barrier
.LBB364_18:
	v_mul_u32_u24_e32 v1, 7, v0
	buffer_gl0_inv
	s_cmp_eq_u64 s[4:5], 0
	v_lshlrev_b32_e32 v1, 1, v1
	ds_load_b96 v[5:7], v1
	ds_load_u16 v11, v1 offset:12
	s_waitcnt lgkmcnt(0)
	s_barrier
	buffer_gl0_inv
	v_lshrrev_b32_e32 v10, 16, v5
	v_lshrrev_b32_e32 v12, 16, v6
	;; [unrolled: 1-line block ×3, first 2 shown]
	s_cbranch_scc1 .LBB364_23
; %bb.19:
	s_mov_b32 s3, 0
	v_mov_b32_e32 v1, 0
	s_lshl_b64 s[14:15], s[2:3], 1
	s_delay_alu instid0(SALU_CYCLE_1)
	s_add_u32 s14, s17, s14
	s_addc_u32 s15, s18, s15
	s_cmp_eq_u64 s[4:5], s[12:13]
	global_load_u16 v15, v1, s[14:15] offset:-2
	s_cbranch_scc1 .LBB364_24
; %bb.20:
	v_sub_nc_u16 v3, v13, v7
	v_sub_nc_u16 v4, v7, v12
	;; [unrolled: 1-line block ×5, first 2 shown]
	s_waitcnt vmcnt(0)
	v_mov_b32_e32 v14, v15
	s_mov_b32 s3, exec_lo
	ds_store_b16 v8, v11
	s_waitcnt lgkmcnt(0)
	s_barrier
	buffer_gl0_inv
	v_cmpx_ne_u32_e32 0, v0
	s_cbranch_execz .LBB364_22
; %bb.21:
	v_add_nc_u32_e32 v9, -2, v8
	ds_load_u16 v14, v9
.LBB364_22:
	s_or_b32 exec_lo, exec_lo, s3
	v_sub_nc_u16 v9, v11, v13
	v_lshlrev_b32_e32 v1, 16, v1
	v_perm_b32 v2, v2, v16, 0x5040100
	v_perm_b32 v3, v3, v4, 0x5040100
	s_cbranch_execz .LBB364_25
	s_branch .LBB364_28
.LBB364_23:
	s_mov_b32 s3, 0
                                        ; implicit-def: $vgpr9
                                        ; implicit-def: $vgpr14
                                        ; implicit-def: $vgpr1_vgpr2_vgpr3_vgpr4
	s_branch .LBB364_29
.LBB364_24:
                                        ; implicit-def: $vgpr9
                                        ; implicit-def: $vgpr14
                                        ; implicit-def: $vgpr1_vgpr2_vgpr3_vgpr4
.LBB364_25:
	v_mul_u32_u24_e32 v4, 7, v0
	s_mov_b32 s3, exec_lo
	ds_store_b16 v8, v11
	s_waitcnt vmcnt(0) lgkmcnt(0)
	s_barrier
	buffer_gl0_inv
	v_cmpx_ne_u32_e32 0, v0
	s_cbranch_execz .LBB364_27
; %bb.26:
	v_add_nc_u32_e32 v1, -2, v8
	ds_load_u16 v15, v1
.LBB364_27:
	s_or_b32 exec_lo, exec_lo, s3
	v_sub_nc_u16 v3, v11, v13
	v_add_nc_u32_e32 v2, 6, v4
	s_mul_i32 s3, s4, 0xfffffe40
	v_sub_nc_u16 v1, v13, v7
	s_add_i32 s3, s3, s10
	v_lshlrev_b32_e32 v16, 16, v13
	v_cmp_gt_u32_e32 vcc_lo, s3, v2
	v_sub_nc_u16 v2, v12, v6
	v_lshlrev_b32_e32 v21, 16, v10
	v_sub_nc_u16 v17, v7, v12
	v_dual_cndmask_b32 v9, v11, v3 :: v_dual_add_nc_u32 v20, 1, v4
	s_delay_alu instid0(VALU_DEP_4) | instskip(SKIP_3) | instid1(VALU_DEP_2)
	v_lshlrev_b32_e32 v2, 16, v2
	v_lshlrev_b32_e32 v1, 16, v1
	v_add_nc_u32_e32 v14, 5, v4
	v_add_nc_u32_e32 v3, 3, v4
	v_cmp_gt_u32_e32 vcc_lo, s3, v14
	s_delay_alu instid0(VALU_DEP_4) | instskip(NEXT) | instid1(VALU_DEP_3)
	v_dual_cndmask_b32 v1, v16, v1 :: v_dual_add_nc_u32 v16, 4, v4
	v_cmp_gt_u32_e32 vcc_lo, s3, v3
	v_sub_nc_u16 v3, v6, v10
	s_delay_alu instid0(VALU_DEP_3) | instskip(SKIP_3) | instid1(VALU_DEP_2)
	v_bfi_b32 v18, 0xffff, v7, v1
	v_bfi_b32 v1, 0xffff, v17, v1
	v_lshlrev_b32_e32 v14, 16, v12
	v_sub_nc_u16 v17, v10, v5
	v_cndmask_b32_e32 v2, v14, v2, vcc_lo
	v_add_nc_u32_e32 v14, 2, v4
	v_cmp_gt_u32_e32 vcc_lo, s3, v16
	s_delay_alu instid0(VALU_DEP_4) | instskip(NEXT) | instid1(VALU_DEP_4)
	v_lshlrev_b32_e32 v17, 16, v17
	v_bfi_b32 v19, 0xffff, v6, v2
	v_bfi_b32 v2, 0xffff, v3, v2
	v_cndmask_b32_e32 v3, v18, v1, vcc_lo
	v_cmp_gt_u32_e32 vcc_lo, s3, v14
	s_delay_alu instid0(VALU_DEP_3)
	v_cndmask_b32_e32 v2, v19, v2, vcc_lo
	v_cmp_gt_u32_e32 vcc_lo, s3, v20
	v_cndmask_b32_e32 v1, v21, v17, vcc_lo
	v_cmp_gt_u32_e32 vcc_lo, s3, v4
	s_waitcnt lgkmcnt(0)
	v_cndmask_b32_e32 v14, 0, v15, vcc_lo
.LBB364_28:
	s_mov_b32 s3, -1
	s_cbranch_execnz .LBB364_37
.LBB364_29:
	s_delay_alu instid0(VALU_DEP_1)
	v_sub_nc_u16 v9, v11, v13
	v_sub_nc_u16 v19, v13, v7
	;; [unrolled: 1-line block ×4, first 2 shown]
	s_waitcnt vmcnt(0)
	v_sub_nc_u16 v15, v6, v10
	v_sub_nc_u16 v16, v10, v5
	v_cmp_ne_u32_e32 vcc_lo, 0, v0
	s_cmp_lg_u64 s[0:1], 1
	s_cbranch_scc0 .LBB364_33
; %bb.30:
	v_perm_b32 v3, v19, v18, 0x5040100
	v_perm_b32 v2, v17, v15, 0x5040100
	;; [unrolled: 1-line block ×3, first 2 shown]
	s_mov_b32 s0, 0
	ds_store_b16 v8, v11
	s_waitcnt lgkmcnt(0)
	s_barrier
	buffer_gl0_inv
                                        ; implicit-def: $vgpr14
	s_and_saveexec_b32 s1, vcc_lo
	s_cbranch_execz .LBB364_32
; %bb.31:
	v_add_nc_u32_e32 v4, -2, v8
	s_or_b32 s3, s3, exec_lo
	ds_load_u16 v14, v4
.LBB364_32:
	s_or_b32 exec_lo, exec_lo, s1
	s_delay_alu instid0(SALU_CYCLE_1)
	s_and_b32 vcc_lo, exec_lo, s0
	s_cbranch_vccnz .LBB364_34
	s_branch .LBB364_37
.LBB364_33:
                                        ; implicit-def: $vgpr14
                                        ; implicit-def: $vgpr1_vgpr2_vgpr3_vgpr4
	s_cbranch_execz .LBB364_37
.LBB364_34:
	v_mad_u32_u24 v1, v0, 7, 5
	v_lshlrev_b32_e32 v3, 16, v19
	v_lshlrev_b32_e32 v12, 16, v12
	s_waitcnt lgkmcnt(0)
	v_lshlrev_b32_e32 v14, 16, v17
	v_lshlrev_b32_e32 v2, 16, v13
	v_cmp_gt_u32_e32 vcc_lo, s10, v1
	v_mad_u32_u24 v4, v0, 7, 4
	v_mad_u32_u24 v13, v0, 7, 3
	ds_store_b16 v8, v11
	s_waitcnt lgkmcnt(0)
	v_cndmask_b32_e32 v1, v2, v3, vcc_lo
	v_mad_u32_u24 v3, v0, 7, 6
	v_mul_u32_u24_e32 v2, 7, v0
	s_barrier
	buffer_gl0_inv
	v_bfi_b32 v7, 0xffff, v7, v1
	v_cmp_gt_u32_e32 vcc_lo, s10, v3
	v_bfi_b32 v1, 0xffff, v18, v1
	v_cmp_gt_u32_e64 s0, s10, v2
	v_cndmask_b32_e32 v9, v11, v9, vcc_lo
	v_cmp_gt_u32_e32 vcc_lo, s10, v4
	v_mad_u32_u24 v4, v0, 7, 1
	v_mad_u32_u24 v11, v0, 7, 2
	v_cndmask_b32_e32 v3, v7, v1, vcc_lo
	v_cmp_gt_u32_e32 vcc_lo, s10, v13
	v_lshlrev_b32_e32 v7, 16, v10
	v_lshlrev_b32_e32 v10, 16, v16
	v_cmp_gt_u32_e64 s1, s10, v11
	v_cndmask_b32_e32 v1, v12, v14, vcc_lo
	v_cmp_gt_u32_e32 vcc_lo, s10, v4
                                        ; implicit-def: $vgpr14
	s_delay_alu instid0(VALU_DEP_2) | instskip(SKIP_3) | instid1(VALU_DEP_3)
	v_bfi_b32 v6, 0xffff, v6, v1
	v_bfi_b32 v1, 0xffff, v15, v1
	v_cndmask_b32_e32 v4, v7, v10, vcc_lo
	v_cmp_ne_u32_e32 vcc_lo, 0, v0
	v_cndmask_b32_e64 v2, v6, v1, s1
	s_delay_alu instid0(VALU_DEP_3) | instskip(SKIP_1) | instid1(SALU_CYCLE_1)
	v_bfi_b32 v1, 0xffff, v5, v4
	s_and_b32 s1, vcc_lo, s0
	s_and_saveexec_b32 s0, s1
	s_cbranch_execz .LBB364_36
; %bb.35:
	v_add_nc_u32_e32 v4, -2, v8
	s_or_b32 s3, s3, exec_lo
	ds_load_u16 v14, v4
.LBB364_36:
	s_or_b32 exec_lo, exec_lo, s0
.LBB364_37:
	s_and_saveexec_b32 s0, s3
	s_cbranch_execz .LBB364_39
; %bb.38:
	s_waitcnt lgkmcnt(0)
	v_sub_nc_u16 v4, v5, v14
	s_delay_alu instid0(VALU_DEP_1)
	v_bfi_b32 v1, 0xffff, v4, v1
.LBB364_39:
	s_or_b32 exec_lo, exec_lo, s0
	v_mul_u32_u24_e32 v6, 14, v0
	v_mul_i32_i24_e32 v7, -12, v0
	s_add_u32 s0, s8, s6
	s_addc_u32 s1, s9, s7
	s_and_b32 vcc_lo, exec_lo, s16
	s_waitcnt vmcnt(0) lgkmcnt(0)
	s_barrier
	buffer_gl0_inv
	s_cbranch_vccz .LBB364_53
; %bb.40:
	v_mad_u32_u24 v4, v0, 14, v7
	ds_store_b96 v6, v[1:3]
	ds_store_b16 v6, v9 offset:12
	s_waitcnt lgkmcnt(0)
	s_barrier
	buffer_gl0_inv
	ds_load_u16 v15, v4 offset:128
	ds_load_u16 v14, v4 offset:256
	;; [unrolled: 1-line block ×6, first 2 shown]
	s_mov_b32 s3, 0
	s_add_i32 s11, s11, s10
	s_lshl_b64 s[4:5], s[2:3], 1
	s_delay_alu instid0(SALU_CYCLE_1) | instskip(SKIP_2) | instid1(VALU_DEP_1)
	s_add_u32 s3, s0, s4
	s_addc_u32 s4, s1, s5
	v_add_co_u32 v4, s3, s3, v8
	v_add_co_ci_u32_e64 v5, null, s4, 0, s3
	s_mov_b32 s3, exec_lo
	v_cmpx_gt_u32_e64 s11, v0
	s_cbranch_execz .LBB364_42
; %bb.41:
	v_add_nc_u32_e32 v16, v6, v7
	ds_load_u16 v16, v16
	s_waitcnt lgkmcnt(0)
	global_store_b16 v[4:5], v16, off
.LBB364_42:
	s_or_b32 exec_lo, exec_lo, s3
	v_or_b32_e32 v16, 64, v0
	s_mov_b32 s3, exec_lo
	s_delay_alu instid0(VALU_DEP_1)
	v_cmpx_gt_u32_e64 s11, v16
	s_cbranch_execz .LBB364_44
; %bb.43:
	s_waitcnt lgkmcnt(5)
	global_store_b16 v[4:5], v15, off offset:128
.LBB364_44:
	s_or_b32 exec_lo, exec_lo, s3
	s_waitcnt lgkmcnt(5)
	v_or_b32_e32 v15, 0x80, v0
	s_mov_b32 s3, exec_lo
	s_delay_alu instid0(VALU_DEP_1)
	v_cmpx_gt_u32_e64 s11, v15
	s_cbranch_execz .LBB364_46
; %bb.45:
	s_waitcnt lgkmcnt(4)
	global_store_b16 v[4:5], v14, off offset:256
.LBB364_46:
	s_or_b32 exec_lo, exec_lo, s3
	s_waitcnt lgkmcnt(4)
	;; [unrolled: 11-line block ×5, first 2 shown]
	v_or_b32_e32 v11, 0x180, v0
	s_delay_alu instid0(VALU_DEP_1)
	v_cmp_gt_u32_e64 s4, s11, v11
	s_branch .LBB364_55
.LBB364_53:
	s_mov_b32 s4, 0
                                        ; implicit-def: $vgpr10
                                        ; implicit-def: $vgpr4_vgpr5
	s_cbranch_execz .LBB364_55
; %bb.54:
	v_mad_u32_u24 v0, v0, 14, v7
	ds_store_b96 v6, v[1:3]
	ds_store_b16 v6, v9 offset:12
	s_waitcnt lgkmcnt(0)
	s_waitcnt_vscnt null, 0x0
	s_barrier
	buffer_gl0_inv
	ds_load_u16 v1, v0
	ds_load_u16 v2, v0 offset:128
	ds_load_u16 v3, v0 offset:256
	ds_load_u16 v6, v0 offset:384
	ds_load_u16 v7, v0 offset:512
	ds_load_u16 v9, v0 offset:640
	ds_load_u16 v10, v0 offset:768
	s_mov_b32 s3, 0
	s_delay_alu instid0(SALU_CYCLE_1) | instskip(NEXT) | instid1(SALU_CYCLE_1)
	s_lshl_b64 s[2:3], s[2:3], 1
	s_add_u32 s0, s0, s2
	s_addc_u32 s1, s1, s3
	v_add_co_u32 v4, s2, s0, v8
	s_delay_alu instid0(VALU_DEP_1)
	v_add_co_ci_u32_e64 v5, null, s1, 0, s2
	s_or_b32 s4, s4, exec_lo
	s_waitcnt lgkmcnt(6)
	global_store_b16 v8, v1, s[0:1]
	s_waitcnt lgkmcnt(5)
	global_store_b16 v8, v2, s[0:1] offset:128
	s_waitcnt lgkmcnt(4)
	global_store_b16 v8, v3, s[0:1] offset:256
	;; [unrolled: 2-line block ×5, first 2 shown]
.LBB364_55:
	s_delay_alu instid0(VALU_DEP_1)
	s_and_saveexec_b32 s0, s4
	s_cbranch_execnz .LBB364_57
; %bb.56:
	s_nop 0
	s_sendmsg sendmsg(MSG_DEALLOC_VGPRS)
	s_endpgm
.LBB364_57:
	s_waitcnt lgkmcnt(0)
	global_store_b16 v[4:5], v10, off offset:768
	s_nop 0
	s_sendmsg sendmsg(MSG_DEALLOC_VGPRS)
	s_endpgm
	.section	.rodata,"a",@progbits
	.p2align	6, 0x0
	.amdhsa_kernel _ZN7rocprim17ROCPRIM_400000_NS6detail17trampoline_kernelINS0_14default_configENS1_35adjacent_difference_config_selectorILb0EsEEZNS1_24adjacent_difference_implIS3_Lb0ELb0EPsS7_N6thrust23THRUST_200600_302600_NS5minusIsEEEE10hipError_tPvRmT2_T3_mT4_P12ihipStream_tbEUlT_E_NS1_11comp_targetILNS1_3genE9ELNS1_11target_archE1100ELNS1_3gpuE3ELNS1_3repE0EEENS1_30default_config_static_selectorELNS0_4arch9wavefront6targetE0EEEvT1_
		.amdhsa_group_segment_fixed_size 896
		.amdhsa_private_segment_fixed_size 0
		.amdhsa_kernarg_size 56
		.amdhsa_user_sgpr_count 15
		.amdhsa_user_sgpr_dispatch_ptr 0
		.amdhsa_user_sgpr_queue_ptr 0
		.amdhsa_user_sgpr_kernarg_segment_ptr 1
		.amdhsa_user_sgpr_dispatch_id 0
		.amdhsa_user_sgpr_private_segment_size 0
		.amdhsa_wavefront_size32 1
		.amdhsa_uses_dynamic_stack 0
		.amdhsa_enable_private_segment 0
		.amdhsa_system_sgpr_workgroup_id_x 1
		.amdhsa_system_sgpr_workgroup_id_y 0
		.amdhsa_system_sgpr_workgroup_id_z 0
		.amdhsa_system_sgpr_workgroup_info 0
		.amdhsa_system_vgpr_workitem_id 0
		.amdhsa_next_free_vgpr 22
		.amdhsa_next_free_sgpr 21
		.amdhsa_reserve_vcc 1
		.amdhsa_float_round_mode_32 0
		.amdhsa_float_round_mode_16_64 0
		.amdhsa_float_denorm_mode_32 3
		.amdhsa_float_denorm_mode_16_64 3
		.amdhsa_dx10_clamp 1
		.amdhsa_ieee_mode 1
		.amdhsa_fp16_overflow 0
		.amdhsa_workgroup_processor_mode 1
		.amdhsa_memory_ordered 1
		.amdhsa_forward_progress 0
		.amdhsa_shared_vgpr_count 0
		.amdhsa_exception_fp_ieee_invalid_op 0
		.amdhsa_exception_fp_denorm_src 0
		.amdhsa_exception_fp_ieee_div_zero 0
		.amdhsa_exception_fp_ieee_overflow 0
		.amdhsa_exception_fp_ieee_underflow 0
		.amdhsa_exception_fp_ieee_inexact 0
		.amdhsa_exception_int_div_zero 0
	.end_amdhsa_kernel
	.section	.text._ZN7rocprim17ROCPRIM_400000_NS6detail17trampoline_kernelINS0_14default_configENS1_35adjacent_difference_config_selectorILb0EsEEZNS1_24adjacent_difference_implIS3_Lb0ELb0EPsS7_N6thrust23THRUST_200600_302600_NS5minusIsEEEE10hipError_tPvRmT2_T3_mT4_P12ihipStream_tbEUlT_E_NS1_11comp_targetILNS1_3genE9ELNS1_11target_archE1100ELNS1_3gpuE3ELNS1_3repE0EEENS1_30default_config_static_selectorELNS0_4arch9wavefront6targetE0EEEvT1_,"axG",@progbits,_ZN7rocprim17ROCPRIM_400000_NS6detail17trampoline_kernelINS0_14default_configENS1_35adjacent_difference_config_selectorILb0EsEEZNS1_24adjacent_difference_implIS3_Lb0ELb0EPsS7_N6thrust23THRUST_200600_302600_NS5minusIsEEEE10hipError_tPvRmT2_T3_mT4_P12ihipStream_tbEUlT_E_NS1_11comp_targetILNS1_3genE9ELNS1_11target_archE1100ELNS1_3gpuE3ELNS1_3repE0EEENS1_30default_config_static_selectorELNS0_4arch9wavefront6targetE0EEEvT1_,comdat
.Lfunc_end364:
	.size	_ZN7rocprim17ROCPRIM_400000_NS6detail17trampoline_kernelINS0_14default_configENS1_35adjacent_difference_config_selectorILb0EsEEZNS1_24adjacent_difference_implIS3_Lb0ELb0EPsS7_N6thrust23THRUST_200600_302600_NS5minusIsEEEE10hipError_tPvRmT2_T3_mT4_P12ihipStream_tbEUlT_E_NS1_11comp_targetILNS1_3genE9ELNS1_11target_archE1100ELNS1_3gpuE3ELNS1_3repE0EEENS1_30default_config_static_selectorELNS0_4arch9wavefront6targetE0EEEvT1_, .Lfunc_end364-_ZN7rocprim17ROCPRIM_400000_NS6detail17trampoline_kernelINS0_14default_configENS1_35adjacent_difference_config_selectorILb0EsEEZNS1_24adjacent_difference_implIS3_Lb0ELb0EPsS7_N6thrust23THRUST_200600_302600_NS5minusIsEEEE10hipError_tPvRmT2_T3_mT4_P12ihipStream_tbEUlT_E_NS1_11comp_targetILNS1_3genE9ELNS1_11target_archE1100ELNS1_3gpuE3ELNS1_3repE0EEENS1_30default_config_static_selectorELNS0_4arch9wavefront6targetE0EEEvT1_
                                        ; -- End function
	.section	.AMDGPU.csdata,"",@progbits
; Kernel info:
; codeLenInByte = 2820
; NumSgprs: 23
; NumVgprs: 22
; ScratchSize: 0
; MemoryBound: 0
; FloatMode: 240
; IeeeMode: 1
; LDSByteSize: 896 bytes/workgroup (compile time only)
; SGPRBlocks: 2
; VGPRBlocks: 2
; NumSGPRsForWavesPerEU: 23
; NumVGPRsForWavesPerEU: 22
; Occupancy: 16
; WaveLimiterHint : 1
; COMPUTE_PGM_RSRC2:SCRATCH_EN: 0
; COMPUTE_PGM_RSRC2:USER_SGPR: 15
; COMPUTE_PGM_RSRC2:TRAP_HANDLER: 0
; COMPUTE_PGM_RSRC2:TGID_X_EN: 1
; COMPUTE_PGM_RSRC2:TGID_Y_EN: 0
; COMPUTE_PGM_RSRC2:TGID_Z_EN: 0
; COMPUTE_PGM_RSRC2:TIDIG_COMP_CNT: 0
	.section	.text._ZN7rocprim17ROCPRIM_400000_NS6detail17trampoline_kernelINS0_14default_configENS1_35adjacent_difference_config_selectorILb0EsEEZNS1_24adjacent_difference_implIS3_Lb0ELb0EPsS7_N6thrust23THRUST_200600_302600_NS5minusIsEEEE10hipError_tPvRmT2_T3_mT4_P12ihipStream_tbEUlT_E_NS1_11comp_targetILNS1_3genE8ELNS1_11target_archE1030ELNS1_3gpuE2ELNS1_3repE0EEENS1_30default_config_static_selectorELNS0_4arch9wavefront6targetE0EEEvT1_,"axG",@progbits,_ZN7rocprim17ROCPRIM_400000_NS6detail17trampoline_kernelINS0_14default_configENS1_35adjacent_difference_config_selectorILb0EsEEZNS1_24adjacent_difference_implIS3_Lb0ELb0EPsS7_N6thrust23THRUST_200600_302600_NS5minusIsEEEE10hipError_tPvRmT2_T3_mT4_P12ihipStream_tbEUlT_E_NS1_11comp_targetILNS1_3genE8ELNS1_11target_archE1030ELNS1_3gpuE2ELNS1_3repE0EEENS1_30default_config_static_selectorELNS0_4arch9wavefront6targetE0EEEvT1_,comdat
	.protected	_ZN7rocprim17ROCPRIM_400000_NS6detail17trampoline_kernelINS0_14default_configENS1_35adjacent_difference_config_selectorILb0EsEEZNS1_24adjacent_difference_implIS3_Lb0ELb0EPsS7_N6thrust23THRUST_200600_302600_NS5minusIsEEEE10hipError_tPvRmT2_T3_mT4_P12ihipStream_tbEUlT_E_NS1_11comp_targetILNS1_3genE8ELNS1_11target_archE1030ELNS1_3gpuE2ELNS1_3repE0EEENS1_30default_config_static_selectorELNS0_4arch9wavefront6targetE0EEEvT1_ ; -- Begin function _ZN7rocprim17ROCPRIM_400000_NS6detail17trampoline_kernelINS0_14default_configENS1_35adjacent_difference_config_selectorILb0EsEEZNS1_24adjacent_difference_implIS3_Lb0ELb0EPsS7_N6thrust23THRUST_200600_302600_NS5minusIsEEEE10hipError_tPvRmT2_T3_mT4_P12ihipStream_tbEUlT_E_NS1_11comp_targetILNS1_3genE8ELNS1_11target_archE1030ELNS1_3gpuE2ELNS1_3repE0EEENS1_30default_config_static_selectorELNS0_4arch9wavefront6targetE0EEEvT1_
	.globl	_ZN7rocprim17ROCPRIM_400000_NS6detail17trampoline_kernelINS0_14default_configENS1_35adjacent_difference_config_selectorILb0EsEEZNS1_24adjacent_difference_implIS3_Lb0ELb0EPsS7_N6thrust23THRUST_200600_302600_NS5minusIsEEEE10hipError_tPvRmT2_T3_mT4_P12ihipStream_tbEUlT_E_NS1_11comp_targetILNS1_3genE8ELNS1_11target_archE1030ELNS1_3gpuE2ELNS1_3repE0EEENS1_30default_config_static_selectorELNS0_4arch9wavefront6targetE0EEEvT1_
	.p2align	8
	.type	_ZN7rocprim17ROCPRIM_400000_NS6detail17trampoline_kernelINS0_14default_configENS1_35adjacent_difference_config_selectorILb0EsEEZNS1_24adjacent_difference_implIS3_Lb0ELb0EPsS7_N6thrust23THRUST_200600_302600_NS5minusIsEEEE10hipError_tPvRmT2_T3_mT4_P12ihipStream_tbEUlT_E_NS1_11comp_targetILNS1_3genE8ELNS1_11target_archE1030ELNS1_3gpuE2ELNS1_3repE0EEENS1_30default_config_static_selectorELNS0_4arch9wavefront6targetE0EEEvT1_,@function
_ZN7rocprim17ROCPRIM_400000_NS6detail17trampoline_kernelINS0_14default_configENS1_35adjacent_difference_config_selectorILb0EsEEZNS1_24adjacent_difference_implIS3_Lb0ELb0EPsS7_N6thrust23THRUST_200600_302600_NS5minusIsEEEE10hipError_tPvRmT2_T3_mT4_P12ihipStream_tbEUlT_E_NS1_11comp_targetILNS1_3genE8ELNS1_11target_archE1030ELNS1_3gpuE2ELNS1_3repE0EEENS1_30default_config_static_selectorELNS0_4arch9wavefront6targetE0EEEvT1_: ; @_ZN7rocprim17ROCPRIM_400000_NS6detail17trampoline_kernelINS0_14default_configENS1_35adjacent_difference_config_selectorILb0EsEEZNS1_24adjacent_difference_implIS3_Lb0ELb0EPsS7_N6thrust23THRUST_200600_302600_NS5minusIsEEEE10hipError_tPvRmT2_T3_mT4_P12ihipStream_tbEUlT_E_NS1_11comp_targetILNS1_3genE8ELNS1_11target_archE1030ELNS1_3gpuE2ELNS1_3repE0EEENS1_30default_config_static_selectorELNS0_4arch9wavefront6targetE0EEEvT1_
; %bb.0:
	.section	.rodata,"a",@progbits
	.p2align	6, 0x0
	.amdhsa_kernel _ZN7rocprim17ROCPRIM_400000_NS6detail17trampoline_kernelINS0_14default_configENS1_35adjacent_difference_config_selectorILb0EsEEZNS1_24adjacent_difference_implIS3_Lb0ELb0EPsS7_N6thrust23THRUST_200600_302600_NS5minusIsEEEE10hipError_tPvRmT2_T3_mT4_P12ihipStream_tbEUlT_E_NS1_11comp_targetILNS1_3genE8ELNS1_11target_archE1030ELNS1_3gpuE2ELNS1_3repE0EEENS1_30default_config_static_selectorELNS0_4arch9wavefront6targetE0EEEvT1_
		.amdhsa_group_segment_fixed_size 0
		.amdhsa_private_segment_fixed_size 0
		.amdhsa_kernarg_size 56
		.amdhsa_user_sgpr_count 15
		.amdhsa_user_sgpr_dispatch_ptr 0
		.amdhsa_user_sgpr_queue_ptr 0
		.amdhsa_user_sgpr_kernarg_segment_ptr 1
		.amdhsa_user_sgpr_dispatch_id 0
		.amdhsa_user_sgpr_private_segment_size 0
		.amdhsa_wavefront_size32 1
		.amdhsa_uses_dynamic_stack 0
		.amdhsa_enable_private_segment 0
		.amdhsa_system_sgpr_workgroup_id_x 1
		.amdhsa_system_sgpr_workgroup_id_y 0
		.amdhsa_system_sgpr_workgroup_id_z 0
		.amdhsa_system_sgpr_workgroup_info 0
		.amdhsa_system_vgpr_workitem_id 0
		.amdhsa_next_free_vgpr 1
		.amdhsa_next_free_sgpr 1
		.amdhsa_reserve_vcc 0
		.amdhsa_float_round_mode_32 0
		.amdhsa_float_round_mode_16_64 0
		.amdhsa_float_denorm_mode_32 3
		.amdhsa_float_denorm_mode_16_64 3
		.amdhsa_dx10_clamp 1
		.amdhsa_ieee_mode 1
		.amdhsa_fp16_overflow 0
		.amdhsa_workgroup_processor_mode 1
		.amdhsa_memory_ordered 1
		.amdhsa_forward_progress 0
		.amdhsa_shared_vgpr_count 0
		.amdhsa_exception_fp_ieee_invalid_op 0
		.amdhsa_exception_fp_denorm_src 0
		.amdhsa_exception_fp_ieee_div_zero 0
		.amdhsa_exception_fp_ieee_overflow 0
		.amdhsa_exception_fp_ieee_underflow 0
		.amdhsa_exception_fp_ieee_inexact 0
		.amdhsa_exception_int_div_zero 0
	.end_amdhsa_kernel
	.section	.text._ZN7rocprim17ROCPRIM_400000_NS6detail17trampoline_kernelINS0_14default_configENS1_35adjacent_difference_config_selectorILb0EsEEZNS1_24adjacent_difference_implIS3_Lb0ELb0EPsS7_N6thrust23THRUST_200600_302600_NS5minusIsEEEE10hipError_tPvRmT2_T3_mT4_P12ihipStream_tbEUlT_E_NS1_11comp_targetILNS1_3genE8ELNS1_11target_archE1030ELNS1_3gpuE2ELNS1_3repE0EEENS1_30default_config_static_selectorELNS0_4arch9wavefront6targetE0EEEvT1_,"axG",@progbits,_ZN7rocprim17ROCPRIM_400000_NS6detail17trampoline_kernelINS0_14default_configENS1_35adjacent_difference_config_selectorILb0EsEEZNS1_24adjacent_difference_implIS3_Lb0ELb0EPsS7_N6thrust23THRUST_200600_302600_NS5minusIsEEEE10hipError_tPvRmT2_T3_mT4_P12ihipStream_tbEUlT_E_NS1_11comp_targetILNS1_3genE8ELNS1_11target_archE1030ELNS1_3gpuE2ELNS1_3repE0EEENS1_30default_config_static_selectorELNS0_4arch9wavefront6targetE0EEEvT1_,comdat
.Lfunc_end365:
	.size	_ZN7rocprim17ROCPRIM_400000_NS6detail17trampoline_kernelINS0_14default_configENS1_35adjacent_difference_config_selectorILb0EsEEZNS1_24adjacent_difference_implIS3_Lb0ELb0EPsS7_N6thrust23THRUST_200600_302600_NS5minusIsEEEE10hipError_tPvRmT2_T3_mT4_P12ihipStream_tbEUlT_E_NS1_11comp_targetILNS1_3genE8ELNS1_11target_archE1030ELNS1_3gpuE2ELNS1_3repE0EEENS1_30default_config_static_selectorELNS0_4arch9wavefront6targetE0EEEvT1_, .Lfunc_end365-_ZN7rocprim17ROCPRIM_400000_NS6detail17trampoline_kernelINS0_14default_configENS1_35adjacent_difference_config_selectorILb0EsEEZNS1_24adjacent_difference_implIS3_Lb0ELb0EPsS7_N6thrust23THRUST_200600_302600_NS5minusIsEEEE10hipError_tPvRmT2_T3_mT4_P12ihipStream_tbEUlT_E_NS1_11comp_targetILNS1_3genE8ELNS1_11target_archE1030ELNS1_3gpuE2ELNS1_3repE0EEENS1_30default_config_static_selectorELNS0_4arch9wavefront6targetE0EEEvT1_
                                        ; -- End function
	.section	.AMDGPU.csdata,"",@progbits
; Kernel info:
; codeLenInByte = 0
; NumSgprs: 0
; NumVgprs: 0
; ScratchSize: 0
; MemoryBound: 0
; FloatMode: 240
; IeeeMode: 1
; LDSByteSize: 0 bytes/workgroup (compile time only)
; SGPRBlocks: 0
; VGPRBlocks: 0
; NumSGPRsForWavesPerEU: 1
; NumVGPRsForWavesPerEU: 1
; Occupancy: 16
; WaveLimiterHint : 0
; COMPUTE_PGM_RSRC2:SCRATCH_EN: 0
; COMPUTE_PGM_RSRC2:USER_SGPR: 15
; COMPUTE_PGM_RSRC2:TRAP_HANDLER: 0
; COMPUTE_PGM_RSRC2:TGID_X_EN: 1
; COMPUTE_PGM_RSRC2:TGID_Y_EN: 0
; COMPUTE_PGM_RSRC2:TGID_Z_EN: 0
; COMPUTE_PGM_RSRC2:TIDIG_COMP_CNT: 0
	.section	.text._ZN7rocprim17ROCPRIM_400000_NS6detail17trampoline_kernelINS0_14default_configENS1_25transform_config_selectorIsLb0EEEZNS1_14transform_implILb0ES3_S5_NS0_18transform_iteratorINS0_17counting_iteratorImlEEZNS1_24adjacent_difference_implIS3_Lb1ELb0EPsSB_N6thrust23THRUST_200600_302600_NS5minusIsEEEE10hipError_tPvRmT2_T3_mT4_P12ihipStream_tbEUlmE_sEESB_NS0_8identityIvEEEESG_SJ_SK_mSL_SN_bEUlT_E_NS1_11comp_targetILNS1_3genE0ELNS1_11target_archE4294967295ELNS1_3gpuE0ELNS1_3repE0EEENS1_30default_config_static_selectorELNS0_4arch9wavefront6targetE0EEEvT1_,"axG",@progbits,_ZN7rocprim17ROCPRIM_400000_NS6detail17trampoline_kernelINS0_14default_configENS1_25transform_config_selectorIsLb0EEEZNS1_14transform_implILb0ES3_S5_NS0_18transform_iteratorINS0_17counting_iteratorImlEEZNS1_24adjacent_difference_implIS3_Lb1ELb0EPsSB_N6thrust23THRUST_200600_302600_NS5minusIsEEEE10hipError_tPvRmT2_T3_mT4_P12ihipStream_tbEUlmE_sEESB_NS0_8identityIvEEEESG_SJ_SK_mSL_SN_bEUlT_E_NS1_11comp_targetILNS1_3genE0ELNS1_11target_archE4294967295ELNS1_3gpuE0ELNS1_3repE0EEENS1_30default_config_static_selectorELNS0_4arch9wavefront6targetE0EEEvT1_,comdat
	.protected	_ZN7rocprim17ROCPRIM_400000_NS6detail17trampoline_kernelINS0_14default_configENS1_25transform_config_selectorIsLb0EEEZNS1_14transform_implILb0ES3_S5_NS0_18transform_iteratorINS0_17counting_iteratorImlEEZNS1_24adjacent_difference_implIS3_Lb1ELb0EPsSB_N6thrust23THRUST_200600_302600_NS5minusIsEEEE10hipError_tPvRmT2_T3_mT4_P12ihipStream_tbEUlmE_sEESB_NS0_8identityIvEEEESG_SJ_SK_mSL_SN_bEUlT_E_NS1_11comp_targetILNS1_3genE0ELNS1_11target_archE4294967295ELNS1_3gpuE0ELNS1_3repE0EEENS1_30default_config_static_selectorELNS0_4arch9wavefront6targetE0EEEvT1_ ; -- Begin function _ZN7rocprim17ROCPRIM_400000_NS6detail17trampoline_kernelINS0_14default_configENS1_25transform_config_selectorIsLb0EEEZNS1_14transform_implILb0ES3_S5_NS0_18transform_iteratorINS0_17counting_iteratorImlEEZNS1_24adjacent_difference_implIS3_Lb1ELb0EPsSB_N6thrust23THRUST_200600_302600_NS5minusIsEEEE10hipError_tPvRmT2_T3_mT4_P12ihipStream_tbEUlmE_sEESB_NS0_8identityIvEEEESG_SJ_SK_mSL_SN_bEUlT_E_NS1_11comp_targetILNS1_3genE0ELNS1_11target_archE4294967295ELNS1_3gpuE0ELNS1_3repE0EEENS1_30default_config_static_selectorELNS0_4arch9wavefront6targetE0EEEvT1_
	.globl	_ZN7rocprim17ROCPRIM_400000_NS6detail17trampoline_kernelINS0_14default_configENS1_25transform_config_selectorIsLb0EEEZNS1_14transform_implILb0ES3_S5_NS0_18transform_iteratorINS0_17counting_iteratorImlEEZNS1_24adjacent_difference_implIS3_Lb1ELb0EPsSB_N6thrust23THRUST_200600_302600_NS5minusIsEEEE10hipError_tPvRmT2_T3_mT4_P12ihipStream_tbEUlmE_sEESB_NS0_8identityIvEEEESG_SJ_SK_mSL_SN_bEUlT_E_NS1_11comp_targetILNS1_3genE0ELNS1_11target_archE4294967295ELNS1_3gpuE0ELNS1_3repE0EEENS1_30default_config_static_selectorELNS0_4arch9wavefront6targetE0EEEvT1_
	.p2align	8
	.type	_ZN7rocprim17ROCPRIM_400000_NS6detail17trampoline_kernelINS0_14default_configENS1_25transform_config_selectorIsLb0EEEZNS1_14transform_implILb0ES3_S5_NS0_18transform_iteratorINS0_17counting_iteratorImlEEZNS1_24adjacent_difference_implIS3_Lb1ELb0EPsSB_N6thrust23THRUST_200600_302600_NS5minusIsEEEE10hipError_tPvRmT2_T3_mT4_P12ihipStream_tbEUlmE_sEESB_NS0_8identityIvEEEESG_SJ_SK_mSL_SN_bEUlT_E_NS1_11comp_targetILNS1_3genE0ELNS1_11target_archE4294967295ELNS1_3gpuE0ELNS1_3repE0EEENS1_30default_config_static_selectorELNS0_4arch9wavefront6targetE0EEEvT1_,@function
_ZN7rocprim17ROCPRIM_400000_NS6detail17trampoline_kernelINS0_14default_configENS1_25transform_config_selectorIsLb0EEEZNS1_14transform_implILb0ES3_S5_NS0_18transform_iteratorINS0_17counting_iteratorImlEEZNS1_24adjacent_difference_implIS3_Lb1ELb0EPsSB_N6thrust23THRUST_200600_302600_NS5minusIsEEEE10hipError_tPvRmT2_T3_mT4_P12ihipStream_tbEUlmE_sEESB_NS0_8identityIvEEEESG_SJ_SK_mSL_SN_bEUlT_E_NS1_11comp_targetILNS1_3genE0ELNS1_11target_archE4294967295ELNS1_3gpuE0ELNS1_3repE0EEENS1_30default_config_static_selectorELNS0_4arch9wavefront6targetE0EEEvT1_: ; @_ZN7rocprim17ROCPRIM_400000_NS6detail17trampoline_kernelINS0_14default_configENS1_25transform_config_selectorIsLb0EEEZNS1_14transform_implILb0ES3_S5_NS0_18transform_iteratorINS0_17counting_iteratorImlEEZNS1_24adjacent_difference_implIS3_Lb1ELb0EPsSB_N6thrust23THRUST_200600_302600_NS5minusIsEEEE10hipError_tPvRmT2_T3_mT4_P12ihipStream_tbEUlmE_sEESB_NS0_8identityIvEEEESG_SJ_SK_mSL_SN_bEUlT_E_NS1_11comp_targetILNS1_3genE0ELNS1_11target_archE4294967295ELNS1_3gpuE0ELNS1_3repE0EEENS1_30default_config_static_selectorELNS0_4arch9wavefront6targetE0EEEvT1_
; %bb.0:
	.section	.rodata,"a",@progbits
	.p2align	6, 0x0
	.amdhsa_kernel _ZN7rocprim17ROCPRIM_400000_NS6detail17trampoline_kernelINS0_14default_configENS1_25transform_config_selectorIsLb0EEEZNS1_14transform_implILb0ES3_S5_NS0_18transform_iteratorINS0_17counting_iteratorImlEEZNS1_24adjacent_difference_implIS3_Lb1ELb0EPsSB_N6thrust23THRUST_200600_302600_NS5minusIsEEEE10hipError_tPvRmT2_T3_mT4_P12ihipStream_tbEUlmE_sEESB_NS0_8identityIvEEEESG_SJ_SK_mSL_SN_bEUlT_E_NS1_11comp_targetILNS1_3genE0ELNS1_11target_archE4294967295ELNS1_3gpuE0ELNS1_3repE0EEENS1_30default_config_static_selectorELNS0_4arch9wavefront6targetE0EEEvT1_
		.amdhsa_group_segment_fixed_size 0
		.amdhsa_private_segment_fixed_size 0
		.amdhsa_kernarg_size 56
		.amdhsa_user_sgpr_count 15
		.amdhsa_user_sgpr_dispatch_ptr 0
		.amdhsa_user_sgpr_queue_ptr 0
		.amdhsa_user_sgpr_kernarg_segment_ptr 1
		.amdhsa_user_sgpr_dispatch_id 0
		.amdhsa_user_sgpr_private_segment_size 0
		.amdhsa_wavefront_size32 1
		.amdhsa_uses_dynamic_stack 0
		.amdhsa_enable_private_segment 0
		.amdhsa_system_sgpr_workgroup_id_x 1
		.amdhsa_system_sgpr_workgroup_id_y 0
		.amdhsa_system_sgpr_workgroup_id_z 0
		.amdhsa_system_sgpr_workgroup_info 0
		.amdhsa_system_vgpr_workitem_id 0
		.amdhsa_next_free_vgpr 1
		.amdhsa_next_free_sgpr 1
		.amdhsa_reserve_vcc 0
		.amdhsa_float_round_mode_32 0
		.amdhsa_float_round_mode_16_64 0
		.amdhsa_float_denorm_mode_32 3
		.amdhsa_float_denorm_mode_16_64 3
		.amdhsa_dx10_clamp 1
		.amdhsa_ieee_mode 1
		.amdhsa_fp16_overflow 0
		.amdhsa_workgroup_processor_mode 1
		.amdhsa_memory_ordered 1
		.amdhsa_forward_progress 0
		.amdhsa_shared_vgpr_count 0
		.amdhsa_exception_fp_ieee_invalid_op 0
		.amdhsa_exception_fp_denorm_src 0
		.amdhsa_exception_fp_ieee_div_zero 0
		.amdhsa_exception_fp_ieee_overflow 0
		.amdhsa_exception_fp_ieee_underflow 0
		.amdhsa_exception_fp_ieee_inexact 0
		.amdhsa_exception_int_div_zero 0
	.end_amdhsa_kernel
	.section	.text._ZN7rocprim17ROCPRIM_400000_NS6detail17trampoline_kernelINS0_14default_configENS1_25transform_config_selectorIsLb0EEEZNS1_14transform_implILb0ES3_S5_NS0_18transform_iteratorINS0_17counting_iteratorImlEEZNS1_24adjacent_difference_implIS3_Lb1ELb0EPsSB_N6thrust23THRUST_200600_302600_NS5minusIsEEEE10hipError_tPvRmT2_T3_mT4_P12ihipStream_tbEUlmE_sEESB_NS0_8identityIvEEEESG_SJ_SK_mSL_SN_bEUlT_E_NS1_11comp_targetILNS1_3genE0ELNS1_11target_archE4294967295ELNS1_3gpuE0ELNS1_3repE0EEENS1_30default_config_static_selectorELNS0_4arch9wavefront6targetE0EEEvT1_,"axG",@progbits,_ZN7rocprim17ROCPRIM_400000_NS6detail17trampoline_kernelINS0_14default_configENS1_25transform_config_selectorIsLb0EEEZNS1_14transform_implILb0ES3_S5_NS0_18transform_iteratorINS0_17counting_iteratorImlEEZNS1_24adjacent_difference_implIS3_Lb1ELb0EPsSB_N6thrust23THRUST_200600_302600_NS5minusIsEEEE10hipError_tPvRmT2_T3_mT4_P12ihipStream_tbEUlmE_sEESB_NS0_8identityIvEEEESG_SJ_SK_mSL_SN_bEUlT_E_NS1_11comp_targetILNS1_3genE0ELNS1_11target_archE4294967295ELNS1_3gpuE0ELNS1_3repE0EEENS1_30default_config_static_selectorELNS0_4arch9wavefront6targetE0EEEvT1_,comdat
.Lfunc_end366:
	.size	_ZN7rocprim17ROCPRIM_400000_NS6detail17trampoline_kernelINS0_14default_configENS1_25transform_config_selectorIsLb0EEEZNS1_14transform_implILb0ES3_S5_NS0_18transform_iteratorINS0_17counting_iteratorImlEEZNS1_24adjacent_difference_implIS3_Lb1ELb0EPsSB_N6thrust23THRUST_200600_302600_NS5minusIsEEEE10hipError_tPvRmT2_T3_mT4_P12ihipStream_tbEUlmE_sEESB_NS0_8identityIvEEEESG_SJ_SK_mSL_SN_bEUlT_E_NS1_11comp_targetILNS1_3genE0ELNS1_11target_archE4294967295ELNS1_3gpuE0ELNS1_3repE0EEENS1_30default_config_static_selectorELNS0_4arch9wavefront6targetE0EEEvT1_, .Lfunc_end366-_ZN7rocprim17ROCPRIM_400000_NS6detail17trampoline_kernelINS0_14default_configENS1_25transform_config_selectorIsLb0EEEZNS1_14transform_implILb0ES3_S5_NS0_18transform_iteratorINS0_17counting_iteratorImlEEZNS1_24adjacent_difference_implIS3_Lb1ELb0EPsSB_N6thrust23THRUST_200600_302600_NS5minusIsEEEE10hipError_tPvRmT2_T3_mT4_P12ihipStream_tbEUlmE_sEESB_NS0_8identityIvEEEESG_SJ_SK_mSL_SN_bEUlT_E_NS1_11comp_targetILNS1_3genE0ELNS1_11target_archE4294967295ELNS1_3gpuE0ELNS1_3repE0EEENS1_30default_config_static_selectorELNS0_4arch9wavefront6targetE0EEEvT1_
                                        ; -- End function
	.section	.AMDGPU.csdata,"",@progbits
; Kernel info:
; codeLenInByte = 0
; NumSgprs: 0
; NumVgprs: 0
; ScratchSize: 0
; MemoryBound: 0
; FloatMode: 240
; IeeeMode: 1
; LDSByteSize: 0 bytes/workgroup (compile time only)
; SGPRBlocks: 0
; VGPRBlocks: 0
; NumSGPRsForWavesPerEU: 1
; NumVGPRsForWavesPerEU: 1
; Occupancy: 16
; WaveLimiterHint : 0
; COMPUTE_PGM_RSRC2:SCRATCH_EN: 0
; COMPUTE_PGM_RSRC2:USER_SGPR: 15
; COMPUTE_PGM_RSRC2:TRAP_HANDLER: 0
; COMPUTE_PGM_RSRC2:TGID_X_EN: 1
; COMPUTE_PGM_RSRC2:TGID_Y_EN: 0
; COMPUTE_PGM_RSRC2:TGID_Z_EN: 0
; COMPUTE_PGM_RSRC2:TIDIG_COMP_CNT: 0
	.section	.text._ZN7rocprim17ROCPRIM_400000_NS6detail17trampoline_kernelINS0_14default_configENS1_25transform_config_selectorIsLb0EEEZNS1_14transform_implILb0ES3_S5_NS0_18transform_iteratorINS0_17counting_iteratorImlEEZNS1_24adjacent_difference_implIS3_Lb1ELb0EPsSB_N6thrust23THRUST_200600_302600_NS5minusIsEEEE10hipError_tPvRmT2_T3_mT4_P12ihipStream_tbEUlmE_sEESB_NS0_8identityIvEEEESG_SJ_SK_mSL_SN_bEUlT_E_NS1_11comp_targetILNS1_3genE5ELNS1_11target_archE942ELNS1_3gpuE9ELNS1_3repE0EEENS1_30default_config_static_selectorELNS0_4arch9wavefront6targetE0EEEvT1_,"axG",@progbits,_ZN7rocprim17ROCPRIM_400000_NS6detail17trampoline_kernelINS0_14default_configENS1_25transform_config_selectorIsLb0EEEZNS1_14transform_implILb0ES3_S5_NS0_18transform_iteratorINS0_17counting_iteratorImlEEZNS1_24adjacent_difference_implIS3_Lb1ELb0EPsSB_N6thrust23THRUST_200600_302600_NS5minusIsEEEE10hipError_tPvRmT2_T3_mT4_P12ihipStream_tbEUlmE_sEESB_NS0_8identityIvEEEESG_SJ_SK_mSL_SN_bEUlT_E_NS1_11comp_targetILNS1_3genE5ELNS1_11target_archE942ELNS1_3gpuE9ELNS1_3repE0EEENS1_30default_config_static_selectorELNS0_4arch9wavefront6targetE0EEEvT1_,comdat
	.protected	_ZN7rocprim17ROCPRIM_400000_NS6detail17trampoline_kernelINS0_14default_configENS1_25transform_config_selectorIsLb0EEEZNS1_14transform_implILb0ES3_S5_NS0_18transform_iteratorINS0_17counting_iteratorImlEEZNS1_24adjacent_difference_implIS3_Lb1ELb0EPsSB_N6thrust23THRUST_200600_302600_NS5minusIsEEEE10hipError_tPvRmT2_T3_mT4_P12ihipStream_tbEUlmE_sEESB_NS0_8identityIvEEEESG_SJ_SK_mSL_SN_bEUlT_E_NS1_11comp_targetILNS1_3genE5ELNS1_11target_archE942ELNS1_3gpuE9ELNS1_3repE0EEENS1_30default_config_static_selectorELNS0_4arch9wavefront6targetE0EEEvT1_ ; -- Begin function _ZN7rocprim17ROCPRIM_400000_NS6detail17trampoline_kernelINS0_14default_configENS1_25transform_config_selectorIsLb0EEEZNS1_14transform_implILb0ES3_S5_NS0_18transform_iteratorINS0_17counting_iteratorImlEEZNS1_24adjacent_difference_implIS3_Lb1ELb0EPsSB_N6thrust23THRUST_200600_302600_NS5minusIsEEEE10hipError_tPvRmT2_T3_mT4_P12ihipStream_tbEUlmE_sEESB_NS0_8identityIvEEEESG_SJ_SK_mSL_SN_bEUlT_E_NS1_11comp_targetILNS1_3genE5ELNS1_11target_archE942ELNS1_3gpuE9ELNS1_3repE0EEENS1_30default_config_static_selectorELNS0_4arch9wavefront6targetE0EEEvT1_
	.globl	_ZN7rocprim17ROCPRIM_400000_NS6detail17trampoline_kernelINS0_14default_configENS1_25transform_config_selectorIsLb0EEEZNS1_14transform_implILb0ES3_S5_NS0_18transform_iteratorINS0_17counting_iteratorImlEEZNS1_24adjacent_difference_implIS3_Lb1ELb0EPsSB_N6thrust23THRUST_200600_302600_NS5minusIsEEEE10hipError_tPvRmT2_T3_mT4_P12ihipStream_tbEUlmE_sEESB_NS0_8identityIvEEEESG_SJ_SK_mSL_SN_bEUlT_E_NS1_11comp_targetILNS1_3genE5ELNS1_11target_archE942ELNS1_3gpuE9ELNS1_3repE0EEENS1_30default_config_static_selectorELNS0_4arch9wavefront6targetE0EEEvT1_
	.p2align	8
	.type	_ZN7rocprim17ROCPRIM_400000_NS6detail17trampoline_kernelINS0_14default_configENS1_25transform_config_selectorIsLb0EEEZNS1_14transform_implILb0ES3_S5_NS0_18transform_iteratorINS0_17counting_iteratorImlEEZNS1_24adjacent_difference_implIS3_Lb1ELb0EPsSB_N6thrust23THRUST_200600_302600_NS5minusIsEEEE10hipError_tPvRmT2_T3_mT4_P12ihipStream_tbEUlmE_sEESB_NS0_8identityIvEEEESG_SJ_SK_mSL_SN_bEUlT_E_NS1_11comp_targetILNS1_3genE5ELNS1_11target_archE942ELNS1_3gpuE9ELNS1_3repE0EEENS1_30default_config_static_selectorELNS0_4arch9wavefront6targetE0EEEvT1_,@function
_ZN7rocprim17ROCPRIM_400000_NS6detail17trampoline_kernelINS0_14default_configENS1_25transform_config_selectorIsLb0EEEZNS1_14transform_implILb0ES3_S5_NS0_18transform_iteratorINS0_17counting_iteratorImlEEZNS1_24adjacent_difference_implIS3_Lb1ELb0EPsSB_N6thrust23THRUST_200600_302600_NS5minusIsEEEE10hipError_tPvRmT2_T3_mT4_P12ihipStream_tbEUlmE_sEESB_NS0_8identityIvEEEESG_SJ_SK_mSL_SN_bEUlT_E_NS1_11comp_targetILNS1_3genE5ELNS1_11target_archE942ELNS1_3gpuE9ELNS1_3repE0EEENS1_30default_config_static_selectorELNS0_4arch9wavefront6targetE0EEEvT1_: ; @_ZN7rocprim17ROCPRIM_400000_NS6detail17trampoline_kernelINS0_14default_configENS1_25transform_config_selectorIsLb0EEEZNS1_14transform_implILb0ES3_S5_NS0_18transform_iteratorINS0_17counting_iteratorImlEEZNS1_24adjacent_difference_implIS3_Lb1ELb0EPsSB_N6thrust23THRUST_200600_302600_NS5minusIsEEEE10hipError_tPvRmT2_T3_mT4_P12ihipStream_tbEUlmE_sEESB_NS0_8identityIvEEEESG_SJ_SK_mSL_SN_bEUlT_E_NS1_11comp_targetILNS1_3genE5ELNS1_11target_archE942ELNS1_3gpuE9ELNS1_3repE0EEENS1_30default_config_static_selectorELNS0_4arch9wavefront6targetE0EEEvT1_
; %bb.0:
	.section	.rodata,"a",@progbits
	.p2align	6, 0x0
	.amdhsa_kernel _ZN7rocprim17ROCPRIM_400000_NS6detail17trampoline_kernelINS0_14default_configENS1_25transform_config_selectorIsLb0EEEZNS1_14transform_implILb0ES3_S5_NS0_18transform_iteratorINS0_17counting_iteratorImlEEZNS1_24adjacent_difference_implIS3_Lb1ELb0EPsSB_N6thrust23THRUST_200600_302600_NS5minusIsEEEE10hipError_tPvRmT2_T3_mT4_P12ihipStream_tbEUlmE_sEESB_NS0_8identityIvEEEESG_SJ_SK_mSL_SN_bEUlT_E_NS1_11comp_targetILNS1_3genE5ELNS1_11target_archE942ELNS1_3gpuE9ELNS1_3repE0EEENS1_30default_config_static_selectorELNS0_4arch9wavefront6targetE0EEEvT1_
		.amdhsa_group_segment_fixed_size 0
		.amdhsa_private_segment_fixed_size 0
		.amdhsa_kernarg_size 56
		.amdhsa_user_sgpr_count 15
		.amdhsa_user_sgpr_dispatch_ptr 0
		.amdhsa_user_sgpr_queue_ptr 0
		.amdhsa_user_sgpr_kernarg_segment_ptr 1
		.amdhsa_user_sgpr_dispatch_id 0
		.amdhsa_user_sgpr_private_segment_size 0
		.amdhsa_wavefront_size32 1
		.amdhsa_uses_dynamic_stack 0
		.amdhsa_enable_private_segment 0
		.amdhsa_system_sgpr_workgroup_id_x 1
		.amdhsa_system_sgpr_workgroup_id_y 0
		.amdhsa_system_sgpr_workgroup_id_z 0
		.amdhsa_system_sgpr_workgroup_info 0
		.amdhsa_system_vgpr_workitem_id 0
		.amdhsa_next_free_vgpr 1
		.amdhsa_next_free_sgpr 1
		.amdhsa_reserve_vcc 0
		.amdhsa_float_round_mode_32 0
		.amdhsa_float_round_mode_16_64 0
		.amdhsa_float_denorm_mode_32 3
		.amdhsa_float_denorm_mode_16_64 3
		.amdhsa_dx10_clamp 1
		.amdhsa_ieee_mode 1
		.amdhsa_fp16_overflow 0
		.amdhsa_workgroup_processor_mode 1
		.amdhsa_memory_ordered 1
		.amdhsa_forward_progress 0
		.amdhsa_shared_vgpr_count 0
		.amdhsa_exception_fp_ieee_invalid_op 0
		.amdhsa_exception_fp_denorm_src 0
		.amdhsa_exception_fp_ieee_div_zero 0
		.amdhsa_exception_fp_ieee_overflow 0
		.amdhsa_exception_fp_ieee_underflow 0
		.amdhsa_exception_fp_ieee_inexact 0
		.amdhsa_exception_int_div_zero 0
	.end_amdhsa_kernel
	.section	.text._ZN7rocprim17ROCPRIM_400000_NS6detail17trampoline_kernelINS0_14default_configENS1_25transform_config_selectorIsLb0EEEZNS1_14transform_implILb0ES3_S5_NS0_18transform_iteratorINS0_17counting_iteratorImlEEZNS1_24adjacent_difference_implIS3_Lb1ELb0EPsSB_N6thrust23THRUST_200600_302600_NS5minusIsEEEE10hipError_tPvRmT2_T3_mT4_P12ihipStream_tbEUlmE_sEESB_NS0_8identityIvEEEESG_SJ_SK_mSL_SN_bEUlT_E_NS1_11comp_targetILNS1_3genE5ELNS1_11target_archE942ELNS1_3gpuE9ELNS1_3repE0EEENS1_30default_config_static_selectorELNS0_4arch9wavefront6targetE0EEEvT1_,"axG",@progbits,_ZN7rocprim17ROCPRIM_400000_NS6detail17trampoline_kernelINS0_14default_configENS1_25transform_config_selectorIsLb0EEEZNS1_14transform_implILb0ES3_S5_NS0_18transform_iteratorINS0_17counting_iteratorImlEEZNS1_24adjacent_difference_implIS3_Lb1ELb0EPsSB_N6thrust23THRUST_200600_302600_NS5minusIsEEEE10hipError_tPvRmT2_T3_mT4_P12ihipStream_tbEUlmE_sEESB_NS0_8identityIvEEEESG_SJ_SK_mSL_SN_bEUlT_E_NS1_11comp_targetILNS1_3genE5ELNS1_11target_archE942ELNS1_3gpuE9ELNS1_3repE0EEENS1_30default_config_static_selectorELNS0_4arch9wavefront6targetE0EEEvT1_,comdat
.Lfunc_end367:
	.size	_ZN7rocprim17ROCPRIM_400000_NS6detail17trampoline_kernelINS0_14default_configENS1_25transform_config_selectorIsLb0EEEZNS1_14transform_implILb0ES3_S5_NS0_18transform_iteratorINS0_17counting_iteratorImlEEZNS1_24adjacent_difference_implIS3_Lb1ELb0EPsSB_N6thrust23THRUST_200600_302600_NS5minusIsEEEE10hipError_tPvRmT2_T3_mT4_P12ihipStream_tbEUlmE_sEESB_NS0_8identityIvEEEESG_SJ_SK_mSL_SN_bEUlT_E_NS1_11comp_targetILNS1_3genE5ELNS1_11target_archE942ELNS1_3gpuE9ELNS1_3repE0EEENS1_30default_config_static_selectorELNS0_4arch9wavefront6targetE0EEEvT1_, .Lfunc_end367-_ZN7rocprim17ROCPRIM_400000_NS6detail17trampoline_kernelINS0_14default_configENS1_25transform_config_selectorIsLb0EEEZNS1_14transform_implILb0ES3_S5_NS0_18transform_iteratorINS0_17counting_iteratorImlEEZNS1_24adjacent_difference_implIS3_Lb1ELb0EPsSB_N6thrust23THRUST_200600_302600_NS5minusIsEEEE10hipError_tPvRmT2_T3_mT4_P12ihipStream_tbEUlmE_sEESB_NS0_8identityIvEEEESG_SJ_SK_mSL_SN_bEUlT_E_NS1_11comp_targetILNS1_3genE5ELNS1_11target_archE942ELNS1_3gpuE9ELNS1_3repE0EEENS1_30default_config_static_selectorELNS0_4arch9wavefront6targetE0EEEvT1_
                                        ; -- End function
	.section	.AMDGPU.csdata,"",@progbits
; Kernel info:
; codeLenInByte = 0
; NumSgprs: 0
; NumVgprs: 0
; ScratchSize: 0
; MemoryBound: 0
; FloatMode: 240
; IeeeMode: 1
; LDSByteSize: 0 bytes/workgroup (compile time only)
; SGPRBlocks: 0
; VGPRBlocks: 0
; NumSGPRsForWavesPerEU: 1
; NumVGPRsForWavesPerEU: 1
; Occupancy: 16
; WaveLimiterHint : 0
; COMPUTE_PGM_RSRC2:SCRATCH_EN: 0
; COMPUTE_PGM_RSRC2:USER_SGPR: 15
; COMPUTE_PGM_RSRC2:TRAP_HANDLER: 0
; COMPUTE_PGM_RSRC2:TGID_X_EN: 1
; COMPUTE_PGM_RSRC2:TGID_Y_EN: 0
; COMPUTE_PGM_RSRC2:TGID_Z_EN: 0
; COMPUTE_PGM_RSRC2:TIDIG_COMP_CNT: 0
	.section	.text._ZN7rocprim17ROCPRIM_400000_NS6detail17trampoline_kernelINS0_14default_configENS1_25transform_config_selectorIsLb0EEEZNS1_14transform_implILb0ES3_S5_NS0_18transform_iteratorINS0_17counting_iteratorImlEEZNS1_24adjacent_difference_implIS3_Lb1ELb0EPsSB_N6thrust23THRUST_200600_302600_NS5minusIsEEEE10hipError_tPvRmT2_T3_mT4_P12ihipStream_tbEUlmE_sEESB_NS0_8identityIvEEEESG_SJ_SK_mSL_SN_bEUlT_E_NS1_11comp_targetILNS1_3genE4ELNS1_11target_archE910ELNS1_3gpuE8ELNS1_3repE0EEENS1_30default_config_static_selectorELNS0_4arch9wavefront6targetE0EEEvT1_,"axG",@progbits,_ZN7rocprim17ROCPRIM_400000_NS6detail17trampoline_kernelINS0_14default_configENS1_25transform_config_selectorIsLb0EEEZNS1_14transform_implILb0ES3_S5_NS0_18transform_iteratorINS0_17counting_iteratorImlEEZNS1_24adjacent_difference_implIS3_Lb1ELb0EPsSB_N6thrust23THRUST_200600_302600_NS5minusIsEEEE10hipError_tPvRmT2_T3_mT4_P12ihipStream_tbEUlmE_sEESB_NS0_8identityIvEEEESG_SJ_SK_mSL_SN_bEUlT_E_NS1_11comp_targetILNS1_3genE4ELNS1_11target_archE910ELNS1_3gpuE8ELNS1_3repE0EEENS1_30default_config_static_selectorELNS0_4arch9wavefront6targetE0EEEvT1_,comdat
	.protected	_ZN7rocprim17ROCPRIM_400000_NS6detail17trampoline_kernelINS0_14default_configENS1_25transform_config_selectorIsLb0EEEZNS1_14transform_implILb0ES3_S5_NS0_18transform_iteratorINS0_17counting_iteratorImlEEZNS1_24adjacent_difference_implIS3_Lb1ELb0EPsSB_N6thrust23THRUST_200600_302600_NS5minusIsEEEE10hipError_tPvRmT2_T3_mT4_P12ihipStream_tbEUlmE_sEESB_NS0_8identityIvEEEESG_SJ_SK_mSL_SN_bEUlT_E_NS1_11comp_targetILNS1_3genE4ELNS1_11target_archE910ELNS1_3gpuE8ELNS1_3repE0EEENS1_30default_config_static_selectorELNS0_4arch9wavefront6targetE0EEEvT1_ ; -- Begin function _ZN7rocprim17ROCPRIM_400000_NS6detail17trampoline_kernelINS0_14default_configENS1_25transform_config_selectorIsLb0EEEZNS1_14transform_implILb0ES3_S5_NS0_18transform_iteratorINS0_17counting_iteratorImlEEZNS1_24adjacent_difference_implIS3_Lb1ELb0EPsSB_N6thrust23THRUST_200600_302600_NS5minusIsEEEE10hipError_tPvRmT2_T3_mT4_P12ihipStream_tbEUlmE_sEESB_NS0_8identityIvEEEESG_SJ_SK_mSL_SN_bEUlT_E_NS1_11comp_targetILNS1_3genE4ELNS1_11target_archE910ELNS1_3gpuE8ELNS1_3repE0EEENS1_30default_config_static_selectorELNS0_4arch9wavefront6targetE0EEEvT1_
	.globl	_ZN7rocprim17ROCPRIM_400000_NS6detail17trampoline_kernelINS0_14default_configENS1_25transform_config_selectorIsLb0EEEZNS1_14transform_implILb0ES3_S5_NS0_18transform_iteratorINS0_17counting_iteratorImlEEZNS1_24adjacent_difference_implIS3_Lb1ELb0EPsSB_N6thrust23THRUST_200600_302600_NS5minusIsEEEE10hipError_tPvRmT2_T3_mT4_P12ihipStream_tbEUlmE_sEESB_NS0_8identityIvEEEESG_SJ_SK_mSL_SN_bEUlT_E_NS1_11comp_targetILNS1_3genE4ELNS1_11target_archE910ELNS1_3gpuE8ELNS1_3repE0EEENS1_30default_config_static_selectorELNS0_4arch9wavefront6targetE0EEEvT1_
	.p2align	8
	.type	_ZN7rocprim17ROCPRIM_400000_NS6detail17trampoline_kernelINS0_14default_configENS1_25transform_config_selectorIsLb0EEEZNS1_14transform_implILb0ES3_S5_NS0_18transform_iteratorINS0_17counting_iteratorImlEEZNS1_24adjacent_difference_implIS3_Lb1ELb0EPsSB_N6thrust23THRUST_200600_302600_NS5minusIsEEEE10hipError_tPvRmT2_T3_mT4_P12ihipStream_tbEUlmE_sEESB_NS0_8identityIvEEEESG_SJ_SK_mSL_SN_bEUlT_E_NS1_11comp_targetILNS1_3genE4ELNS1_11target_archE910ELNS1_3gpuE8ELNS1_3repE0EEENS1_30default_config_static_selectorELNS0_4arch9wavefront6targetE0EEEvT1_,@function
_ZN7rocprim17ROCPRIM_400000_NS6detail17trampoline_kernelINS0_14default_configENS1_25transform_config_selectorIsLb0EEEZNS1_14transform_implILb0ES3_S5_NS0_18transform_iteratorINS0_17counting_iteratorImlEEZNS1_24adjacent_difference_implIS3_Lb1ELb0EPsSB_N6thrust23THRUST_200600_302600_NS5minusIsEEEE10hipError_tPvRmT2_T3_mT4_P12ihipStream_tbEUlmE_sEESB_NS0_8identityIvEEEESG_SJ_SK_mSL_SN_bEUlT_E_NS1_11comp_targetILNS1_3genE4ELNS1_11target_archE910ELNS1_3gpuE8ELNS1_3repE0EEENS1_30default_config_static_selectorELNS0_4arch9wavefront6targetE0EEEvT1_: ; @_ZN7rocprim17ROCPRIM_400000_NS6detail17trampoline_kernelINS0_14default_configENS1_25transform_config_selectorIsLb0EEEZNS1_14transform_implILb0ES3_S5_NS0_18transform_iteratorINS0_17counting_iteratorImlEEZNS1_24adjacent_difference_implIS3_Lb1ELb0EPsSB_N6thrust23THRUST_200600_302600_NS5minusIsEEEE10hipError_tPvRmT2_T3_mT4_P12ihipStream_tbEUlmE_sEESB_NS0_8identityIvEEEESG_SJ_SK_mSL_SN_bEUlT_E_NS1_11comp_targetILNS1_3genE4ELNS1_11target_archE910ELNS1_3gpuE8ELNS1_3repE0EEENS1_30default_config_static_selectorELNS0_4arch9wavefront6targetE0EEEvT1_
; %bb.0:
	.section	.rodata,"a",@progbits
	.p2align	6, 0x0
	.amdhsa_kernel _ZN7rocprim17ROCPRIM_400000_NS6detail17trampoline_kernelINS0_14default_configENS1_25transform_config_selectorIsLb0EEEZNS1_14transform_implILb0ES3_S5_NS0_18transform_iteratorINS0_17counting_iteratorImlEEZNS1_24adjacent_difference_implIS3_Lb1ELb0EPsSB_N6thrust23THRUST_200600_302600_NS5minusIsEEEE10hipError_tPvRmT2_T3_mT4_P12ihipStream_tbEUlmE_sEESB_NS0_8identityIvEEEESG_SJ_SK_mSL_SN_bEUlT_E_NS1_11comp_targetILNS1_3genE4ELNS1_11target_archE910ELNS1_3gpuE8ELNS1_3repE0EEENS1_30default_config_static_selectorELNS0_4arch9wavefront6targetE0EEEvT1_
		.amdhsa_group_segment_fixed_size 0
		.amdhsa_private_segment_fixed_size 0
		.amdhsa_kernarg_size 56
		.amdhsa_user_sgpr_count 15
		.amdhsa_user_sgpr_dispatch_ptr 0
		.amdhsa_user_sgpr_queue_ptr 0
		.amdhsa_user_sgpr_kernarg_segment_ptr 1
		.amdhsa_user_sgpr_dispatch_id 0
		.amdhsa_user_sgpr_private_segment_size 0
		.amdhsa_wavefront_size32 1
		.amdhsa_uses_dynamic_stack 0
		.amdhsa_enable_private_segment 0
		.amdhsa_system_sgpr_workgroup_id_x 1
		.amdhsa_system_sgpr_workgroup_id_y 0
		.amdhsa_system_sgpr_workgroup_id_z 0
		.amdhsa_system_sgpr_workgroup_info 0
		.amdhsa_system_vgpr_workitem_id 0
		.amdhsa_next_free_vgpr 1
		.amdhsa_next_free_sgpr 1
		.amdhsa_reserve_vcc 0
		.amdhsa_float_round_mode_32 0
		.amdhsa_float_round_mode_16_64 0
		.amdhsa_float_denorm_mode_32 3
		.amdhsa_float_denorm_mode_16_64 3
		.amdhsa_dx10_clamp 1
		.amdhsa_ieee_mode 1
		.amdhsa_fp16_overflow 0
		.amdhsa_workgroup_processor_mode 1
		.amdhsa_memory_ordered 1
		.amdhsa_forward_progress 0
		.amdhsa_shared_vgpr_count 0
		.amdhsa_exception_fp_ieee_invalid_op 0
		.amdhsa_exception_fp_denorm_src 0
		.amdhsa_exception_fp_ieee_div_zero 0
		.amdhsa_exception_fp_ieee_overflow 0
		.amdhsa_exception_fp_ieee_underflow 0
		.amdhsa_exception_fp_ieee_inexact 0
		.amdhsa_exception_int_div_zero 0
	.end_amdhsa_kernel
	.section	.text._ZN7rocprim17ROCPRIM_400000_NS6detail17trampoline_kernelINS0_14default_configENS1_25transform_config_selectorIsLb0EEEZNS1_14transform_implILb0ES3_S5_NS0_18transform_iteratorINS0_17counting_iteratorImlEEZNS1_24adjacent_difference_implIS3_Lb1ELb0EPsSB_N6thrust23THRUST_200600_302600_NS5minusIsEEEE10hipError_tPvRmT2_T3_mT4_P12ihipStream_tbEUlmE_sEESB_NS0_8identityIvEEEESG_SJ_SK_mSL_SN_bEUlT_E_NS1_11comp_targetILNS1_3genE4ELNS1_11target_archE910ELNS1_3gpuE8ELNS1_3repE0EEENS1_30default_config_static_selectorELNS0_4arch9wavefront6targetE0EEEvT1_,"axG",@progbits,_ZN7rocprim17ROCPRIM_400000_NS6detail17trampoline_kernelINS0_14default_configENS1_25transform_config_selectorIsLb0EEEZNS1_14transform_implILb0ES3_S5_NS0_18transform_iteratorINS0_17counting_iteratorImlEEZNS1_24adjacent_difference_implIS3_Lb1ELb0EPsSB_N6thrust23THRUST_200600_302600_NS5minusIsEEEE10hipError_tPvRmT2_T3_mT4_P12ihipStream_tbEUlmE_sEESB_NS0_8identityIvEEEESG_SJ_SK_mSL_SN_bEUlT_E_NS1_11comp_targetILNS1_3genE4ELNS1_11target_archE910ELNS1_3gpuE8ELNS1_3repE0EEENS1_30default_config_static_selectorELNS0_4arch9wavefront6targetE0EEEvT1_,comdat
.Lfunc_end368:
	.size	_ZN7rocprim17ROCPRIM_400000_NS6detail17trampoline_kernelINS0_14default_configENS1_25transform_config_selectorIsLb0EEEZNS1_14transform_implILb0ES3_S5_NS0_18transform_iteratorINS0_17counting_iteratorImlEEZNS1_24adjacent_difference_implIS3_Lb1ELb0EPsSB_N6thrust23THRUST_200600_302600_NS5minusIsEEEE10hipError_tPvRmT2_T3_mT4_P12ihipStream_tbEUlmE_sEESB_NS0_8identityIvEEEESG_SJ_SK_mSL_SN_bEUlT_E_NS1_11comp_targetILNS1_3genE4ELNS1_11target_archE910ELNS1_3gpuE8ELNS1_3repE0EEENS1_30default_config_static_selectorELNS0_4arch9wavefront6targetE0EEEvT1_, .Lfunc_end368-_ZN7rocprim17ROCPRIM_400000_NS6detail17trampoline_kernelINS0_14default_configENS1_25transform_config_selectorIsLb0EEEZNS1_14transform_implILb0ES3_S5_NS0_18transform_iteratorINS0_17counting_iteratorImlEEZNS1_24adjacent_difference_implIS3_Lb1ELb0EPsSB_N6thrust23THRUST_200600_302600_NS5minusIsEEEE10hipError_tPvRmT2_T3_mT4_P12ihipStream_tbEUlmE_sEESB_NS0_8identityIvEEEESG_SJ_SK_mSL_SN_bEUlT_E_NS1_11comp_targetILNS1_3genE4ELNS1_11target_archE910ELNS1_3gpuE8ELNS1_3repE0EEENS1_30default_config_static_selectorELNS0_4arch9wavefront6targetE0EEEvT1_
                                        ; -- End function
	.section	.AMDGPU.csdata,"",@progbits
; Kernel info:
; codeLenInByte = 0
; NumSgprs: 0
; NumVgprs: 0
; ScratchSize: 0
; MemoryBound: 0
; FloatMode: 240
; IeeeMode: 1
; LDSByteSize: 0 bytes/workgroup (compile time only)
; SGPRBlocks: 0
; VGPRBlocks: 0
; NumSGPRsForWavesPerEU: 1
; NumVGPRsForWavesPerEU: 1
; Occupancy: 16
; WaveLimiterHint : 0
; COMPUTE_PGM_RSRC2:SCRATCH_EN: 0
; COMPUTE_PGM_RSRC2:USER_SGPR: 15
; COMPUTE_PGM_RSRC2:TRAP_HANDLER: 0
; COMPUTE_PGM_RSRC2:TGID_X_EN: 1
; COMPUTE_PGM_RSRC2:TGID_Y_EN: 0
; COMPUTE_PGM_RSRC2:TGID_Z_EN: 0
; COMPUTE_PGM_RSRC2:TIDIG_COMP_CNT: 0
	.section	.text._ZN7rocprim17ROCPRIM_400000_NS6detail17trampoline_kernelINS0_14default_configENS1_25transform_config_selectorIsLb0EEEZNS1_14transform_implILb0ES3_S5_NS0_18transform_iteratorINS0_17counting_iteratorImlEEZNS1_24adjacent_difference_implIS3_Lb1ELb0EPsSB_N6thrust23THRUST_200600_302600_NS5minusIsEEEE10hipError_tPvRmT2_T3_mT4_P12ihipStream_tbEUlmE_sEESB_NS0_8identityIvEEEESG_SJ_SK_mSL_SN_bEUlT_E_NS1_11comp_targetILNS1_3genE3ELNS1_11target_archE908ELNS1_3gpuE7ELNS1_3repE0EEENS1_30default_config_static_selectorELNS0_4arch9wavefront6targetE0EEEvT1_,"axG",@progbits,_ZN7rocprim17ROCPRIM_400000_NS6detail17trampoline_kernelINS0_14default_configENS1_25transform_config_selectorIsLb0EEEZNS1_14transform_implILb0ES3_S5_NS0_18transform_iteratorINS0_17counting_iteratorImlEEZNS1_24adjacent_difference_implIS3_Lb1ELb0EPsSB_N6thrust23THRUST_200600_302600_NS5minusIsEEEE10hipError_tPvRmT2_T3_mT4_P12ihipStream_tbEUlmE_sEESB_NS0_8identityIvEEEESG_SJ_SK_mSL_SN_bEUlT_E_NS1_11comp_targetILNS1_3genE3ELNS1_11target_archE908ELNS1_3gpuE7ELNS1_3repE0EEENS1_30default_config_static_selectorELNS0_4arch9wavefront6targetE0EEEvT1_,comdat
	.protected	_ZN7rocprim17ROCPRIM_400000_NS6detail17trampoline_kernelINS0_14default_configENS1_25transform_config_selectorIsLb0EEEZNS1_14transform_implILb0ES3_S5_NS0_18transform_iteratorINS0_17counting_iteratorImlEEZNS1_24adjacent_difference_implIS3_Lb1ELb0EPsSB_N6thrust23THRUST_200600_302600_NS5minusIsEEEE10hipError_tPvRmT2_T3_mT4_P12ihipStream_tbEUlmE_sEESB_NS0_8identityIvEEEESG_SJ_SK_mSL_SN_bEUlT_E_NS1_11comp_targetILNS1_3genE3ELNS1_11target_archE908ELNS1_3gpuE7ELNS1_3repE0EEENS1_30default_config_static_selectorELNS0_4arch9wavefront6targetE0EEEvT1_ ; -- Begin function _ZN7rocprim17ROCPRIM_400000_NS6detail17trampoline_kernelINS0_14default_configENS1_25transform_config_selectorIsLb0EEEZNS1_14transform_implILb0ES3_S5_NS0_18transform_iteratorINS0_17counting_iteratorImlEEZNS1_24adjacent_difference_implIS3_Lb1ELb0EPsSB_N6thrust23THRUST_200600_302600_NS5minusIsEEEE10hipError_tPvRmT2_T3_mT4_P12ihipStream_tbEUlmE_sEESB_NS0_8identityIvEEEESG_SJ_SK_mSL_SN_bEUlT_E_NS1_11comp_targetILNS1_3genE3ELNS1_11target_archE908ELNS1_3gpuE7ELNS1_3repE0EEENS1_30default_config_static_selectorELNS0_4arch9wavefront6targetE0EEEvT1_
	.globl	_ZN7rocprim17ROCPRIM_400000_NS6detail17trampoline_kernelINS0_14default_configENS1_25transform_config_selectorIsLb0EEEZNS1_14transform_implILb0ES3_S5_NS0_18transform_iteratorINS0_17counting_iteratorImlEEZNS1_24adjacent_difference_implIS3_Lb1ELb0EPsSB_N6thrust23THRUST_200600_302600_NS5minusIsEEEE10hipError_tPvRmT2_T3_mT4_P12ihipStream_tbEUlmE_sEESB_NS0_8identityIvEEEESG_SJ_SK_mSL_SN_bEUlT_E_NS1_11comp_targetILNS1_3genE3ELNS1_11target_archE908ELNS1_3gpuE7ELNS1_3repE0EEENS1_30default_config_static_selectorELNS0_4arch9wavefront6targetE0EEEvT1_
	.p2align	8
	.type	_ZN7rocprim17ROCPRIM_400000_NS6detail17trampoline_kernelINS0_14default_configENS1_25transform_config_selectorIsLb0EEEZNS1_14transform_implILb0ES3_S5_NS0_18transform_iteratorINS0_17counting_iteratorImlEEZNS1_24adjacent_difference_implIS3_Lb1ELb0EPsSB_N6thrust23THRUST_200600_302600_NS5minusIsEEEE10hipError_tPvRmT2_T3_mT4_P12ihipStream_tbEUlmE_sEESB_NS0_8identityIvEEEESG_SJ_SK_mSL_SN_bEUlT_E_NS1_11comp_targetILNS1_3genE3ELNS1_11target_archE908ELNS1_3gpuE7ELNS1_3repE0EEENS1_30default_config_static_selectorELNS0_4arch9wavefront6targetE0EEEvT1_,@function
_ZN7rocprim17ROCPRIM_400000_NS6detail17trampoline_kernelINS0_14default_configENS1_25transform_config_selectorIsLb0EEEZNS1_14transform_implILb0ES3_S5_NS0_18transform_iteratorINS0_17counting_iteratorImlEEZNS1_24adjacent_difference_implIS3_Lb1ELb0EPsSB_N6thrust23THRUST_200600_302600_NS5minusIsEEEE10hipError_tPvRmT2_T3_mT4_P12ihipStream_tbEUlmE_sEESB_NS0_8identityIvEEEESG_SJ_SK_mSL_SN_bEUlT_E_NS1_11comp_targetILNS1_3genE3ELNS1_11target_archE908ELNS1_3gpuE7ELNS1_3repE0EEENS1_30default_config_static_selectorELNS0_4arch9wavefront6targetE0EEEvT1_: ; @_ZN7rocprim17ROCPRIM_400000_NS6detail17trampoline_kernelINS0_14default_configENS1_25transform_config_selectorIsLb0EEEZNS1_14transform_implILb0ES3_S5_NS0_18transform_iteratorINS0_17counting_iteratorImlEEZNS1_24adjacent_difference_implIS3_Lb1ELb0EPsSB_N6thrust23THRUST_200600_302600_NS5minusIsEEEE10hipError_tPvRmT2_T3_mT4_P12ihipStream_tbEUlmE_sEESB_NS0_8identityIvEEEESG_SJ_SK_mSL_SN_bEUlT_E_NS1_11comp_targetILNS1_3genE3ELNS1_11target_archE908ELNS1_3gpuE7ELNS1_3repE0EEENS1_30default_config_static_selectorELNS0_4arch9wavefront6targetE0EEEvT1_
; %bb.0:
	.section	.rodata,"a",@progbits
	.p2align	6, 0x0
	.amdhsa_kernel _ZN7rocprim17ROCPRIM_400000_NS6detail17trampoline_kernelINS0_14default_configENS1_25transform_config_selectorIsLb0EEEZNS1_14transform_implILb0ES3_S5_NS0_18transform_iteratorINS0_17counting_iteratorImlEEZNS1_24adjacent_difference_implIS3_Lb1ELb0EPsSB_N6thrust23THRUST_200600_302600_NS5minusIsEEEE10hipError_tPvRmT2_T3_mT4_P12ihipStream_tbEUlmE_sEESB_NS0_8identityIvEEEESG_SJ_SK_mSL_SN_bEUlT_E_NS1_11comp_targetILNS1_3genE3ELNS1_11target_archE908ELNS1_3gpuE7ELNS1_3repE0EEENS1_30default_config_static_selectorELNS0_4arch9wavefront6targetE0EEEvT1_
		.amdhsa_group_segment_fixed_size 0
		.amdhsa_private_segment_fixed_size 0
		.amdhsa_kernarg_size 56
		.amdhsa_user_sgpr_count 15
		.amdhsa_user_sgpr_dispatch_ptr 0
		.amdhsa_user_sgpr_queue_ptr 0
		.amdhsa_user_sgpr_kernarg_segment_ptr 1
		.amdhsa_user_sgpr_dispatch_id 0
		.amdhsa_user_sgpr_private_segment_size 0
		.amdhsa_wavefront_size32 1
		.amdhsa_uses_dynamic_stack 0
		.amdhsa_enable_private_segment 0
		.amdhsa_system_sgpr_workgroup_id_x 1
		.amdhsa_system_sgpr_workgroup_id_y 0
		.amdhsa_system_sgpr_workgroup_id_z 0
		.amdhsa_system_sgpr_workgroup_info 0
		.amdhsa_system_vgpr_workitem_id 0
		.amdhsa_next_free_vgpr 1
		.amdhsa_next_free_sgpr 1
		.amdhsa_reserve_vcc 0
		.amdhsa_float_round_mode_32 0
		.amdhsa_float_round_mode_16_64 0
		.amdhsa_float_denorm_mode_32 3
		.amdhsa_float_denorm_mode_16_64 3
		.amdhsa_dx10_clamp 1
		.amdhsa_ieee_mode 1
		.amdhsa_fp16_overflow 0
		.amdhsa_workgroup_processor_mode 1
		.amdhsa_memory_ordered 1
		.amdhsa_forward_progress 0
		.amdhsa_shared_vgpr_count 0
		.amdhsa_exception_fp_ieee_invalid_op 0
		.amdhsa_exception_fp_denorm_src 0
		.amdhsa_exception_fp_ieee_div_zero 0
		.amdhsa_exception_fp_ieee_overflow 0
		.amdhsa_exception_fp_ieee_underflow 0
		.amdhsa_exception_fp_ieee_inexact 0
		.amdhsa_exception_int_div_zero 0
	.end_amdhsa_kernel
	.section	.text._ZN7rocprim17ROCPRIM_400000_NS6detail17trampoline_kernelINS0_14default_configENS1_25transform_config_selectorIsLb0EEEZNS1_14transform_implILb0ES3_S5_NS0_18transform_iteratorINS0_17counting_iteratorImlEEZNS1_24adjacent_difference_implIS3_Lb1ELb0EPsSB_N6thrust23THRUST_200600_302600_NS5minusIsEEEE10hipError_tPvRmT2_T3_mT4_P12ihipStream_tbEUlmE_sEESB_NS0_8identityIvEEEESG_SJ_SK_mSL_SN_bEUlT_E_NS1_11comp_targetILNS1_3genE3ELNS1_11target_archE908ELNS1_3gpuE7ELNS1_3repE0EEENS1_30default_config_static_selectorELNS0_4arch9wavefront6targetE0EEEvT1_,"axG",@progbits,_ZN7rocprim17ROCPRIM_400000_NS6detail17trampoline_kernelINS0_14default_configENS1_25transform_config_selectorIsLb0EEEZNS1_14transform_implILb0ES3_S5_NS0_18transform_iteratorINS0_17counting_iteratorImlEEZNS1_24adjacent_difference_implIS3_Lb1ELb0EPsSB_N6thrust23THRUST_200600_302600_NS5minusIsEEEE10hipError_tPvRmT2_T3_mT4_P12ihipStream_tbEUlmE_sEESB_NS0_8identityIvEEEESG_SJ_SK_mSL_SN_bEUlT_E_NS1_11comp_targetILNS1_3genE3ELNS1_11target_archE908ELNS1_3gpuE7ELNS1_3repE0EEENS1_30default_config_static_selectorELNS0_4arch9wavefront6targetE0EEEvT1_,comdat
.Lfunc_end369:
	.size	_ZN7rocprim17ROCPRIM_400000_NS6detail17trampoline_kernelINS0_14default_configENS1_25transform_config_selectorIsLb0EEEZNS1_14transform_implILb0ES3_S5_NS0_18transform_iteratorINS0_17counting_iteratorImlEEZNS1_24adjacent_difference_implIS3_Lb1ELb0EPsSB_N6thrust23THRUST_200600_302600_NS5minusIsEEEE10hipError_tPvRmT2_T3_mT4_P12ihipStream_tbEUlmE_sEESB_NS0_8identityIvEEEESG_SJ_SK_mSL_SN_bEUlT_E_NS1_11comp_targetILNS1_3genE3ELNS1_11target_archE908ELNS1_3gpuE7ELNS1_3repE0EEENS1_30default_config_static_selectorELNS0_4arch9wavefront6targetE0EEEvT1_, .Lfunc_end369-_ZN7rocprim17ROCPRIM_400000_NS6detail17trampoline_kernelINS0_14default_configENS1_25transform_config_selectorIsLb0EEEZNS1_14transform_implILb0ES3_S5_NS0_18transform_iteratorINS0_17counting_iteratorImlEEZNS1_24adjacent_difference_implIS3_Lb1ELb0EPsSB_N6thrust23THRUST_200600_302600_NS5minusIsEEEE10hipError_tPvRmT2_T3_mT4_P12ihipStream_tbEUlmE_sEESB_NS0_8identityIvEEEESG_SJ_SK_mSL_SN_bEUlT_E_NS1_11comp_targetILNS1_3genE3ELNS1_11target_archE908ELNS1_3gpuE7ELNS1_3repE0EEENS1_30default_config_static_selectorELNS0_4arch9wavefront6targetE0EEEvT1_
                                        ; -- End function
	.section	.AMDGPU.csdata,"",@progbits
; Kernel info:
; codeLenInByte = 0
; NumSgprs: 0
; NumVgprs: 0
; ScratchSize: 0
; MemoryBound: 0
; FloatMode: 240
; IeeeMode: 1
; LDSByteSize: 0 bytes/workgroup (compile time only)
; SGPRBlocks: 0
; VGPRBlocks: 0
; NumSGPRsForWavesPerEU: 1
; NumVGPRsForWavesPerEU: 1
; Occupancy: 16
; WaveLimiterHint : 0
; COMPUTE_PGM_RSRC2:SCRATCH_EN: 0
; COMPUTE_PGM_RSRC2:USER_SGPR: 15
; COMPUTE_PGM_RSRC2:TRAP_HANDLER: 0
; COMPUTE_PGM_RSRC2:TGID_X_EN: 1
; COMPUTE_PGM_RSRC2:TGID_Y_EN: 0
; COMPUTE_PGM_RSRC2:TGID_Z_EN: 0
; COMPUTE_PGM_RSRC2:TIDIG_COMP_CNT: 0
	.section	.text._ZN7rocprim17ROCPRIM_400000_NS6detail17trampoline_kernelINS0_14default_configENS1_25transform_config_selectorIsLb0EEEZNS1_14transform_implILb0ES3_S5_NS0_18transform_iteratorINS0_17counting_iteratorImlEEZNS1_24adjacent_difference_implIS3_Lb1ELb0EPsSB_N6thrust23THRUST_200600_302600_NS5minusIsEEEE10hipError_tPvRmT2_T3_mT4_P12ihipStream_tbEUlmE_sEESB_NS0_8identityIvEEEESG_SJ_SK_mSL_SN_bEUlT_E_NS1_11comp_targetILNS1_3genE2ELNS1_11target_archE906ELNS1_3gpuE6ELNS1_3repE0EEENS1_30default_config_static_selectorELNS0_4arch9wavefront6targetE0EEEvT1_,"axG",@progbits,_ZN7rocprim17ROCPRIM_400000_NS6detail17trampoline_kernelINS0_14default_configENS1_25transform_config_selectorIsLb0EEEZNS1_14transform_implILb0ES3_S5_NS0_18transform_iteratorINS0_17counting_iteratorImlEEZNS1_24adjacent_difference_implIS3_Lb1ELb0EPsSB_N6thrust23THRUST_200600_302600_NS5minusIsEEEE10hipError_tPvRmT2_T3_mT4_P12ihipStream_tbEUlmE_sEESB_NS0_8identityIvEEEESG_SJ_SK_mSL_SN_bEUlT_E_NS1_11comp_targetILNS1_3genE2ELNS1_11target_archE906ELNS1_3gpuE6ELNS1_3repE0EEENS1_30default_config_static_selectorELNS0_4arch9wavefront6targetE0EEEvT1_,comdat
	.protected	_ZN7rocprim17ROCPRIM_400000_NS6detail17trampoline_kernelINS0_14default_configENS1_25transform_config_selectorIsLb0EEEZNS1_14transform_implILb0ES3_S5_NS0_18transform_iteratorINS0_17counting_iteratorImlEEZNS1_24adjacent_difference_implIS3_Lb1ELb0EPsSB_N6thrust23THRUST_200600_302600_NS5minusIsEEEE10hipError_tPvRmT2_T3_mT4_P12ihipStream_tbEUlmE_sEESB_NS0_8identityIvEEEESG_SJ_SK_mSL_SN_bEUlT_E_NS1_11comp_targetILNS1_3genE2ELNS1_11target_archE906ELNS1_3gpuE6ELNS1_3repE0EEENS1_30default_config_static_selectorELNS0_4arch9wavefront6targetE0EEEvT1_ ; -- Begin function _ZN7rocprim17ROCPRIM_400000_NS6detail17trampoline_kernelINS0_14default_configENS1_25transform_config_selectorIsLb0EEEZNS1_14transform_implILb0ES3_S5_NS0_18transform_iteratorINS0_17counting_iteratorImlEEZNS1_24adjacent_difference_implIS3_Lb1ELb0EPsSB_N6thrust23THRUST_200600_302600_NS5minusIsEEEE10hipError_tPvRmT2_T3_mT4_P12ihipStream_tbEUlmE_sEESB_NS0_8identityIvEEEESG_SJ_SK_mSL_SN_bEUlT_E_NS1_11comp_targetILNS1_3genE2ELNS1_11target_archE906ELNS1_3gpuE6ELNS1_3repE0EEENS1_30default_config_static_selectorELNS0_4arch9wavefront6targetE0EEEvT1_
	.globl	_ZN7rocprim17ROCPRIM_400000_NS6detail17trampoline_kernelINS0_14default_configENS1_25transform_config_selectorIsLb0EEEZNS1_14transform_implILb0ES3_S5_NS0_18transform_iteratorINS0_17counting_iteratorImlEEZNS1_24adjacent_difference_implIS3_Lb1ELb0EPsSB_N6thrust23THRUST_200600_302600_NS5minusIsEEEE10hipError_tPvRmT2_T3_mT4_P12ihipStream_tbEUlmE_sEESB_NS0_8identityIvEEEESG_SJ_SK_mSL_SN_bEUlT_E_NS1_11comp_targetILNS1_3genE2ELNS1_11target_archE906ELNS1_3gpuE6ELNS1_3repE0EEENS1_30default_config_static_selectorELNS0_4arch9wavefront6targetE0EEEvT1_
	.p2align	8
	.type	_ZN7rocprim17ROCPRIM_400000_NS6detail17trampoline_kernelINS0_14default_configENS1_25transform_config_selectorIsLb0EEEZNS1_14transform_implILb0ES3_S5_NS0_18transform_iteratorINS0_17counting_iteratorImlEEZNS1_24adjacent_difference_implIS3_Lb1ELb0EPsSB_N6thrust23THRUST_200600_302600_NS5minusIsEEEE10hipError_tPvRmT2_T3_mT4_P12ihipStream_tbEUlmE_sEESB_NS0_8identityIvEEEESG_SJ_SK_mSL_SN_bEUlT_E_NS1_11comp_targetILNS1_3genE2ELNS1_11target_archE906ELNS1_3gpuE6ELNS1_3repE0EEENS1_30default_config_static_selectorELNS0_4arch9wavefront6targetE0EEEvT1_,@function
_ZN7rocprim17ROCPRIM_400000_NS6detail17trampoline_kernelINS0_14default_configENS1_25transform_config_selectorIsLb0EEEZNS1_14transform_implILb0ES3_S5_NS0_18transform_iteratorINS0_17counting_iteratorImlEEZNS1_24adjacent_difference_implIS3_Lb1ELb0EPsSB_N6thrust23THRUST_200600_302600_NS5minusIsEEEE10hipError_tPvRmT2_T3_mT4_P12ihipStream_tbEUlmE_sEESB_NS0_8identityIvEEEESG_SJ_SK_mSL_SN_bEUlT_E_NS1_11comp_targetILNS1_3genE2ELNS1_11target_archE906ELNS1_3gpuE6ELNS1_3repE0EEENS1_30default_config_static_selectorELNS0_4arch9wavefront6targetE0EEEvT1_: ; @_ZN7rocprim17ROCPRIM_400000_NS6detail17trampoline_kernelINS0_14default_configENS1_25transform_config_selectorIsLb0EEEZNS1_14transform_implILb0ES3_S5_NS0_18transform_iteratorINS0_17counting_iteratorImlEEZNS1_24adjacent_difference_implIS3_Lb1ELb0EPsSB_N6thrust23THRUST_200600_302600_NS5minusIsEEEE10hipError_tPvRmT2_T3_mT4_P12ihipStream_tbEUlmE_sEESB_NS0_8identityIvEEEESG_SJ_SK_mSL_SN_bEUlT_E_NS1_11comp_targetILNS1_3genE2ELNS1_11target_archE906ELNS1_3gpuE6ELNS1_3repE0EEENS1_30default_config_static_selectorELNS0_4arch9wavefront6targetE0EEEvT1_
; %bb.0:
	.section	.rodata,"a",@progbits
	.p2align	6, 0x0
	.amdhsa_kernel _ZN7rocprim17ROCPRIM_400000_NS6detail17trampoline_kernelINS0_14default_configENS1_25transform_config_selectorIsLb0EEEZNS1_14transform_implILb0ES3_S5_NS0_18transform_iteratorINS0_17counting_iteratorImlEEZNS1_24adjacent_difference_implIS3_Lb1ELb0EPsSB_N6thrust23THRUST_200600_302600_NS5minusIsEEEE10hipError_tPvRmT2_T3_mT4_P12ihipStream_tbEUlmE_sEESB_NS0_8identityIvEEEESG_SJ_SK_mSL_SN_bEUlT_E_NS1_11comp_targetILNS1_3genE2ELNS1_11target_archE906ELNS1_3gpuE6ELNS1_3repE0EEENS1_30default_config_static_selectorELNS0_4arch9wavefront6targetE0EEEvT1_
		.amdhsa_group_segment_fixed_size 0
		.amdhsa_private_segment_fixed_size 0
		.amdhsa_kernarg_size 56
		.amdhsa_user_sgpr_count 15
		.amdhsa_user_sgpr_dispatch_ptr 0
		.amdhsa_user_sgpr_queue_ptr 0
		.amdhsa_user_sgpr_kernarg_segment_ptr 1
		.amdhsa_user_sgpr_dispatch_id 0
		.amdhsa_user_sgpr_private_segment_size 0
		.amdhsa_wavefront_size32 1
		.amdhsa_uses_dynamic_stack 0
		.amdhsa_enable_private_segment 0
		.amdhsa_system_sgpr_workgroup_id_x 1
		.amdhsa_system_sgpr_workgroup_id_y 0
		.amdhsa_system_sgpr_workgroup_id_z 0
		.amdhsa_system_sgpr_workgroup_info 0
		.amdhsa_system_vgpr_workitem_id 0
		.amdhsa_next_free_vgpr 1
		.amdhsa_next_free_sgpr 1
		.amdhsa_reserve_vcc 0
		.amdhsa_float_round_mode_32 0
		.amdhsa_float_round_mode_16_64 0
		.amdhsa_float_denorm_mode_32 3
		.amdhsa_float_denorm_mode_16_64 3
		.amdhsa_dx10_clamp 1
		.amdhsa_ieee_mode 1
		.amdhsa_fp16_overflow 0
		.amdhsa_workgroup_processor_mode 1
		.amdhsa_memory_ordered 1
		.amdhsa_forward_progress 0
		.amdhsa_shared_vgpr_count 0
		.amdhsa_exception_fp_ieee_invalid_op 0
		.amdhsa_exception_fp_denorm_src 0
		.amdhsa_exception_fp_ieee_div_zero 0
		.amdhsa_exception_fp_ieee_overflow 0
		.amdhsa_exception_fp_ieee_underflow 0
		.amdhsa_exception_fp_ieee_inexact 0
		.amdhsa_exception_int_div_zero 0
	.end_amdhsa_kernel
	.section	.text._ZN7rocprim17ROCPRIM_400000_NS6detail17trampoline_kernelINS0_14default_configENS1_25transform_config_selectorIsLb0EEEZNS1_14transform_implILb0ES3_S5_NS0_18transform_iteratorINS0_17counting_iteratorImlEEZNS1_24adjacent_difference_implIS3_Lb1ELb0EPsSB_N6thrust23THRUST_200600_302600_NS5minusIsEEEE10hipError_tPvRmT2_T3_mT4_P12ihipStream_tbEUlmE_sEESB_NS0_8identityIvEEEESG_SJ_SK_mSL_SN_bEUlT_E_NS1_11comp_targetILNS1_3genE2ELNS1_11target_archE906ELNS1_3gpuE6ELNS1_3repE0EEENS1_30default_config_static_selectorELNS0_4arch9wavefront6targetE0EEEvT1_,"axG",@progbits,_ZN7rocprim17ROCPRIM_400000_NS6detail17trampoline_kernelINS0_14default_configENS1_25transform_config_selectorIsLb0EEEZNS1_14transform_implILb0ES3_S5_NS0_18transform_iteratorINS0_17counting_iteratorImlEEZNS1_24adjacent_difference_implIS3_Lb1ELb0EPsSB_N6thrust23THRUST_200600_302600_NS5minusIsEEEE10hipError_tPvRmT2_T3_mT4_P12ihipStream_tbEUlmE_sEESB_NS0_8identityIvEEEESG_SJ_SK_mSL_SN_bEUlT_E_NS1_11comp_targetILNS1_3genE2ELNS1_11target_archE906ELNS1_3gpuE6ELNS1_3repE0EEENS1_30default_config_static_selectorELNS0_4arch9wavefront6targetE0EEEvT1_,comdat
.Lfunc_end370:
	.size	_ZN7rocprim17ROCPRIM_400000_NS6detail17trampoline_kernelINS0_14default_configENS1_25transform_config_selectorIsLb0EEEZNS1_14transform_implILb0ES3_S5_NS0_18transform_iteratorINS0_17counting_iteratorImlEEZNS1_24adjacent_difference_implIS3_Lb1ELb0EPsSB_N6thrust23THRUST_200600_302600_NS5minusIsEEEE10hipError_tPvRmT2_T3_mT4_P12ihipStream_tbEUlmE_sEESB_NS0_8identityIvEEEESG_SJ_SK_mSL_SN_bEUlT_E_NS1_11comp_targetILNS1_3genE2ELNS1_11target_archE906ELNS1_3gpuE6ELNS1_3repE0EEENS1_30default_config_static_selectorELNS0_4arch9wavefront6targetE0EEEvT1_, .Lfunc_end370-_ZN7rocprim17ROCPRIM_400000_NS6detail17trampoline_kernelINS0_14default_configENS1_25transform_config_selectorIsLb0EEEZNS1_14transform_implILb0ES3_S5_NS0_18transform_iteratorINS0_17counting_iteratorImlEEZNS1_24adjacent_difference_implIS3_Lb1ELb0EPsSB_N6thrust23THRUST_200600_302600_NS5minusIsEEEE10hipError_tPvRmT2_T3_mT4_P12ihipStream_tbEUlmE_sEESB_NS0_8identityIvEEEESG_SJ_SK_mSL_SN_bEUlT_E_NS1_11comp_targetILNS1_3genE2ELNS1_11target_archE906ELNS1_3gpuE6ELNS1_3repE0EEENS1_30default_config_static_selectorELNS0_4arch9wavefront6targetE0EEEvT1_
                                        ; -- End function
	.section	.AMDGPU.csdata,"",@progbits
; Kernel info:
; codeLenInByte = 0
; NumSgprs: 0
; NumVgprs: 0
; ScratchSize: 0
; MemoryBound: 0
; FloatMode: 240
; IeeeMode: 1
; LDSByteSize: 0 bytes/workgroup (compile time only)
; SGPRBlocks: 0
; VGPRBlocks: 0
; NumSGPRsForWavesPerEU: 1
; NumVGPRsForWavesPerEU: 1
; Occupancy: 16
; WaveLimiterHint : 0
; COMPUTE_PGM_RSRC2:SCRATCH_EN: 0
; COMPUTE_PGM_RSRC2:USER_SGPR: 15
; COMPUTE_PGM_RSRC2:TRAP_HANDLER: 0
; COMPUTE_PGM_RSRC2:TGID_X_EN: 1
; COMPUTE_PGM_RSRC2:TGID_Y_EN: 0
; COMPUTE_PGM_RSRC2:TGID_Z_EN: 0
; COMPUTE_PGM_RSRC2:TIDIG_COMP_CNT: 0
	.section	.text._ZN7rocprim17ROCPRIM_400000_NS6detail17trampoline_kernelINS0_14default_configENS1_25transform_config_selectorIsLb0EEEZNS1_14transform_implILb0ES3_S5_NS0_18transform_iteratorINS0_17counting_iteratorImlEEZNS1_24adjacent_difference_implIS3_Lb1ELb0EPsSB_N6thrust23THRUST_200600_302600_NS5minusIsEEEE10hipError_tPvRmT2_T3_mT4_P12ihipStream_tbEUlmE_sEESB_NS0_8identityIvEEEESG_SJ_SK_mSL_SN_bEUlT_E_NS1_11comp_targetILNS1_3genE10ELNS1_11target_archE1201ELNS1_3gpuE5ELNS1_3repE0EEENS1_30default_config_static_selectorELNS0_4arch9wavefront6targetE0EEEvT1_,"axG",@progbits,_ZN7rocprim17ROCPRIM_400000_NS6detail17trampoline_kernelINS0_14default_configENS1_25transform_config_selectorIsLb0EEEZNS1_14transform_implILb0ES3_S5_NS0_18transform_iteratorINS0_17counting_iteratorImlEEZNS1_24adjacent_difference_implIS3_Lb1ELb0EPsSB_N6thrust23THRUST_200600_302600_NS5minusIsEEEE10hipError_tPvRmT2_T3_mT4_P12ihipStream_tbEUlmE_sEESB_NS0_8identityIvEEEESG_SJ_SK_mSL_SN_bEUlT_E_NS1_11comp_targetILNS1_3genE10ELNS1_11target_archE1201ELNS1_3gpuE5ELNS1_3repE0EEENS1_30default_config_static_selectorELNS0_4arch9wavefront6targetE0EEEvT1_,comdat
	.protected	_ZN7rocprim17ROCPRIM_400000_NS6detail17trampoline_kernelINS0_14default_configENS1_25transform_config_selectorIsLb0EEEZNS1_14transform_implILb0ES3_S5_NS0_18transform_iteratorINS0_17counting_iteratorImlEEZNS1_24adjacent_difference_implIS3_Lb1ELb0EPsSB_N6thrust23THRUST_200600_302600_NS5minusIsEEEE10hipError_tPvRmT2_T3_mT4_P12ihipStream_tbEUlmE_sEESB_NS0_8identityIvEEEESG_SJ_SK_mSL_SN_bEUlT_E_NS1_11comp_targetILNS1_3genE10ELNS1_11target_archE1201ELNS1_3gpuE5ELNS1_3repE0EEENS1_30default_config_static_selectorELNS0_4arch9wavefront6targetE0EEEvT1_ ; -- Begin function _ZN7rocprim17ROCPRIM_400000_NS6detail17trampoline_kernelINS0_14default_configENS1_25transform_config_selectorIsLb0EEEZNS1_14transform_implILb0ES3_S5_NS0_18transform_iteratorINS0_17counting_iteratorImlEEZNS1_24adjacent_difference_implIS3_Lb1ELb0EPsSB_N6thrust23THRUST_200600_302600_NS5minusIsEEEE10hipError_tPvRmT2_T3_mT4_P12ihipStream_tbEUlmE_sEESB_NS0_8identityIvEEEESG_SJ_SK_mSL_SN_bEUlT_E_NS1_11comp_targetILNS1_3genE10ELNS1_11target_archE1201ELNS1_3gpuE5ELNS1_3repE0EEENS1_30default_config_static_selectorELNS0_4arch9wavefront6targetE0EEEvT1_
	.globl	_ZN7rocprim17ROCPRIM_400000_NS6detail17trampoline_kernelINS0_14default_configENS1_25transform_config_selectorIsLb0EEEZNS1_14transform_implILb0ES3_S5_NS0_18transform_iteratorINS0_17counting_iteratorImlEEZNS1_24adjacent_difference_implIS3_Lb1ELb0EPsSB_N6thrust23THRUST_200600_302600_NS5minusIsEEEE10hipError_tPvRmT2_T3_mT4_P12ihipStream_tbEUlmE_sEESB_NS0_8identityIvEEEESG_SJ_SK_mSL_SN_bEUlT_E_NS1_11comp_targetILNS1_3genE10ELNS1_11target_archE1201ELNS1_3gpuE5ELNS1_3repE0EEENS1_30default_config_static_selectorELNS0_4arch9wavefront6targetE0EEEvT1_
	.p2align	8
	.type	_ZN7rocprim17ROCPRIM_400000_NS6detail17trampoline_kernelINS0_14default_configENS1_25transform_config_selectorIsLb0EEEZNS1_14transform_implILb0ES3_S5_NS0_18transform_iteratorINS0_17counting_iteratorImlEEZNS1_24adjacent_difference_implIS3_Lb1ELb0EPsSB_N6thrust23THRUST_200600_302600_NS5minusIsEEEE10hipError_tPvRmT2_T3_mT4_P12ihipStream_tbEUlmE_sEESB_NS0_8identityIvEEEESG_SJ_SK_mSL_SN_bEUlT_E_NS1_11comp_targetILNS1_3genE10ELNS1_11target_archE1201ELNS1_3gpuE5ELNS1_3repE0EEENS1_30default_config_static_selectorELNS0_4arch9wavefront6targetE0EEEvT1_,@function
_ZN7rocprim17ROCPRIM_400000_NS6detail17trampoline_kernelINS0_14default_configENS1_25transform_config_selectorIsLb0EEEZNS1_14transform_implILb0ES3_S5_NS0_18transform_iteratorINS0_17counting_iteratorImlEEZNS1_24adjacent_difference_implIS3_Lb1ELb0EPsSB_N6thrust23THRUST_200600_302600_NS5minusIsEEEE10hipError_tPvRmT2_T3_mT4_P12ihipStream_tbEUlmE_sEESB_NS0_8identityIvEEEESG_SJ_SK_mSL_SN_bEUlT_E_NS1_11comp_targetILNS1_3genE10ELNS1_11target_archE1201ELNS1_3gpuE5ELNS1_3repE0EEENS1_30default_config_static_selectorELNS0_4arch9wavefront6targetE0EEEvT1_: ; @_ZN7rocprim17ROCPRIM_400000_NS6detail17trampoline_kernelINS0_14default_configENS1_25transform_config_selectorIsLb0EEEZNS1_14transform_implILb0ES3_S5_NS0_18transform_iteratorINS0_17counting_iteratorImlEEZNS1_24adjacent_difference_implIS3_Lb1ELb0EPsSB_N6thrust23THRUST_200600_302600_NS5minusIsEEEE10hipError_tPvRmT2_T3_mT4_P12ihipStream_tbEUlmE_sEESB_NS0_8identityIvEEEESG_SJ_SK_mSL_SN_bEUlT_E_NS1_11comp_targetILNS1_3genE10ELNS1_11target_archE1201ELNS1_3gpuE5ELNS1_3repE0EEENS1_30default_config_static_selectorELNS0_4arch9wavefront6targetE0EEEvT1_
; %bb.0:
	.section	.rodata,"a",@progbits
	.p2align	6, 0x0
	.amdhsa_kernel _ZN7rocprim17ROCPRIM_400000_NS6detail17trampoline_kernelINS0_14default_configENS1_25transform_config_selectorIsLb0EEEZNS1_14transform_implILb0ES3_S5_NS0_18transform_iteratorINS0_17counting_iteratorImlEEZNS1_24adjacent_difference_implIS3_Lb1ELb0EPsSB_N6thrust23THRUST_200600_302600_NS5minusIsEEEE10hipError_tPvRmT2_T3_mT4_P12ihipStream_tbEUlmE_sEESB_NS0_8identityIvEEEESG_SJ_SK_mSL_SN_bEUlT_E_NS1_11comp_targetILNS1_3genE10ELNS1_11target_archE1201ELNS1_3gpuE5ELNS1_3repE0EEENS1_30default_config_static_selectorELNS0_4arch9wavefront6targetE0EEEvT1_
		.amdhsa_group_segment_fixed_size 0
		.amdhsa_private_segment_fixed_size 0
		.amdhsa_kernarg_size 56
		.amdhsa_user_sgpr_count 15
		.amdhsa_user_sgpr_dispatch_ptr 0
		.amdhsa_user_sgpr_queue_ptr 0
		.amdhsa_user_sgpr_kernarg_segment_ptr 1
		.amdhsa_user_sgpr_dispatch_id 0
		.amdhsa_user_sgpr_private_segment_size 0
		.amdhsa_wavefront_size32 1
		.amdhsa_uses_dynamic_stack 0
		.amdhsa_enable_private_segment 0
		.amdhsa_system_sgpr_workgroup_id_x 1
		.amdhsa_system_sgpr_workgroup_id_y 0
		.amdhsa_system_sgpr_workgroup_id_z 0
		.amdhsa_system_sgpr_workgroup_info 0
		.amdhsa_system_vgpr_workitem_id 0
		.amdhsa_next_free_vgpr 1
		.amdhsa_next_free_sgpr 1
		.amdhsa_reserve_vcc 0
		.amdhsa_float_round_mode_32 0
		.amdhsa_float_round_mode_16_64 0
		.amdhsa_float_denorm_mode_32 3
		.amdhsa_float_denorm_mode_16_64 3
		.amdhsa_dx10_clamp 1
		.amdhsa_ieee_mode 1
		.amdhsa_fp16_overflow 0
		.amdhsa_workgroup_processor_mode 1
		.amdhsa_memory_ordered 1
		.amdhsa_forward_progress 0
		.amdhsa_shared_vgpr_count 0
		.amdhsa_exception_fp_ieee_invalid_op 0
		.amdhsa_exception_fp_denorm_src 0
		.amdhsa_exception_fp_ieee_div_zero 0
		.amdhsa_exception_fp_ieee_overflow 0
		.amdhsa_exception_fp_ieee_underflow 0
		.amdhsa_exception_fp_ieee_inexact 0
		.amdhsa_exception_int_div_zero 0
	.end_amdhsa_kernel
	.section	.text._ZN7rocprim17ROCPRIM_400000_NS6detail17trampoline_kernelINS0_14default_configENS1_25transform_config_selectorIsLb0EEEZNS1_14transform_implILb0ES3_S5_NS0_18transform_iteratorINS0_17counting_iteratorImlEEZNS1_24adjacent_difference_implIS3_Lb1ELb0EPsSB_N6thrust23THRUST_200600_302600_NS5minusIsEEEE10hipError_tPvRmT2_T3_mT4_P12ihipStream_tbEUlmE_sEESB_NS0_8identityIvEEEESG_SJ_SK_mSL_SN_bEUlT_E_NS1_11comp_targetILNS1_3genE10ELNS1_11target_archE1201ELNS1_3gpuE5ELNS1_3repE0EEENS1_30default_config_static_selectorELNS0_4arch9wavefront6targetE0EEEvT1_,"axG",@progbits,_ZN7rocprim17ROCPRIM_400000_NS6detail17trampoline_kernelINS0_14default_configENS1_25transform_config_selectorIsLb0EEEZNS1_14transform_implILb0ES3_S5_NS0_18transform_iteratorINS0_17counting_iteratorImlEEZNS1_24adjacent_difference_implIS3_Lb1ELb0EPsSB_N6thrust23THRUST_200600_302600_NS5minusIsEEEE10hipError_tPvRmT2_T3_mT4_P12ihipStream_tbEUlmE_sEESB_NS0_8identityIvEEEESG_SJ_SK_mSL_SN_bEUlT_E_NS1_11comp_targetILNS1_3genE10ELNS1_11target_archE1201ELNS1_3gpuE5ELNS1_3repE0EEENS1_30default_config_static_selectorELNS0_4arch9wavefront6targetE0EEEvT1_,comdat
.Lfunc_end371:
	.size	_ZN7rocprim17ROCPRIM_400000_NS6detail17trampoline_kernelINS0_14default_configENS1_25transform_config_selectorIsLb0EEEZNS1_14transform_implILb0ES3_S5_NS0_18transform_iteratorINS0_17counting_iteratorImlEEZNS1_24adjacent_difference_implIS3_Lb1ELb0EPsSB_N6thrust23THRUST_200600_302600_NS5minusIsEEEE10hipError_tPvRmT2_T3_mT4_P12ihipStream_tbEUlmE_sEESB_NS0_8identityIvEEEESG_SJ_SK_mSL_SN_bEUlT_E_NS1_11comp_targetILNS1_3genE10ELNS1_11target_archE1201ELNS1_3gpuE5ELNS1_3repE0EEENS1_30default_config_static_selectorELNS0_4arch9wavefront6targetE0EEEvT1_, .Lfunc_end371-_ZN7rocprim17ROCPRIM_400000_NS6detail17trampoline_kernelINS0_14default_configENS1_25transform_config_selectorIsLb0EEEZNS1_14transform_implILb0ES3_S5_NS0_18transform_iteratorINS0_17counting_iteratorImlEEZNS1_24adjacent_difference_implIS3_Lb1ELb0EPsSB_N6thrust23THRUST_200600_302600_NS5minusIsEEEE10hipError_tPvRmT2_T3_mT4_P12ihipStream_tbEUlmE_sEESB_NS0_8identityIvEEEESG_SJ_SK_mSL_SN_bEUlT_E_NS1_11comp_targetILNS1_3genE10ELNS1_11target_archE1201ELNS1_3gpuE5ELNS1_3repE0EEENS1_30default_config_static_selectorELNS0_4arch9wavefront6targetE0EEEvT1_
                                        ; -- End function
	.section	.AMDGPU.csdata,"",@progbits
; Kernel info:
; codeLenInByte = 0
; NumSgprs: 0
; NumVgprs: 0
; ScratchSize: 0
; MemoryBound: 0
; FloatMode: 240
; IeeeMode: 1
; LDSByteSize: 0 bytes/workgroup (compile time only)
; SGPRBlocks: 0
; VGPRBlocks: 0
; NumSGPRsForWavesPerEU: 1
; NumVGPRsForWavesPerEU: 1
; Occupancy: 16
; WaveLimiterHint : 0
; COMPUTE_PGM_RSRC2:SCRATCH_EN: 0
; COMPUTE_PGM_RSRC2:USER_SGPR: 15
; COMPUTE_PGM_RSRC2:TRAP_HANDLER: 0
; COMPUTE_PGM_RSRC2:TGID_X_EN: 1
; COMPUTE_PGM_RSRC2:TGID_Y_EN: 0
; COMPUTE_PGM_RSRC2:TGID_Z_EN: 0
; COMPUTE_PGM_RSRC2:TIDIG_COMP_CNT: 0
	.section	.text._ZN7rocprim17ROCPRIM_400000_NS6detail17trampoline_kernelINS0_14default_configENS1_25transform_config_selectorIsLb0EEEZNS1_14transform_implILb0ES3_S5_NS0_18transform_iteratorINS0_17counting_iteratorImlEEZNS1_24adjacent_difference_implIS3_Lb1ELb0EPsSB_N6thrust23THRUST_200600_302600_NS5minusIsEEEE10hipError_tPvRmT2_T3_mT4_P12ihipStream_tbEUlmE_sEESB_NS0_8identityIvEEEESG_SJ_SK_mSL_SN_bEUlT_E_NS1_11comp_targetILNS1_3genE10ELNS1_11target_archE1200ELNS1_3gpuE4ELNS1_3repE0EEENS1_30default_config_static_selectorELNS0_4arch9wavefront6targetE0EEEvT1_,"axG",@progbits,_ZN7rocprim17ROCPRIM_400000_NS6detail17trampoline_kernelINS0_14default_configENS1_25transform_config_selectorIsLb0EEEZNS1_14transform_implILb0ES3_S5_NS0_18transform_iteratorINS0_17counting_iteratorImlEEZNS1_24adjacent_difference_implIS3_Lb1ELb0EPsSB_N6thrust23THRUST_200600_302600_NS5minusIsEEEE10hipError_tPvRmT2_T3_mT4_P12ihipStream_tbEUlmE_sEESB_NS0_8identityIvEEEESG_SJ_SK_mSL_SN_bEUlT_E_NS1_11comp_targetILNS1_3genE10ELNS1_11target_archE1200ELNS1_3gpuE4ELNS1_3repE0EEENS1_30default_config_static_selectorELNS0_4arch9wavefront6targetE0EEEvT1_,comdat
	.protected	_ZN7rocprim17ROCPRIM_400000_NS6detail17trampoline_kernelINS0_14default_configENS1_25transform_config_selectorIsLb0EEEZNS1_14transform_implILb0ES3_S5_NS0_18transform_iteratorINS0_17counting_iteratorImlEEZNS1_24adjacent_difference_implIS3_Lb1ELb0EPsSB_N6thrust23THRUST_200600_302600_NS5minusIsEEEE10hipError_tPvRmT2_T3_mT4_P12ihipStream_tbEUlmE_sEESB_NS0_8identityIvEEEESG_SJ_SK_mSL_SN_bEUlT_E_NS1_11comp_targetILNS1_3genE10ELNS1_11target_archE1200ELNS1_3gpuE4ELNS1_3repE0EEENS1_30default_config_static_selectorELNS0_4arch9wavefront6targetE0EEEvT1_ ; -- Begin function _ZN7rocprim17ROCPRIM_400000_NS6detail17trampoline_kernelINS0_14default_configENS1_25transform_config_selectorIsLb0EEEZNS1_14transform_implILb0ES3_S5_NS0_18transform_iteratorINS0_17counting_iteratorImlEEZNS1_24adjacent_difference_implIS3_Lb1ELb0EPsSB_N6thrust23THRUST_200600_302600_NS5minusIsEEEE10hipError_tPvRmT2_T3_mT4_P12ihipStream_tbEUlmE_sEESB_NS0_8identityIvEEEESG_SJ_SK_mSL_SN_bEUlT_E_NS1_11comp_targetILNS1_3genE10ELNS1_11target_archE1200ELNS1_3gpuE4ELNS1_3repE0EEENS1_30default_config_static_selectorELNS0_4arch9wavefront6targetE0EEEvT1_
	.globl	_ZN7rocprim17ROCPRIM_400000_NS6detail17trampoline_kernelINS0_14default_configENS1_25transform_config_selectorIsLb0EEEZNS1_14transform_implILb0ES3_S5_NS0_18transform_iteratorINS0_17counting_iteratorImlEEZNS1_24adjacent_difference_implIS3_Lb1ELb0EPsSB_N6thrust23THRUST_200600_302600_NS5minusIsEEEE10hipError_tPvRmT2_T3_mT4_P12ihipStream_tbEUlmE_sEESB_NS0_8identityIvEEEESG_SJ_SK_mSL_SN_bEUlT_E_NS1_11comp_targetILNS1_3genE10ELNS1_11target_archE1200ELNS1_3gpuE4ELNS1_3repE0EEENS1_30default_config_static_selectorELNS0_4arch9wavefront6targetE0EEEvT1_
	.p2align	8
	.type	_ZN7rocprim17ROCPRIM_400000_NS6detail17trampoline_kernelINS0_14default_configENS1_25transform_config_selectorIsLb0EEEZNS1_14transform_implILb0ES3_S5_NS0_18transform_iteratorINS0_17counting_iteratorImlEEZNS1_24adjacent_difference_implIS3_Lb1ELb0EPsSB_N6thrust23THRUST_200600_302600_NS5minusIsEEEE10hipError_tPvRmT2_T3_mT4_P12ihipStream_tbEUlmE_sEESB_NS0_8identityIvEEEESG_SJ_SK_mSL_SN_bEUlT_E_NS1_11comp_targetILNS1_3genE10ELNS1_11target_archE1200ELNS1_3gpuE4ELNS1_3repE0EEENS1_30default_config_static_selectorELNS0_4arch9wavefront6targetE0EEEvT1_,@function
_ZN7rocprim17ROCPRIM_400000_NS6detail17trampoline_kernelINS0_14default_configENS1_25transform_config_selectorIsLb0EEEZNS1_14transform_implILb0ES3_S5_NS0_18transform_iteratorINS0_17counting_iteratorImlEEZNS1_24adjacent_difference_implIS3_Lb1ELb0EPsSB_N6thrust23THRUST_200600_302600_NS5minusIsEEEE10hipError_tPvRmT2_T3_mT4_P12ihipStream_tbEUlmE_sEESB_NS0_8identityIvEEEESG_SJ_SK_mSL_SN_bEUlT_E_NS1_11comp_targetILNS1_3genE10ELNS1_11target_archE1200ELNS1_3gpuE4ELNS1_3repE0EEENS1_30default_config_static_selectorELNS0_4arch9wavefront6targetE0EEEvT1_: ; @_ZN7rocprim17ROCPRIM_400000_NS6detail17trampoline_kernelINS0_14default_configENS1_25transform_config_selectorIsLb0EEEZNS1_14transform_implILb0ES3_S5_NS0_18transform_iteratorINS0_17counting_iteratorImlEEZNS1_24adjacent_difference_implIS3_Lb1ELb0EPsSB_N6thrust23THRUST_200600_302600_NS5minusIsEEEE10hipError_tPvRmT2_T3_mT4_P12ihipStream_tbEUlmE_sEESB_NS0_8identityIvEEEESG_SJ_SK_mSL_SN_bEUlT_E_NS1_11comp_targetILNS1_3genE10ELNS1_11target_archE1200ELNS1_3gpuE4ELNS1_3repE0EEENS1_30default_config_static_selectorELNS0_4arch9wavefront6targetE0EEEvT1_
; %bb.0:
	.section	.rodata,"a",@progbits
	.p2align	6, 0x0
	.amdhsa_kernel _ZN7rocprim17ROCPRIM_400000_NS6detail17trampoline_kernelINS0_14default_configENS1_25transform_config_selectorIsLb0EEEZNS1_14transform_implILb0ES3_S5_NS0_18transform_iteratorINS0_17counting_iteratorImlEEZNS1_24adjacent_difference_implIS3_Lb1ELb0EPsSB_N6thrust23THRUST_200600_302600_NS5minusIsEEEE10hipError_tPvRmT2_T3_mT4_P12ihipStream_tbEUlmE_sEESB_NS0_8identityIvEEEESG_SJ_SK_mSL_SN_bEUlT_E_NS1_11comp_targetILNS1_3genE10ELNS1_11target_archE1200ELNS1_3gpuE4ELNS1_3repE0EEENS1_30default_config_static_selectorELNS0_4arch9wavefront6targetE0EEEvT1_
		.amdhsa_group_segment_fixed_size 0
		.amdhsa_private_segment_fixed_size 0
		.amdhsa_kernarg_size 56
		.amdhsa_user_sgpr_count 15
		.amdhsa_user_sgpr_dispatch_ptr 0
		.amdhsa_user_sgpr_queue_ptr 0
		.amdhsa_user_sgpr_kernarg_segment_ptr 1
		.amdhsa_user_sgpr_dispatch_id 0
		.amdhsa_user_sgpr_private_segment_size 0
		.amdhsa_wavefront_size32 1
		.amdhsa_uses_dynamic_stack 0
		.amdhsa_enable_private_segment 0
		.amdhsa_system_sgpr_workgroup_id_x 1
		.amdhsa_system_sgpr_workgroup_id_y 0
		.amdhsa_system_sgpr_workgroup_id_z 0
		.amdhsa_system_sgpr_workgroup_info 0
		.amdhsa_system_vgpr_workitem_id 0
		.amdhsa_next_free_vgpr 1
		.amdhsa_next_free_sgpr 1
		.amdhsa_reserve_vcc 0
		.amdhsa_float_round_mode_32 0
		.amdhsa_float_round_mode_16_64 0
		.amdhsa_float_denorm_mode_32 3
		.amdhsa_float_denorm_mode_16_64 3
		.amdhsa_dx10_clamp 1
		.amdhsa_ieee_mode 1
		.amdhsa_fp16_overflow 0
		.amdhsa_workgroup_processor_mode 1
		.amdhsa_memory_ordered 1
		.amdhsa_forward_progress 0
		.amdhsa_shared_vgpr_count 0
		.amdhsa_exception_fp_ieee_invalid_op 0
		.amdhsa_exception_fp_denorm_src 0
		.amdhsa_exception_fp_ieee_div_zero 0
		.amdhsa_exception_fp_ieee_overflow 0
		.amdhsa_exception_fp_ieee_underflow 0
		.amdhsa_exception_fp_ieee_inexact 0
		.amdhsa_exception_int_div_zero 0
	.end_amdhsa_kernel
	.section	.text._ZN7rocprim17ROCPRIM_400000_NS6detail17trampoline_kernelINS0_14default_configENS1_25transform_config_selectorIsLb0EEEZNS1_14transform_implILb0ES3_S5_NS0_18transform_iteratorINS0_17counting_iteratorImlEEZNS1_24adjacent_difference_implIS3_Lb1ELb0EPsSB_N6thrust23THRUST_200600_302600_NS5minusIsEEEE10hipError_tPvRmT2_T3_mT4_P12ihipStream_tbEUlmE_sEESB_NS0_8identityIvEEEESG_SJ_SK_mSL_SN_bEUlT_E_NS1_11comp_targetILNS1_3genE10ELNS1_11target_archE1200ELNS1_3gpuE4ELNS1_3repE0EEENS1_30default_config_static_selectorELNS0_4arch9wavefront6targetE0EEEvT1_,"axG",@progbits,_ZN7rocprim17ROCPRIM_400000_NS6detail17trampoline_kernelINS0_14default_configENS1_25transform_config_selectorIsLb0EEEZNS1_14transform_implILb0ES3_S5_NS0_18transform_iteratorINS0_17counting_iteratorImlEEZNS1_24adjacent_difference_implIS3_Lb1ELb0EPsSB_N6thrust23THRUST_200600_302600_NS5minusIsEEEE10hipError_tPvRmT2_T3_mT4_P12ihipStream_tbEUlmE_sEESB_NS0_8identityIvEEEESG_SJ_SK_mSL_SN_bEUlT_E_NS1_11comp_targetILNS1_3genE10ELNS1_11target_archE1200ELNS1_3gpuE4ELNS1_3repE0EEENS1_30default_config_static_selectorELNS0_4arch9wavefront6targetE0EEEvT1_,comdat
.Lfunc_end372:
	.size	_ZN7rocprim17ROCPRIM_400000_NS6detail17trampoline_kernelINS0_14default_configENS1_25transform_config_selectorIsLb0EEEZNS1_14transform_implILb0ES3_S5_NS0_18transform_iteratorINS0_17counting_iteratorImlEEZNS1_24adjacent_difference_implIS3_Lb1ELb0EPsSB_N6thrust23THRUST_200600_302600_NS5minusIsEEEE10hipError_tPvRmT2_T3_mT4_P12ihipStream_tbEUlmE_sEESB_NS0_8identityIvEEEESG_SJ_SK_mSL_SN_bEUlT_E_NS1_11comp_targetILNS1_3genE10ELNS1_11target_archE1200ELNS1_3gpuE4ELNS1_3repE0EEENS1_30default_config_static_selectorELNS0_4arch9wavefront6targetE0EEEvT1_, .Lfunc_end372-_ZN7rocprim17ROCPRIM_400000_NS6detail17trampoline_kernelINS0_14default_configENS1_25transform_config_selectorIsLb0EEEZNS1_14transform_implILb0ES3_S5_NS0_18transform_iteratorINS0_17counting_iteratorImlEEZNS1_24adjacent_difference_implIS3_Lb1ELb0EPsSB_N6thrust23THRUST_200600_302600_NS5minusIsEEEE10hipError_tPvRmT2_T3_mT4_P12ihipStream_tbEUlmE_sEESB_NS0_8identityIvEEEESG_SJ_SK_mSL_SN_bEUlT_E_NS1_11comp_targetILNS1_3genE10ELNS1_11target_archE1200ELNS1_3gpuE4ELNS1_3repE0EEENS1_30default_config_static_selectorELNS0_4arch9wavefront6targetE0EEEvT1_
                                        ; -- End function
	.section	.AMDGPU.csdata,"",@progbits
; Kernel info:
; codeLenInByte = 0
; NumSgprs: 0
; NumVgprs: 0
; ScratchSize: 0
; MemoryBound: 0
; FloatMode: 240
; IeeeMode: 1
; LDSByteSize: 0 bytes/workgroup (compile time only)
; SGPRBlocks: 0
; VGPRBlocks: 0
; NumSGPRsForWavesPerEU: 1
; NumVGPRsForWavesPerEU: 1
; Occupancy: 16
; WaveLimiterHint : 0
; COMPUTE_PGM_RSRC2:SCRATCH_EN: 0
; COMPUTE_PGM_RSRC2:USER_SGPR: 15
; COMPUTE_PGM_RSRC2:TRAP_HANDLER: 0
; COMPUTE_PGM_RSRC2:TGID_X_EN: 1
; COMPUTE_PGM_RSRC2:TGID_Y_EN: 0
; COMPUTE_PGM_RSRC2:TGID_Z_EN: 0
; COMPUTE_PGM_RSRC2:TIDIG_COMP_CNT: 0
	.section	.text._ZN7rocprim17ROCPRIM_400000_NS6detail17trampoline_kernelINS0_14default_configENS1_25transform_config_selectorIsLb0EEEZNS1_14transform_implILb0ES3_S5_NS0_18transform_iteratorINS0_17counting_iteratorImlEEZNS1_24adjacent_difference_implIS3_Lb1ELb0EPsSB_N6thrust23THRUST_200600_302600_NS5minusIsEEEE10hipError_tPvRmT2_T3_mT4_P12ihipStream_tbEUlmE_sEESB_NS0_8identityIvEEEESG_SJ_SK_mSL_SN_bEUlT_E_NS1_11comp_targetILNS1_3genE9ELNS1_11target_archE1100ELNS1_3gpuE3ELNS1_3repE0EEENS1_30default_config_static_selectorELNS0_4arch9wavefront6targetE0EEEvT1_,"axG",@progbits,_ZN7rocprim17ROCPRIM_400000_NS6detail17trampoline_kernelINS0_14default_configENS1_25transform_config_selectorIsLb0EEEZNS1_14transform_implILb0ES3_S5_NS0_18transform_iteratorINS0_17counting_iteratorImlEEZNS1_24adjacent_difference_implIS3_Lb1ELb0EPsSB_N6thrust23THRUST_200600_302600_NS5minusIsEEEE10hipError_tPvRmT2_T3_mT4_P12ihipStream_tbEUlmE_sEESB_NS0_8identityIvEEEESG_SJ_SK_mSL_SN_bEUlT_E_NS1_11comp_targetILNS1_3genE9ELNS1_11target_archE1100ELNS1_3gpuE3ELNS1_3repE0EEENS1_30default_config_static_selectorELNS0_4arch9wavefront6targetE0EEEvT1_,comdat
	.protected	_ZN7rocprim17ROCPRIM_400000_NS6detail17trampoline_kernelINS0_14default_configENS1_25transform_config_selectorIsLb0EEEZNS1_14transform_implILb0ES3_S5_NS0_18transform_iteratorINS0_17counting_iteratorImlEEZNS1_24adjacent_difference_implIS3_Lb1ELb0EPsSB_N6thrust23THRUST_200600_302600_NS5minusIsEEEE10hipError_tPvRmT2_T3_mT4_P12ihipStream_tbEUlmE_sEESB_NS0_8identityIvEEEESG_SJ_SK_mSL_SN_bEUlT_E_NS1_11comp_targetILNS1_3genE9ELNS1_11target_archE1100ELNS1_3gpuE3ELNS1_3repE0EEENS1_30default_config_static_selectorELNS0_4arch9wavefront6targetE0EEEvT1_ ; -- Begin function _ZN7rocprim17ROCPRIM_400000_NS6detail17trampoline_kernelINS0_14default_configENS1_25transform_config_selectorIsLb0EEEZNS1_14transform_implILb0ES3_S5_NS0_18transform_iteratorINS0_17counting_iteratorImlEEZNS1_24adjacent_difference_implIS3_Lb1ELb0EPsSB_N6thrust23THRUST_200600_302600_NS5minusIsEEEE10hipError_tPvRmT2_T3_mT4_P12ihipStream_tbEUlmE_sEESB_NS0_8identityIvEEEESG_SJ_SK_mSL_SN_bEUlT_E_NS1_11comp_targetILNS1_3genE9ELNS1_11target_archE1100ELNS1_3gpuE3ELNS1_3repE0EEENS1_30default_config_static_selectorELNS0_4arch9wavefront6targetE0EEEvT1_
	.globl	_ZN7rocprim17ROCPRIM_400000_NS6detail17trampoline_kernelINS0_14default_configENS1_25transform_config_selectorIsLb0EEEZNS1_14transform_implILb0ES3_S5_NS0_18transform_iteratorINS0_17counting_iteratorImlEEZNS1_24adjacent_difference_implIS3_Lb1ELb0EPsSB_N6thrust23THRUST_200600_302600_NS5minusIsEEEE10hipError_tPvRmT2_T3_mT4_P12ihipStream_tbEUlmE_sEESB_NS0_8identityIvEEEESG_SJ_SK_mSL_SN_bEUlT_E_NS1_11comp_targetILNS1_3genE9ELNS1_11target_archE1100ELNS1_3gpuE3ELNS1_3repE0EEENS1_30default_config_static_selectorELNS0_4arch9wavefront6targetE0EEEvT1_
	.p2align	8
	.type	_ZN7rocprim17ROCPRIM_400000_NS6detail17trampoline_kernelINS0_14default_configENS1_25transform_config_selectorIsLb0EEEZNS1_14transform_implILb0ES3_S5_NS0_18transform_iteratorINS0_17counting_iteratorImlEEZNS1_24adjacent_difference_implIS3_Lb1ELb0EPsSB_N6thrust23THRUST_200600_302600_NS5minusIsEEEE10hipError_tPvRmT2_T3_mT4_P12ihipStream_tbEUlmE_sEESB_NS0_8identityIvEEEESG_SJ_SK_mSL_SN_bEUlT_E_NS1_11comp_targetILNS1_3genE9ELNS1_11target_archE1100ELNS1_3gpuE3ELNS1_3repE0EEENS1_30default_config_static_selectorELNS0_4arch9wavefront6targetE0EEEvT1_,@function
_ZN7rocprim17ROCPRIM_400000_NS6detail17trampoline_kernelINS0_14default_configENS1_25transform_config_selectorIsLb0EEEZNS1_14transform_implILb0ES3_S5_NS0_18transform_iteratorINS0_17counting_iteratorImlEEZNS1_24adjacent_difference_implIS3_Lb1ELb0EPsSB_N6thrust23THRUST_200600_302600_NS5minusIsEEEE10hipError_tPvRmT2_T3_mT4_P12ihipStream_tbEUlmE_sEESB_NS0_8identityIvEEEESG_SJ_SK_mSL_SN_bEUlT_E_NS1_11comp_targetILNS1_3genE9ELNS1_11target_archE1100ELNS1_3gpuE3ELNS1_3repE0EEENS1_30default_config_static_selectorELNS0_4arch9wavefront6targetE0EEEvT1_: ; @_ZN7rocprim17ROCPRIM_400000_NS6detail17trampoline_kernelINS0_14default_configENS1_25transform_config_selectorIsLb0EEEZNS1_14transform_implILb0ES3_S5_NS0_18transform_iteratorINS0_17counting_iteratorImlEEZNS1_24adjacent_difference_implIS3_Lb1ELb0EPsSB_N6thrust23THRUST_200600_302600_NS5minusIsEEEE10hipError_tPvRmT2_T3_mT4_P12ihipStream_tbEUlmE_sEESB_NS0_8identityIvEEEESG_SJ_SK_mSL_SN_bEUlT_E_NS1_11comp_targetILNS1_3genE9ELNS1_11target_archE1100ELNS1_3gpuE3ELNS1_3repE0EEENS1_30default_config_static_selectorELNS0_4arch9wavefront6targetE0EEEvT1_
; %bb.0:
	s_clause 0x4
	s_load_b128 s[8:11], s[0:1], 0x18
	s_load_b64 s[16:17], s[0:1], 0x28
	s_load_b32 s13, s[0:1], 0x38
	s_load_b128 s[4:7], s[0:1], 0x0
	s_load_b32 s12, s[0:1], 0x10
	v_lshlrev_b32_e32 v3, 1, v0
	s_mov_b32 s3, 0
	s_waitcnt lgkmcnt(0)
	s_lshl_b64 s[0:1], s[8:9], 1
	s_delay_alu instid0(SALU_CYCLE_1)
	s_add_u32 s11, s16, s0
	s_addc_u32 s14, s17, s1
	s_lshl_b32 s2, s15, 11
	s_add_i32 s13, s13, -1
	s_add_u32 s0, s4, s2
	s_addc_u32 s4, s5, 0
	s_add_u32 s1, s0, s8
	s_addc_u32 s5, s4, s9
	s_cmp_lg_u32 s15, s13
	s_mov_b32 s13, -1
	s_cbranch_scc0 .LBB373_2
; %bb.1:
	v_add_co_u32 v4, s0, s1, v0
	s_delay_alu instid0(VALU_DEP_1) | instskip(SKIP_1) | instid1(VALU_DEP_2)
	v_add_co_ci_u32_e64 v6, null, s5, 0, s0
	s_mov_b32 s13, 0
	v_mad_u64_u32 v[1:2], null, v4, s12, 0
	s_lshl_b64 s[8:9], s[12:13], 11
	s_mov_b32 s4, -1
	s_delay_alu instid0(VALU_DEP_1) | instskip(NEXT) | instid1(VALU_DEP_1)
	v_mad_u64_u32 v[4:5], null, v6, s12, v[2:3]
	v_mov_b32_e32 v2, v4
	s_delay_alu instid0(VALU_DEP_1) | instskip(NEXT) | instid1(VALU_DEP_1)
	v_lshlrev_b64 v[1:2], 1, v[1:2]
	v_add_co_u32 v1, vcc_lo, s6, v1
	s_delay_alu instid0(VALU_DEP_2) | instskip(NEXT) | instid1(VALU_DEP_2)
	v_add_co_ci_u32_e32 v2, vcc_lo, s7, v2, vcc_lo
	v_add_co_u32 v4, vcc_lo, v1, s8
	s_delay_alu instid0(VALU_DEP_2)
	v_add_co_ci_u32_e32 v5, vcc_lo, s9, v2, vcc_lo
	s_lshl_b64 s[8:9], s[2:3], 1
	s_clause 0x1
	global_load_u16 v6, v[1:2], off
	global_load_u16 v4, v[4:5], off
	s_add_u32 s8, s11, s8
	s_addc_u32 s9, s14, s9
	v_add_co_u32 v1, s0, s8, v3
	s_delay_alu instid0(VALU_DEP_1)
	v_add_co_ci_u32_e64 v2, null, s9, 0, s0
	s_waitcnt vmcnt(1)
	global_store_b16 v3, v6, s[8:9]
	s_cbranch_execz .LBB373_3
	s_branch .LBB373_12
.LBB373_2:
	s_mov_b32 s4, s3
                                        ; implicit-def: $vgpr4
                                        ; implicit-def: $vgpr1_vgpr2
	s_and_not1_b32 vcc_lo, exec_lo, s13
	s_cbranch_vccnz .LBB373_12
.LBB373_3:
	s_sub_i32 s8, s10, s2
                                        ; implicit-def: $vgpr5
	s_delay_alu instid0(SALU_CYCLE_1)
	v_cmp_gt_u32_e32 vcc_lo, s8, v0
	s_and_saveexec_b32 s9, vcc_lo
	s_cbranch_execz .LBB373_5
; %bb.4:
	s_waitcnt vmcnt(0)
	v_add_co_u32 v4, s0, s1, v0
	s_delay_alu instid0(VALU_DEP_1) | instskip(NEXT) | instid1(VALU_DEP_2)
	v_add_co_ci_u32_e64 v6, null, s5, 0, s0
	v_mad_u64_u32 v[1:2], null, v4, s12, 0
	s_delay_alu instid0(VALU_DEP_1) | instskip(NEXT) | instid1(VALU_DEP_1)
	v_mad_u64_u32 v[4:5], null, v6, s12, v[2:3]
	v_mov_b32_e32 v2, v4
	s_delay_alu instid0(VALU_DEP_1) | instskip(NEXT) | instid1(VALU_DEP_1)
	v_lshlrev_b64 v[1:2], 1, v[1:2]
	v_add_co_u32 v1, s0, s6, v1
	s_delay_alu instid0(VALU_DEP_1)
	v_add_co_ci_u32_e64 v2, s0, s7, v2, s0
	global_load_d16_b16 v5, v[1:2], off
.LBB373_5:
	s_or_b32 exec_lo, exec_lo, s9
	v_or_b32_e32 v0, 0x400, v0
	s_delay_alu instid0(VALU_DEP_1) | instskip(NEXT) | instid1(VALU_DEP_1)
	v_cmp_gt_u32_e64 s0, s8, v0
	s_and_saveexec_b32 s8, s0
	s_cbranch_execz .LBB373_7
; %bb.6:
	v_add_co_u32 v2, s1, s1, v0
	s_waitcnt vmcnt(0)
	v_add_co_ci_u32_e64 v4, null, s5, 0, s1
	s_delay_alu instid0(VALU_DEP_2) | instskip(NEXT) | instid1(VALU_DEP_1)
	v_mad_u64_u32 v[0:1], null, v2, s12, 0
	v_mad_u64_u32 v[6:7], null, v4, s12, v[1:2]
	s_delay_alu instid0(VALU_DEP_1) | instskip(NEXT) | instid1(VALU_DEP_1)
	v_mov_b32_e32 v1, v6
	v_lshlrev_b64 v[0:1], 1, v[0:1]
	s_delay_alu instid0(VALU_DEP_1) | instskip(NEXT) | instid1(VALU_DEP_1)
	v_add_co_u32 v0, s1, s6, v0
	v_add_co_ci_u32_e64 v1, s1, s7, v1, s1
	global_load_d16_hi_b16 v5, v[0:1], off
.LBB373_7:
	s_or_b32 exec_lo, exec_lo, s8
	s_lshl_b64 s[2:3], s[2:3], 1
	s_delay_alu instid0(SALU_CYCLE_1) | instskip(SKIP_2) | instid1(VALU_DEP_1)
	s_add_u32 s1, s11, s2
	s_addc_u32 s2, s14, s3
	v_add_co_u32 v1, s1, s1, v3
	v_add_co_ci_u32_e64 v2, null, s2, 0, s1
	s_and_saveexec_b32 s1, vcc_lo
	s_cbranch_execz .LBB373_9
; %bb.8:
	s_waitcnt vmcnt(0)
	global_store_b16 v[1:2], v5, off
.LBB373_9:
	s_or_b32 exec_lo, exec_lo, s1
                                        ; implicit-def: $vgpr4
	s_and_saveexec_b32 s1, s0
	s_cbranch_execz .LBB373_11
; %bb.10:
	s_waitcnt vmcnt(0)
	v_lshrrev_b32_e32 v4, 16, v5
	s_or_b32 s4, s4, exec_lo
.LBB373_11:
	s_or_b32 exec_lo, exec_lo, s1
.LBB373_12:
	s_and_saveexec_b32 s0, s4
	s_cbranch_execnz .LBB373_14
; %bb.13:
	s_nop 0
	s_sendmsg sendmsg(MSG_DEALLOC_VGPRS)
	s_endpgm
.LBB373_14:
	s_waitcnt vmcnt(0)
	global_store_b16 v[1:2], v4, off offset:2048
	s_nop 0
	s_sendmsg sendmsg(MSG_DEALLOC_VGPRS)
	s_endpgm
	.section	.rodata,"a",@progbits
	.p2align	6, 0x0
	.amdhsa_kernel _ZN7rocprim17ROCPRIM_400000_NS6detail17trampoline_kernelINS0_14default_configENS1_25transform_config_selectorIsLb0EEEZNS1_14transform_implILb0ES3_S5_NS0_18transform_iteratorINS0_17counting_iteratorImlEEZNS1_24adjacent_difference_implIS3_Lb1ELb0EPsSB_N6thrust23THRUST_200600_302600_NS5minusIsEEEE10hipError_tPvRmT2_T3_mT4_P12ihipStream_tbEUlmE_sEESB_NS0_8identityIvEEEESG_SJ_SK_mSL_SN_bEUlT_E_NS1_11comp_targetILNS1_3genE9ELNS1_11target_archE1100ELNS1_3gpuE3ELNS1_3repE0EEENS1_30default_config_static_selectorELNS0_4arch9wavefront6targetE0EEEvT1_
		.amdhsa_group_segment_fixed_size 0
		.amdhsa_private_segment_fixed_size 0
		.amdhsa_kernarg_size 312
		.amdhsa_user_sgpr_count 15
		.amdhsa_user_sgpr_dispatch_ptr 0
		.amdhsa_user_sgpr_queue_ptr 0
		.amdhsa_user_sgpr_kernarg_segment_ptr 1
		.amdhsa_user_sgpr_dispatch_id 0
		.amdhsa_user_sgpr_private_segment_size 0
		.amdhsa_wavefront_size32 1
		.amdhsa_uses_dynamic_stack 0
		.amdhsa_enable_private_segment 0
		.amdhsa_system_sgpr_workgroup_id_x 1
		.amdhsa_system_sgpr_workgroup_id_y 0
		.amdhsa_system_sgpr_workgroup_id_z 0
		.amdhsa_system_sgpr_workgroup_info 0
		.amdhsa_system_vgpr_workitem_id 0
		.amdhsa_next_free_vgpr 8
		.amdhsa_next_free_sgpr 18
		.amdhsa_reserve_vcc 1
		.amdhsa_float_round_mode_32 0
		.amdhsa_float_round_mode_16_64 0
		.amdhsa_float_denorm_mode_32 3
		.amdhsa_float_denorm_mode_16_64 3
		.amdhsa_dx10_clamp 1
		.amdhsa_ieee_mode 1
		.amdhsa_fp16_overflow 0
		.amdhsa_workgroup_processor_mode 1
		.amdhsa_memory_ordered 1
		.amdhsa_forward_progress 0
		.amdhsa_shared_vgpr_count 0
		.amdhsa_exception_fp_ieee_invalid_op 0
		.amdhsa_exception_fp_denorm_src 0
		.amdhsa_exception_fp_ieee_div_zero 0
		.amdhsa_exception_fp_ieee_overflow 0
		.amdhsa_exception_fp_ieee_underflow 0
		.amdhsa_exception_fp_ieee_inexact 0
		.amdhsa_exception_int_div_zero 0
	.end_amdhsa_kernel
	.section	.text._ZN7rocprim17ROCPRIM_400000_NS6detail17trampoline_kernelINS0_14default_configENS1_25transform_config_selectorIsLb0EEEZNS1_14transform_implILb0ES3_S5_NS0_18transform_iteratorINS0_17counting_iteratorImlEEZNS1_24adjacent_difference_implIS3_Lb1ELb0EPsSB_N6thrust23THRUST_200600_302600_NS5minusIsEEEE10hipError_tPvRmT2_T3_mT4_P12ihipStream_tbEUlmE_sEESB_NS0_8identityIvEEEESG_SJ_SK_mSL_SN_bEUlT_E_NS1_11comp_targetILNS1_3genE9ELNS1_11target_archE1100ELNS1_3gpuE3ELNS1_3repE0EEENS1_30default_config_static_selectorELNS0_4arch9wavefront6targetE0EEEvT1_,"axG",@progbits,_ZN7rocprim17ROCPRIM_400000_NS6detail17trampoline_kernelINS0_14default_configENS1_25transform_config_selectorIsLb0EEEZNS1_14transform_implILb0ES3_S5_NS0_18transform_iteratorINS0_17counting_iteratorImlEEZNS1_24adjacent_difference_implIS3_Lb1ELb0EPsSB_N6thrust23THRUST_200600_302600_NS5minusIsEEEE10hipError_tPvRmT2_T3_mT4_P12ihipStream_tbEUlmE_sEESB_NS0_8identityIvEEEESG_SJ_SK_mSL_SN_bEUlT_E_NS1_11comp_targetILNS1_3genE9ELNS1_11target_archE1100ELNS1_3gpuE3ELNS1_3repE0EEENS1_30default_config_static_selectorELNS0_4arch9wavefront6targetE0EEEvT1_,comdat
.Lfunc_end373:
	.size	_ZN7rocprim17ROCPRIM_400000_NS6detail17trampoline_kernelINS0_14default_configENS1_25transform_config_selectorIsLb0EEEZNS1_14transform_implILb0ES3_S5_NS0_18transform_iteratorINS0_17counting_iteratorImlEEZNS1_24adjacent_difference_implIS3_Lb1ELb0EPsSB_N6thrust23THRUST_200600_302600_NS5minusIsEEEE10hipError_tPvRmT2_T3_mT4_P12ihipStream_tbEUlmE_sEESB_NS0_8identityIvEEEESG_SJ_SK_mSL_SN_bEUlT_E_NS1_11comp_targetILNS1_3genE9ELNS1_11target_archE1100ELNS1_3gpuE3ELNS1_3repE0EEENS1_30default_config_static_selectorELNS0_4arch9wavefront6targetE0EEEvT1_, .Lfunc_end373-_ZN7rocprim17ROCPRIM_400000_NS6detail17trampoline_kernelINS0_14default_configENS1_25transform_config_selectorIsLb0EEEZNS1_14transform_implILb0ES3_S5_NS0_18transform_iteratorINS0_17counting_iteratorImlEEZNS1_24adjacent_difference_implIS3_Lb1ELb0EPsSB_N6thrust23THRUST_200600_302600_NS5minusIsEEEE10hipError_tPvRmT2_T3_mT4_P12ihipStream_tbEUlmE_sEESB_NS0_8identityIvEEEESG_SJ_SK_mSL_SN_bEUlT_E_NS1_11comp_targetILNS1_3genE9ELNS1_11target_archE1100ELNS1_3gpuE3ELNS1_3repE0EEENS1_30default_config_static_selectorELNS0_4arch9wavefront6targetE0EEEvT1_
                                        ; -- End function
	.section	.AMDGPU.csdata,"",@progbits
; Kernel info:
; codeLenInByte = 644
; NumSgprs: 20
; NumVgprs: 8
; ScratchSize: 0
; MemoryBound: 0
; FloatMode: 240
; IeeeMode: 1
; LDSByteSize: 0 bytes/workgroup (compile time only)
; SGPRBlocks: 2
; VGPRBlocks: 0
; NumSGPRsForWavesPerEU: 20
; NumVGPRsForWavesPerEU: 8
; Occupancy: 16
; WaveLimiterHint : 0
; COMPUTE_PGM_RSRC2:SCRATCH_EN: 0
; COMPUTE_PGM_RSRC2:USER_SGPR: 15
; COMPUTE_PGM_RSRC2:TRAP_HANDLER: 0
; COMPUTE_PGM_RSRC2:TGID_X_EN: 1
; COMPUTE_PGM_RSRC2:TGID_Y_EN: 0
; COMPUTE_PGM_RSRC2:TGID_Z_EN: 0
; COMPUTE_PGM_RSRC2:TIDIG_COMP_CNT: 0
	.section	.text._ZN7rocprim17ROCPRIM_400000_NS6detail17trampoline_kernelINS0_14default_configENS1_25transform_config_selectorIsLb0EEEZNS1_14transform_implILb0ES3_S5_NS0_18transform_iteratorINS0_17counting_iteratorImlEEZNS1_24adjacent_difference_implIS3_Lb1ELb0EPsSB_N6thrust23THRUST_200600_302600_NS5minusIsEEEE10hipError_tPvRmT2_T3_mT4_P12ihipStream_tbEUlmE_sEESB_NS0_8identityIvEEEESG_SJ_SK_mSL_SN_bEUlT_E_NS1_11comp_targetILNS1_3genE8ELNS1_11target_archE1030ELNS1_3gpuE2ELNS1_3repE0EEENS1_30default_config_static_selectorELNS0_4arch9wavefront6targetE0EEEvT1_,"axG",@progbits,_ZN7rocprim17ROCPRIM_400000_NS6detail17trampoline_kernelINS0_14default_configENS1_25transform_config_selectorIsLb0EEEZNS1_14transform_implILb0ES3_S5_NS0_18transform_iteratorINS0_17counting_iteratorImlEEZNS1_24adjacent_difference_implIS3_Lb1ELb0EPsSB_N6thrust23THRUST_200600_302600_NS5minusIsEEEE10hipError_tPvRmT2_T3_mT4_P12ihipStream_tbEUlmE_sEESB_NS0_8identityIvEEEESG_SJ_SK_mSL_SN_bEUlT_E_NS1_11comp_targetILNS1_3genE8ELNS1_11target_archE1030ELNS1_3gpuE2ELNS1_3repE0EEENS1_30default_config_static_selectorELNS0_4arch9wavefront6targetE0EEEvT1_,comdat
	.protected	_ZN7rocprim17ROCPRIM_400000_NS6detail17trampoline_kernelINS0_14default_configENS1_25transform_config_selectorIsLb0EEEZNS1_14transform_implILb0ES3_S5_NS0_18transform_iteratorINS0_17counting_iteratorImlEEZNS1_24adjacent_difference_implIS3_Lb1ELb0EPsSB_N6thrust23THRUST_200600_302600_NS5minusIsEEEE10hipError_tPvRmT2_T3_mT4_P12ihipStream_tbEUlmE_sEESB_NS0_8identityIvEEEESG_SJ_SK_mSL_SN_bEUlT_E_NS1_11comp_targetILNS1_3genE8ELNS1_11target_archE1030ELNS1_3gpuE2ELNS1_3repE0EEENS1_30default_config_static_selectorELNS0_4arch9wavefront6targetE0EEEvT1_ ; -- Begin function _ZN7rocprim17ROCPRIM_400000_NS6detail17trampoline_kernelINS0_14default_configENS1_25transform_config_selectorIsLb0EEEZNS1_14transform_implILb0ES3_S5_NS0_18transform_iteratorINS0_17counting_iteratorImlEEZNS1_24adjacent_difference_implIS3_Lb1ELb0EPsSB_N6thrust23THRUST_200600_302600_NS5minusIsEEEE10hipError_tPvRmT2_T3_mT4_P12ihipStream_tbEUlmE_sEESB_NS0_8identityIvEEEESG_SJ_SK_mSL_SN_bEUlT_E_NS1_11comp_targetILNS1_3genE8ELNS1_11target_archE1030ELNS1_3gpuE2ELNS1_3repE0EEENS1_30default_config_static_selectorELNS0_4arch9wavefront6targetE0EEEvT1_
	.globl	_ZN7rocprim17ROCPRIM_400000_NS6detail17trampoline_kernelINS0_14default_configENS1_25transform_config_selectorIsLb0EEEZNS1_14transform_implILb0ES3_S5_NS0_18transform_iteratorINS0_17counting_iteratorImlEEZNS1_24adjacent_difference_implIS3_Lb1ELb0EPsSB_N6thrust23THRUST_200600_302600_NS5minusIsEEEE10hipError_tPvRmT2_T3_mT4_P12ihipStream_tbEUlmE_sEESB_NS0_8identityIvEEEESG_SJ_SK_mSL_SN_bEUlT_E_NS1_11comp_targetILNS1_3genE8ELNS1_11target_archE1030ELNS1_3gpuE2ELNS1_3repE0EEENS1_30default_config_static_selectorELNS0_4arch9wavefront6targetE0EEEvT1_
	.p2align	8
	.type	_ZN7rocprim17ROCPRIM_400000_NS6detail17trampoline_kernelINS0_14default_configENS1_25transform_config_selectorIsLb0EEEZNS1_14transform_implILb0ES3_S5_NS0_18transform_iteratorINS0_17counting_iteratorImlEEZNS1_24adjacent_difference_implIS3_Lb1ELb0EPsSB_N6thrust23THRUST_200600_302600_NS5minusIsEEEE10hipError_tPvRmT2_T3_mT4_P12ihipStream_tbEUlmE_sEESB_NS0_8identityIvEEEESG_SJ_SK_mSL_SN_bEUlT_E_NS1_11comp_targetILNS1_3genE8ELNS1_11target_archE1030ELNS1_3gpuE2ELNS1_3repE0EEENS1_30default_config_static_selectorELNS0_4arch9wavefront6targetE0EEEvT1_,@function
_ZN7rocprim17ROCPRIM_400000_NS6detail17trampoline_kernelINS0_14default_configENS1_25transform_config_selectorIsLb0EEEZNS1_14transform_implILb0ES3_S5_NS0_18transform_iteratorINS0_17counting_iteratorImlEEZNS1_24adjacent_difference_implIS3_Lb1ELb0EPsSB_N6thrust23THRUST_200600_302600_NS5minusIsEEEE10hipError_tPvRmT2_T3_mT4_P12ihipStream_tbEUlmE_sEESB_NS0_8identityIvEEEESG_SJ_SK_mSL_SN_bEUlT_E_NS1_11comp_targetILNS1_3genE8ELNS1_11target_archE1030ELNS1_3gpuE2ELNS1_3repE0EEENS1_30default_config_static_selectorELNS0_4arch9wavefront6targetE0EEEvT1_: ; @_ZN7rocprim17ROCPRIM_400000_NS6detail17trampoline_kernelINS0_14default_configENS1_25transform_config_selectorIsLb0EEEZNS1_14transform_implILb0ES3_S5_NS0_18transform_iteratorINS0_17counting_iteratorImlEEZNS1_24adjacent_difference_implIS3_Lb1ELb0EPsSB_N6thrust23THRUST_200600_302600_NS5minusIsEEEE10hipError_tPvRmT2_T3_mT4_P12ihipStream_tbEUlmE_sEESB_NS0_8identityIvEEEESG_SJ_SK_mSL_SN_bEUlT_E_NS1_11comp_targetILNS1_3genE8ELNS1_11target_archE1030ELNS1_3gpuE2ELNS1_3repE0EEENS1_30default_config_static_selectorELNS0_4arch9wavefront6targetE0EEEvT1_
; %bb.0:
	.section	.rodata,"a",@progbits
	.p2align	6, 0x0
	.amdhsa_kernel _ZN7rocprim17ROCPRIM_400000_NS6detail17trampoline_kernelINS0_14default_configENS1_25transform_config_selectorIsLb0EEEZNS1_14transform_implILb0ES3_S5_NS0_18transform_iteratorINS0_17counting_iteratorImlEEZNS1_24adjacent_difference_implIS3_Lb1ELb0EPsSB_N6thrust23THRUST_200600_302600_NS5minusIsEEEE10hipError_tPvRmT2_T3_mT4_P12ihipStream_tbEUlmE_sEESB_NS0_8identityIvEEEESG_SJ_SK_mSL_SN_bEUlT_E_NS1_11comp_targetILNS1_3genE8ELNS1_11target_archE1030ELNS1_3gpuE2ELNS1_3repE0EEENS1_30default_config_static_selectorELNS0_4arch9wavefront6targetE0EEEvT1_
		.amdhsa_group_segment_fixed_size 0
		.amdhsa_private_segment_fixed_size 0
		.amdhsa_kernarg_size 56
		.amdhsa_user_sgpr_count 15
		.amdhsa_user_sgpr_dispatch_ptr 0
		.amdhsa_user_sgpr_queue_ptr 0
		.amdhsa_user_sgpr_kernarg_segment_ptr 1
		.amdhsa_user_sgpr_dispatch_id 0
		.amdhsa_user_sgpr_private_segment_size 0
		.amdhsa_wavefront_size32 1
		.amdhsa_uses_dynamic_stack 0
		.amdhsa_enable_private_segment 0
		.amdhsa_system_sgpr_workgroup_id_x 1
		.amdhsa_system_sgpr_workgroup_id_y 0
		.amdhsa_system_sgpr_workgroup_id_z 0
		.amdhsa_system_sgpr_workgroup_info 0
		.amdhsa_system_vgpr_workitem_id 0
		.amdhsa_next_free_vgpr 1
		.amdhsa_next_free_sgpr 1
		.amdhsa_reserve_vcc 0
		.amdhsa_float_round_mode_32 0
		.amdhsa_float_round_mode_16_64 0
		.amdhsa_float_denorm_mode_32 3
		.amdhsa_float_denorm_mode_16_64 3
		.amdhsa_dx10_clamp 1
		.amdhsa_ieee_mode 1
		.amdhsa_fp16_overflow 0
		.amdhsa_workgroup_processor_mode 1
		.amdhsa_memory_ordered 1
		.amdhsa_forward_progress 0
		.amdhsa_shared_vgpr_count 0
		.amdhsa_exception_fp_ieee_invalid_op 0
		.amdhsa_exception_fp_denorm_src 0
		.amdhsa_exception_fp_ieee_div_zero 0
		.amdhsa_exception_fp_ieee_overflow 0
		.amdhsa_exception_fp_ieee_underflow 0
		.amdhsa_exception_fp_ieee_inexact 0
		.amdhsa_exception_int_div_zero 0
	.end_amdhsa_kernel
	.section	.text._ZN7rocprim17ROCPRIM_400000_NS6detail17trampoline_kernelINS0_14default_configENS1_25transform_config_selectorIsLb0EEEZNS1_14transform_implILb0ES3_S5_NS0_18transform_iteratorINS0_17counting_iteratorImlEEZNS1_24adjacent_difference_implIS3_Lb1ELb0EPsSB_N6thrust23THRUST_200600_302600_NS5minusIsEEEE10hipError_tPvRmT2_T3_mT4_P12ihipStream_tbEUlmE_sEESB_NS0_8identityIvEEEESG_SJ_SK_mSL_SN_bEUlT_E_NS1_11comp_targetILNS1_3genE8ELNS1_11target_archE1030ELNS1_3gpuE2ELNS1_3repE0EEENS1_30default_config_static_selectorELNS0_4arch9wavefront6targetE0EEEvT1_,"axG",@progbits,_ZN7rocprim17ROCPRIM_400000_NS6detail17trampoline_kernelINS0_14default_configENS1_25transform_config_selectorIsLb0EEEZNS1_14transform_implILb0ES3_S5_NS0_18transform_iteratorINS0_17counting_iteratorImlEEZNS1_24adjacent_difference_implIS3_Lb1ELb0EPsSB_N6thrust23THRUST_200600_302600_NS5minusIsEEEE10hipError_tPvRmT2_T3_mT4_P12ihipStream_tbEUlmE_sEESB_NS0_8identityIvEEEESG_SJ_SK_mSL_SN_bEUlT_E_NS1_11comp_targetILNS1_3genE8ELNS1_11target_archE1030ELNS1_3gpuE2ELNS1_3repE0EEENS1_30default_config_static_selectorELNS0_4arch9wavefront6targetE0EEEvT1_,comdat
.Lfunc_end374:
	.size	_ZN7rocprim17ROCPRIM_400000_NS6detail17trampoline_kernelINS0_14default_configENS1_25transform_config_selectorIsLb0EEEZNS1_14transform_implILb0ES3_S5_NS0_18transform_iteratorINS0_17counting_iteratorImlEEZNS1_24adjacent_difference_implIS3_Lb1ELb0EPsSB_N6thrust23THRUST_200600_302600_NS5minusIsEEEE10hipError_tPvRmT2_T3_mT4_P12ihipStream_tbEUlmE_sEESB_NS0_8identityIvEEEESG_SJ_SK_mSL_SN_bEUlT_E_NS1_11comp_targetILNS1_3genE8ELNS1_11target_archE1030ELNS1_3gpuE2ELNS1_3repE0EEENS1_30default_config_static_selectorELNS0_4arch9wavefront6targetE0EEEvT1_, .Lfunc_end374-_ZN7rocprim17ROCPRIM_400000_NS6detail17trampoline_kernelINS0_14default_configENS1_25transform_config_selectorIsLb0EEEZNS1_14transform_implILb0ES3_S5_NS0_18transform_iteratorINS0_17counting_iteratorImlEEZNS1_24adjacent_difference_implIS3_Lb1ELb0EPsSB_N6thrust23THRUST_200600_302600_NS5minusIsEEEE10hipError_tPvRmT2_T3_mT4_P12ihipStream_tbEUlmE_sEESB_NS0_8identityIvEEEESG_SJ_SK_mSL_SN_bEUlT_E_NS1_11comp_targetILNS1_3genE8ELNS1_11target_archE1030ELNS1_3gpuE2ELNS1_3repE0EEENS1_30default_config_static_selectorELNS0_4arch9wavefront6targetE0EEEvT1_
                                        ; -- End function
	.section	.AMDGPU.csdata,"",@progbits
; Kernel info:
; codeLenInByte = 0
; NumSgprs: 0
; NumVgprs: 0
; ScratchSize: 0
; MemoryBound: 0
; FloatMode: 240
; IeeeMode: 1
; LDSByteSize: 0 bytes/workgroup (compile time only)
; SGPRBlocks: 0
; VGPRBlocks: 0
; NumSGPRsForWavesPerEU: 1
; NumVGPRsForWavesPerEU: 1
; Occupancy: 16
; WaveLimiterHint : 0
; COMPUTE_PGM_RSRC2:SCRATCH_EN: 0
; COMPUTE_PGM_RSRC2:USER_SGPR: 15
; COMPUTE_PGM_RSRC2:TRAP_HANDLER: 0
; COMPUTE_PGM_RSRC2:TGID_X_EN: 1
; COMPUTE_PGM_RSRC2:TGID_Y_EN: 0
; COMPUTE_PGM_RSRC2:TGID_Z_EN: 0
; COMPUTE_PGM_RSRC2:TIDIG_COMP_CNT: 0
	.section	.text._ZN7rocprim17ROCPRIM_400000_NS6detail17trampoline_kernelINS0_14default_configENS1_35adjacent_difference_config_selectorILb1EsEEZNS1_24adjacent_difference_implIS3_Lb1ELb0EPsS7_N6thrust23THRUST_200600_302600_NS5minusIsEEEE10hipError_tPvRmT2_T3_mT4_P12ihipStream_tbEUlT_E_NS1_11comp_targetILNS1_3genE0ELNS1_11target_archE4294967295ELNS1_3gpuE0ELNS1_3repE0EEENS1_30default_config_static_selectorELNS0_4arch9wavefront6targetE0EEEvT1_,"axG",@progbits,_ZN7rocprim17ROCPRIM_400000_NS6detail17trampoline_kernelINS0_14default_configENS1_35adjacent_difference_config_selectorILb1EsEEZNS1_24adjacent_difference_implIS3_Lb1ELb0EPsS7_N6thrust23THRUST_200600_302600_NS5minusIsEEEE10hipError_tPvRmT2_T3_mT4_P12ihipStream_tbEUlT_E_NS1_11comp_targetILNS1_3genE0ELNS1_11target_archE4294967295ELNS1_3gpuE0ELNS1_3repE0EEENS1_30default_config_static_selectorELNS0_4arch9wavefront6targetE0EEEvT1_,comdat
	.protected	_ZN7rocprim17ROCPRIM_400000_NS6detail17trampoline_kernelINS0_14default_configENS1_35adjacent_difference_config_selectorILb1EsEEZNS1_24adjacent_difference_implIS3_Lb1ELb0EPsS7_N6thrust23THRUST_200600_302600_NS5minusIsEEEE10hipError_tPvRmT2_T3_mT4_P12ihipStream_tbEUlT_E_NS1_11comp_targetILNS1_3genE0ELNS1_11target_archE4294967295ELNS1_3gpuE0ELNS1_3repE0EEENS1_30default_config_static_selectorELNS0_4arch9wavefront6targetE0EEEvT1_ ; -- Begin function _ZN7rocprim17ROCPRIM_400000_NS6detail17trampoline_kernelINS0_14default_configENS1_35adjacent_difference_config_selectorILb1EsEEZNS1_24adjacent_difference_implIS3_Lb1ELb0EPsS7_N6thrust23THRUST_200600_302600_NS5minusIsEEEE10hipError_tPvRmT2_T3_mT4_P12ihipStream_tbEUlT_E_NS1_11comp_targetILNS1_3genE0ELNS1_11target_archE4294967295ELNS1_3gpuE0ELNS1_3repE0EEENS1_30default_config_static_selectorELNS0_4arch9wavefront6targetE0EEEvT1_
	.globl	_ZN7rocprim17ROCPRIM_400000_NS6detail17trampoline_kernelINS0_14default_configENS1_35adjacent_difference_config_selectorILb1EsEEZNS1_24adjacent_difference_implIS3_Lb1ELb0EPsS7_N6thrust23THRUST_200600_302600_NS5minusIsEEEE10hipError_tPvRmT2_T3_mT4_P12ihipStream_tbEUlT_E_NS1_11comp_targetILNS1_3genE0ELNS1_11target_archE4294967295ELNS1_3gpuE0ELNS1_3repE0EEENS1_30default_config_static_selectorELNS0_4arch9wavefront6targetE0EEEvT1_
	.p2align	8
	.type	_ZN7rocprim17ROCPRIM_400000_NS6detail17trampoline_kernelINS0_14default_configENS1_35adjacent_difference_config_selectorILb1EsEEZNS1_24adjacent_difference_implIS3_Lb1ELb0EPsS7_N6thrust23THRUST_200600_302600_NS5minusIsEEEE10hipError_tPvRmT2_T3_mT4_P12ihipStream_tbEUlT_E_NS1_11comp_targetILNS1_3genE0ELNS1_11target_archE4294967295ELNS1_3gpuE0ELNS1_3repE0EEENS1_30default_config_static_selectorELNS0_4arch9wavefront6targetE0EEEvT1_,@function
_ZN7rocprim17ROCPRIM_400000_NS6detail17trampoline_kernelINS0_14default_configENS1_35adjacent_difference_config_selectorILb1EsEEZNS1_24adjacent_difference_implIS3_Lb1ELb0EPsS7_N6thrust23THRUST_200600_302600_NS5minusIsEEEE10hipError_tPvRmT2_T3_mT4_P12ihipStream_tbEUlT_E_NS1_11comp_targetILNS1_3genE0ELNS1_11target_archE4294967295ELNS1_3gpuE0ELNS1_3repE0EEENS1_30default_config_static_selectorELNS0_4arch9wavefront6targetE0EEEvT1_: ; @_ZN7rocprim17ROCPRIM_400000_NS6detail17trampoline_kernelINS0_14default_configENS1_35adjacent_difference_config_selectorILb1EsEEZNS1_24adjacent_difference_implIS3_Lb1ELb0EPsS7_N6thrust23THRUST_200600_302600_NS5minusIsEEEE10hipError_tPvRmT2_T3_mT4_P12ihipStream_tbEUlT_E_NS1_11comp_targetILNS1_3genE0ELNS1_11target_archE4294967295ELNS1_3gpuE0ELNS1_3repE0EEENS1_30default_config_static_selectorELNS0_4arch9wavefront6targetE0EEEvT1_
; %bb.0:
	.section	.rodata,"a",@progbits
	.p2align	6, 0x0
	.amdhsa_kernel _ZN7rocprim17ROCPRIM_400000_NS6detail17trampoline_kernelINS0_14default_configENS1_35adjacent_difference_config_selectorILb1EsEEZNS1_24adjacent_difference_implIS3_Lb1ELb0EPsS7_N6thrust23THRUST_200600_302600_NS5minusIsEEEE10hipError_tPvRmT2_T3_mT4_P12ihipStream_tbEUlT_E_NS1_11comp_targetILNS1_3genE0ELNS1_11target_archE4294967295ELNS1_3gpuE0ELNS1_3repE0EEENS1_30default_config_static_selectorELNS0_4arch9wavefront6targetE0EEEvT1_
		.amdhsa_group_segment_fixed_size 0
		.amdhsa_private_segment_fixed_size 0
		.amdhsa_kernarg_size 56
		.amdhsa_user_sgpr_count 15
		.amdhsa_user_sgpr_dispatch_ptr 0
		.amdhsa_user_sgpr_queue_ptr 0
		.amdhsa_user_sgpr_kernarg_segment_ptr 1
		.amdhsa_user_sgpr_dispatch_id 0
		.amdhsa_user_sgpr_private_segment_size 0
		.amdhsa_wavefront_size32 1
		.amdhsa_uses_dynamic_stack 0
		.amdhsa_enable_private_segment 0
		.amdhsa_system_sgpr_workgroup_id_x 1
		.amdhsa_system_sgpr_workgroup_id_y 0
		.amdhsa_system_sgpr_workgroup_id_z 0
		.amdhsa_system_sgpr_workgroup_info 0
		.amdhsa_system_vgpr_workitem_id 0
		.amdhsa_next_free_vgpr 1
		.amdhsa_next_free_sgpr 1
		.amdhsa_reserve_vcc 0
		.amdhsa_float_round_mode_32 0
		.amdhsa_float_round_mode_16_64 0
		.amdhsa_float_denorm_mode_32 3
		.amdhsa_float_denorm_mode_16_64 3
		.amdhsa_dx10_clamp 1
		.amdhsa_ieee_mode 1
		.amdhsa_fp16_overflow 0
		.amdhsa_workgroup_processor_mode 1
		.amdhsa_memory_ordered 1
		.amdhsa_forward_progress 0
		.amdhsa_shared_vgpr_count 0
		.amdhsa_exception_fp_ieee_invalid_op 0
		.amdhsa_exception_fp_denorm_src 0
		.amdhsa_exception_fp_ieee_div_zero 0
		.amdhsa_exception_fp_ieee_overflow 0
		.amdhsa_exception_fp_ieee_underflow 0
		.amdhsa_exception_fp_ieee_inexact 0
		.amdhsa_exception_int_div_zero 0
	.end_amdhsa_kernel
	.section	.text._ZN7rocprim17ROCPRIM_400000_NS6detail17trampoline_kernelINS0_14default_configENS1_35adjacent_difference_config_selectorILb1EsEEZNS1_24adjacent_difference_implIS3_Lb1ELb0EPsS7_N6thrust23THRUST_200600_302600_NS5minusIsEEEE10hipError_tPvRmT2_T3_mT4_P12ihipStream_tbEUlT_E_NS1_11comp_targetILNS1_3genE0ELNS1_11target_archE4294967295ELNS1_3gpuE0ELNS1_3repE0EEENS1_30default_config_static_selectorELNS0_4arch9wavefront6targetE0EEEvT1_,"axG",@progbits,_ZN7rocprim17ROCPRIM_400000_NS6detail17trampoline_kernelINS0_14default_configENS1_35adjacent_difference_config_selectorILb1EsEEZNS1_24adjacent_difference_implIS3_Lb1ELb0EPsS7_N6thrust23THRUST_200600_302600_NS5minusIsEEEE10hipError_tPvRmT2_T3_mT4_P12ihipStream_tbEUlT_E_NS1_11comp_targetILNS1_3genE0ELNS1_11target_archE4294967295ELNS1_3gpuE0ELNS1_3repE0EEENS1_30default_config_static_selectorELNS0_4arch9wavefront6targetE0EEEvT1_,comdat
.Lfunc_end375:
	.size	_ZN7rocprim17ROCPRIM_400000_NS6detail17trampoline_kernelINS0_14default_configENS1_35adjacent_difference_config_selectorILb1EsEEZNS1_24adjacent_difference_implIS3_Lb1ELb0EPsS7_N6thrust23THRUST_200600_302600_NS5minusIsEEEE10hipError_tPvRmT2_T3_mT4_P12ihipStream_tbEUlT_E_NS1_11comp_targetILNS1_3genE0ELNS1_11target_archE4294967295ELNS1_3gpuE0ELNS1_3repE0EEENS1_30default_config_static_selectorELNS0_4arch9wavefront6targetE0EEEvT1_, .Lfunc_end375-_ZN7rocprim17ROCPRIM_400000_NS6detail17trampoline_kernelINS0_14default_configENS1_35adjacent_difference_config_selectorILb1EsEEZNS1_24adjacent_difference_implIS3_Lb1ELb0EPsS7_N6thrust23THRUST_200600_302600_NS5minusIsEEEE10hipError_tPvRmT2_T3_mT4_P12ihipStream_tbEUlT_E_NS1_11comp_targetILNS1_3genE0ELNS1_11target_archE4294967295ELNS1_3gpuE0ELNS1_3repE0EEENS1_30default_config_static_selectorELNS0_4arch9wavefront6targetE0EEEvT1_
                                        ; -- End function
	.section	.AMDGPU.csdata,"",@progbits
; Kernel info:
; codeLenInByte = 0
; NumSgprs: 0
; NumVgprs: 0
; ScratchSize: 0
; MemoryBound: 0
; FloatMode: 240
; IeeeMode: 1
; LDSByteSize: 0 bytes/workgroup (compile time only)
; SGPRBlocks: 0
; VGPRBlocks: 0
; NumSGPRsForWavesPerEU: 1
; NumVGPRsForWavesPerEU: 1
; Occupancy: 16
; WaveLimiterHint : 0
; COMPUTE_PGM_RSRC2:SCRATCH_EN: 0
; COMPUTE_PGM_RSRC2:USER_SGPR: 15
; COMPUTE_PGM_RSRC2:TRAP_HANDLER: 0
; COMPUTE_PGM_RSRC2:TGID_X_EN: 1
; COMPUTE_PGM_RSRC2:TGID_Y_EN: 0
; COMPUTE_PGM_RSRC2:TGID_Z_EN: 0
; COMPUTE_PGM_RSRC2:TIDIG_COMP_CNT: 0
	.section	.text._ZN7rocprim17ROCPRIM_400000_NS6detail17trampoline_kernelINS0_14default_configENS1_35adjacent_difference_config_selectorILb1EsEEZNS1_24adjacent_difference_implIS3_Lb1ELb0EPsS7_N6thrust23THRUST_200600_302600_NS5minusIsEEEE10hipError_tPvRmT2_T3_mT4_P12ihipStream_tbEUlT_E_NS1_11comp_targetILNS1_3genE10ELNS1_11target_archE1201ELNS1_3gpuE5ELNS1_3repE0EEENS1_30default_config_static_selectorELNS0_4arch9wavefront6targetE0EEEvT1_,"axG",@progbits,_ZN7rocprim17ROCPRIM_400000_NS6detail17trampoline_kernelINS0_14default_configENS1_35adjacent_difference_config_selectorILb1EsEEZNS1_24adjacent_difference_implIS3_Lb1ELb0EPsS7_N6thrust23THRUST_200600_302600_NS5minusIsEEEE10hipError_tPvRmT2_T3_mT4_P12ihipStream_tbEUlT_E_NS1_11comp_targetILNS1_3genE10ELNS1_11target_archE1201ELNS1_3gpuE5ELNS1_3repE0EEENS1_30default_config_static_selectorELNS0_4arch9wavefront6targetE0EEEvT1_,comdat
	.protected	_ZN7rocprim17ROCPRIM_400000_NS6detail17trampoline_kernelINS0_14default_configENS1_35adjacent_difference_config_selectorILb1EsEEZNS1_24adjacent_difference_implIS3_Lb1ELb0EPsS7_N6thrust23THRUST_200600_302600_NS5minusIsEEEE10hipError_tPvRmT2_T3_mT4_P12ihipStream_tbEUlT_E_NS1_11comp_targetILNS1_3genE10ELNS1_11target_archE1201ELNS1_3gpuE5ELNS1_3repE0EEENS1_30default_config_static_selectorELNS0_4arch9wavefront6targetE0EEEvT1_ ; -- Begin function _ZN7rocprim17ROCPRIM_400000_NS6detail17trampoline_kernelINS0_14default_configENS1_35adjacent_difference_config_selectorILb1EsEEZNS1_24adjacent_difference_implIS3_Lb1ELb0EPsS7_N6thrust23THRUST_200600_302600_NS5minusIsEEEE10hipError_tPvRmT2_T3_mT4_P12ihipStream_tbEUlT_E_NS1_11comp_targetILNS1_3genE10ELNS1_11target_archE1201ELNS1_3gpuE5ELNS1_3repE0EEENS1_30default_config_static_selectorELNS0_4arch9wavefront6targetE0EEEvT1_
	.globl	_ZN7rocprim17ROCPRIM_400000_NS6detail17trampoline_kernelINS0_14default_configENS1_35adjacent_difference_config_selectorILb1EsEEZNS1_24adjacent_difference_implIS3_Lb1ELb0EPsS7_N6thrust23THRUST_200600_302600_NS5minusIsEEEE10hipError_tPvRmT2_T3_mT4_P12ihipStream_tbEUlT_E_NS1_11comp_targetILNS1_3genE10ELNS1_11target_archE1201ELNS1_3gpuE5ELNS1_3repE0EEENS1_30default_config_static_selectorELNS0_4arch9wavefront6targetE0EEEvT1_
	.p2align	8
	.type	_ZN7rocprim17ROCPRIM_400000_NS6detail17trampoline_kernelINS0_14default_configENS1_35adjacent_difference_config_selectorILb1EsEEZNS1_24adjacent_difference_implIS3_Lb1ELb0EPsS7_N6thrust23THRUST_200600_302600_NS5minusIsEEEE10hipError_tPvRmT2_T3_mT4_P12ihipStream_tbEUlT_E_NS1_11comp_targetILNS1_3genE10ELNS1_11target_archE1201ELNS1_3gpuE5ELNS1_3repE0EEENS1_30default_config_static_selectorELNS0_4arch9wavefront6targetE0EEEvT1_,@function
_ZN7rocprim17ROCPRIM_400000_NS6detail17trampoline_kernelINS0_14default_configENS1_35adjacent_difference_config_selectorILb1EsEEZNS1_24adjacent_difference_implIS3_Lb1ELb0EPsS7_N6thrust23THRUST_200600_302600_NS5minusIsEEEE10hipError_tPvRmT2_T3_mT4_P12ihipStream_tbEUlT_E_NS1_11comp_targetILNS1_3genE10ELNS1_11target_archE1201ELNS1_3gpuE5ELNS1_3repE0EEENS1_30default_config_static_selectorELNS0_4arch9wavefront6targetE0EEEvT1_: ; @_ZN7rocprim17ROCPRIM_400000_NS6detail17trampoline_kernelINS0_14default_configENS1_35adjacent_difference_config_selectorILb1EsEEZNS1_24adjacent_difference_implIS3_Lb1ELb0EPsS7_N6thrust23THRUST_200600_302600_NS5minusIsEEEE10hipError_tPvRmT2_T3_mT4_P12ihipStream_tbEUlT_E_NS1_11comp_targetILNS1_3genE10ELNS1_11target_archE1201ELNS1_3gpuE5ELNS1_3repE0EEENS1_30default_config_static_selectorELNS0_4arch9wavefront6targetE0EEEvT1_
; %bb.0:
	.section	.rodata,"a",@progbits
	.p2align	6, 0x0
	.amdhsa_kernel _ZN7rocprim17ROCPRIM_400000_NS6detail17trampoline_kernelINS0_14default_configENS1_35adjacent_difference_config_selectorILb1EsEEZNS1_24adjacent_difference_implIS3_Lb1ELb0EPsS7_N6thrust23THRUST_200600_302600_NS5minusIsEEEE10hipError_tPvRmT2_T3_mT4_P12ihipStream_tbEUlT_E_NS1_11comp_targetILNS1_3genE10ELNS1_11target_archE1201ELNS1_3gpuE5ELNS1_3repE0EEENS1_30default_config_static_selectorELNS0_4arch9wavefront6targetE0EEEvT1_
		.amdhsa_group_segment_fixed_size 0
		.amdhsa_private_segment_fixed_size 0
		.amdhsa_kernarg_size 56
		.amdhsa_user_sgpr_count 15
		.amdhsa_user_sgpr_dispatch_ptr 0
		.amdhsa_user_sgpr_queue_ptr 0
		.amdhsa_user_sgpr_kernarg_segment_ptr 1
		.amdhsa_user_sgpr_dispatch_id 0
		.amdhsa_user_sgpr_private_segment_size 0
		.amdhsa_wavefront_size32 1
		.amdhsa_uses_dynamic_stack 0
		.amdhsa_enable_private_segment 0
		.amdhsa_system_sgpr_workgroup_id_x 1
		.amdhsa_system_sgpr_workgroup_id_y 0
		.amdhsa_system_sgpr_workgroup_id_z 0
		.amdhsa_system_sgpr_workgroup_info 0
		.amdhsa_system_vgpr_workitem_id 0
		.amdhsa_next_free_vgpr 1
		.amdhsa_next_free_sgpr 1
		.amdhsa_reserve_vcc 0
		.amdhsa_float_round_mode_32 0
		.amdhsa_float_round_mode_16_64 0
		.amdhsa_float_denorm_mode_32 3
		.amdhsa_float_denorm_mode_16_64 3
		.amdhsa_dx10_clamp 1
		.amdhsa_ieee_mode 1
		.amdhsa_fp16_overflow 0
		.amdhsa_workgroup_processor_mode 1
		.amdhsa_memory_ordered 1
		.amdhsa_forward_progress 0
		.amdhsa_shared_vgpr_count 0
		.amdhsa_exception_fp_ieee_invalid_op 0
		.amdhsa_exception_fp_denorm_src 0
		.amdhsa_exception_fp_ieee_div_zero 0
		.amdhsa_exception_fp_ieee_overflow 0
		.amdhsa_exception_fp_ieee_underflow 0
		.amdhsa_exception_fp_ieee_inexact 0
		.amdhsa_exception_int_div_zero 0
	.end_amdhsa_kernel
	.section	.text._ZN7rocprim17ROCPRIM_400000_NS6detail17trampoline_kernelINS0_14default_configENS1_35adjacent_difference_config_selectorILb1EsEEZNS1_24adjacent_difference_implIS3_Lb1ELb0EPsS7_N6thrust23THRUST_200600_302600_NS5minusIsEEEE10hipError_tPvRmT2_T3_mT4_P12ihipStream_tbEUlT_E_NS1_11comp_targetILNS1_3genE10ELNS1_11target_archE1201ELNS1_3gpuE5ELNS1_3repE0EEENS1_30default_config_static_selectorELNS0_4arch9wavefront6targetE0EEEvT1_,"axG",@progbits,_ZN7rocprim17ROCPRIM_400000_NS6detail17trampoline_kernelINS0_14default_configENS1_35adjacent_difference_config_selectorILb1EsEEZNS1_24adjacent_difference_implIS3_Lb1ELb0EPsS7_N6thrust23THRUST_200600_302600_NS5minusIsEEEE10hipError_tPvRmT2_T3_mT4_P12ihipStream_tbEUlT_E_NS1_11comp_targetILNS1_3genE10ELNS1_11target_archE1201ELNS1_3gpuE5ELNS1_3repE0EEENS1_30default_config_static_selectorELNS0_4arch9wavefront6targetE0EEEvT1_,comdat
.Lfunc_end376:
	.size	_ZN7rocprim17ROCPRIM_400000_NS6detail17trampoline_kernelINS0_14default_configENS1_35adjacent_difference_config_selectorILb1EsEEZNS1_24adjacent_difference_implIS3_Lb1ELb0EPsS7_N6thrust23THRUST_200600_302600_NS5minusIsEEEE10hipError_tPvRmT2_T3_mT4_P12ihipStream_tbEUlT_E_NS1_11comp_targetILNS1_3genE10ELNS1_11target_archE1201ELNS1_3gpuE5ELNS1_3repE0EEENS1_30default_config_static_selectorELNS0_4arch9wavefront6targetE0EEEvT1_, .Lfunc_end376-_ZN7rocprim17ROCPRIM_400000_NS6detail17trampoline_kernelINS0_14default_configENS1_35adjacent_difference_config_selectorILb1EsEEZNS1_24adjacent_difference_implIS3_Lb1ELb0EPsS7_N6thrust23THRUST_200600_302600_NS5minusIsEEEE10hipError_tPvRmT2_T3_mT4_P12ihipStream_tbEUlT_E_NS1_11comp_targetILNS1_3genE10ELNS1_11target_archE1201ELNS1_3gpuE5ELNS1_3repE0EEENS1_30default_config_static_selectorELNS0_4arch9wavefront6targetE0EEEvT1_
                                        ; -- End function
	.section	.AMDGPU.csdata,"",@progbits
; Kernel info:
; codeLenInByte = 0
; NumSgprs: 0
; NumVgprs: 0
; ScratchSize: 0
; MemoryBound: 0
; FloatMode: 240
; IeeeMode: 1
; LDSByteSize: 0 bytes/workgroup (compile time only)
; SGPRBlocks: 0
; VGPRBlocks: 0
; NumSGPRsForWavesPerEU: 1
; NumVGPRsForWavesPerEU: 1
; Occupancy: 16
; WaveLimiterHint : 0
; COMPUTE_PGM_RSRC2:SCRATCH_EN: 0
; COMPUTE_PGM_RSRC2:USER_SGPR: 15
; COMPUTE_PGM_RSRC2:TRAP_HANDLER: 0
; COMPUTE_PGM_RSRC2:TGID_X_EN: 1
; COMPUTE_PGM_RSRC2:TGID_Y_EN: 0
; COMPUTE_PGM_RSRC2:TGID_Z_EN: 0
; COMPUTE_PGM_RSRC2:TIDIG_COMP_CNT: 0
	.section	.text._ZN7rocprim17ROCPRIM_400000_NS6detail17trampoline_kernelINS0_14default_configENS1_35adjacent_difference_config_selectorILb1EsEEZNS1_24adjacent_difference_implIS3_Lb1ELb0EPsS7_N6thrust23THRUST_200600_302600_NS5minusIsEEEE10hipError_tPvRmT2_T3_mT4_P12ihipStream_tbEUlT_E_NS1_11comp_targetILNS1_3genE5ELNS1_11target_archE942ELNS1_3gpuE9ELNS1_3repE0EEENS1_30default_config_static_selectorELNS0_4arch9wavefront6targetE0EEEvT1_,"axG",@progbits,_ZN7rocprim17ROCPRIM_400000_NS6detail17trampoline_kernelINS0_14default_configENS1_35adjacent_difference_config_selectorILb1EsEEZNS1_24adjacent_difference_implIS3_Lb1ELb0EPsS7_N6thrust23THRUST_200600_302600_NS5minusIsEEEE10hipError_tPvRmT2_T3_mT4_P12ihipStream_tbEUlT_E_NS1_11comp_targetILNS1_3genE5ELNS1_11target_archE942ELNS1_3gpuE9ELNS1_3repE0EEENS1_30default_config_static_selectorELNS0_4arch9wavefront6targetE0EEEvT1_,comdat
	.protected	_ZN7rocprim17ROCPRIM_400000_NS6detail17trampoline_kernelINS0_14default_configENS1_35adjacent_difference_config_selectorILb1EsEEZNS1_24adjacent_difference_implIS3_Lb1ELb0EPsS7_N6thrust23THRUST_200600_302600_NS5minusIsEEEE10hipError_tPvRmT2_T3_mT4_P12ihipStream_tbEUlT_E_NS1_11comp_targetILNS1_3genE5ELNS1_11target_archE942ELNS1_3gpuE9ELNS1_3repE0EEENS1_30default_config_static_selectorELNS0_4arch9wavefront6targetE0EEEvT1_ ; -- Begin function _ZN7rocprim17ROCPRIM_400000_NS6detail17trampoline_kernelINS0_14default_configENS1_35adjacent_difference_config_selectorILb1EsEEZNS1_24adjacent_difference_implIS3_Lb1ELb0EPsS7_N6thrust23THRUST_200600_302600_NS5minusIsEEEE10hipError_tPvRmT2_T3_mT4_P12ihipStream_tbEUlT_E_NS1_11comp_targetILNS1_3genE5ELNS1_11target_archE942ELNS1_3gpuE9ELNS1_3repE0EEENS1_30default_config_static_selectorELNS0_4arch9wavefront6targetE0EEEvT1_
	.globl	_ZN7rocprim17ROCPRIM_400000_NS6detail17trampoline_kernelINS0_14default_configENS1_35adjacent_difference_config_selectorILb1EsEEZNS1_24adjacent_difference_implIS3_Lb1ELb0EPsS7_N6thrust23THRUST_200600_302600_NS5minusIsEEEE10hipError_tPvRmT2_T3_mT4_P12ihipStream_tbEUlT_E_NS1_11comp_targetILNS1_3genE5ELNS1_11target_archE942ELNS1_3gpuE9ELNS1_3repE0EEENS1_30default_config_static_selectorELNS0_4arch9wavefront6targetE0EEEvT1_
	.p2align	8
	.type	_ZN7rocprim17ROCPRIM_400000_NS6detail17trampoline_kernelINS0_14default_configENS1_35adjacent_difference_config_selectorILb1EsEEZNS1_24adjacent_difference_implIS3_Lb1ELb0EPsS7_N6thrust23THRUST_200600_302600_NS5minusIsEEEE10hipError_tPvRmT2_T3_mT4_P12ihipStream_tbEUlT_E_NS1_11comp_targetILNS1_3genE5ELNS1_11target_archE942ELNS1_3gpuE9ELNS1_3repE0EEENS1_30default_config_static_selectorELNS0_4arch9wavefront6targetE0EEEvT1_,@function
_ZN7rocprim17ROCPRIM_400000_NS6detail17trampoline_kernelINS0_14default_configENS1_35adjacent_difference_config_selectorILb1EsEEZNS1_24adjacent_difference_implIS3_Lb1ELb0EPsS7_N6thrust23THRUST_200600_302600_NS5minusIsEEEE10hipError_tPvRmT2_T3_mT4_P12ihipStream_tbEUlT_E_NS1_11comp_targetILNS1_3genE5ELNS1_11target_archE942ELNS1_3gpuE9ELNS1_3repE0EEENS1_30default_config_static_selectorELNS0_4arch9wavefront6targetE0EEEvT1_: ; @_ZN7rocprim17ROCPRIM_400000_NS6detail17trampoline_kernelINS0_14default_configENS1_35adjacent_difference_config_selectorILb1EsEEZNS1_24adjacent_difference_implIS3_Lb1ELb0EPsS7_N6thrust23THRUST_200600_302600_NS5minusIsEEEE10hipError_tPvRmT2_T3_mT4_P12ihipStream_tbEUlT_E_NS1_11comp_targetILNS1_3genE5ELNS1_11target_archE942ELNS1_3gpuE9ELNS1_3repE0EEENS1_30default_config_static_selectorELNS0_4arch9wavefront6targetE0EEEvT1_
; %bb.0:
	.section	.rodata,"a",@progbits
	.p2align	6, 0x0
	.amdhsa_kernel _ZN7rocprim17ROCPRIM_400000_NS6detail17trampoline_kernelINS0_14default_configENS1_35adjacent_difference_config_selectorILb1EsEEZNS1_24adjacent_difference_implIS3_Lb1ELb0EPsS7_N6thrust23THRUST_200600_302600_NS5minusIsEEEE10hipError_tPvRmT2_T3_mT4_P12ihipStream_tbEUlT_E_NS1_11comp_targetILNS1_3genE5ELNS1_11target_archE942ELNS1_3gpuE9ELNS1_3repE0EEENS1_30default_config_static_selectorELNS0_4arch9wavefront6targetE0EEEvT1_
		.amdhsa_group_segment_fixed_size 0
		.amdhsa_private_segment_fixed_size 0
		.amdhsa_kernarg_size 56
		.amdhsa_user_sgpr_count 15
		.amdhsa_user_sgpr_dispatch_ptr 0
		.amdhsa_user_sgpr_queue_ptr 0
		.amdhsa_user_sgpr_kernarg_segment_ptr 1
		.amdhsa_user_sgpr_dispatch_id 0
		.amdhsa_user_sgpr_private_segment_size 0
		.amdhsa_wavefront_size32 1
		.amdhsa_uses_dynamic_stack 0
		.amdhsa_enable_private_segment 0
		.amdhsa_system_sgpr_workgroup_id_x 1
		.amdhsa_system_sgpr_workgroup_id_y 0
		.amdhsa_system_sgpr_workgroup_id_z 0
		.amdhsa_system_sgpr_workgroup_info 0
		.amdhsa_system_vgpr_workitem_id 0
		.amdhsa_next_free_vgpr 1
		.amdhsa_next_free_sgpr 1
		.amdhsa_reserve_vcc 0
		.amdhsa_float_round_mode_32 0
		.amdhsa_float_round_mode_16_64 0
		.amdhsa_float_denorm_mode_32 3
		.amdhsa_float_denorm_mode_16_64 3
		.amdhsa_dx10_clamp 1
		.amdhsa_ieee_mode 1
		.amdhsa_fp16_overflow 0
		.amdhsa_workgroup_processor_mode 1
		.amdhsa_memory_ordered 1
		.amdhsa_forward_progress 0
		.amdhsa_shared_vgpr_count 0
		.amdhsa_exception_fp_ieee_invalid_op 0
		.amdhsa_exception_fp_denorm_src 0
		.amdhsa_exception_fp_ieee_div_zero 0
		.amdhsa_exception_fp_ieee_overflow 0
		.amdhsa_exception_fp_ieee_underflow 0
		.amdhsa_exception_fp_ieee_inexact 0
		.amdhsa_exception_int_div_zero 0
	.end_amdhsa_kernel
	.section	.text._ZN7rocprim17ROCPRIM_400000_NS6detail17trampoline_kernelINS0_14default_configENS1_35adjacent_difference_config_selectorILb1EsEEZNS1_24adjacent_difference_implIS3_Lb1ELb0EPsS7_N6thrust23THRUST_200600_302600_NS5minusIsEEEE10hipError_tPvRmT2_T3_mT4_P12ihipStream_tbEUlT_E_NS1_11comp_targetILNS1_3genE5ELNS1_11target_archE942ELNS1_3gpuE9ELNS1_3repE0EEENS1_30default_config_static_selectorELNS0_4arch9wavefront6targetE0EEEvT1_,"axG",@progbits,_ZN7rocprim17ROCPRIM_400000_NS6detail17trampoline_kernelINS0_14default_configENS1_35adjacent_difference_config_selectorILb1EsEEZNS1_24adjacent_difference_implIS3_Lb1ELb0EPsS7_N6thrust23THRUST_200600_302600_NS5minusIsEEEE10hipError_tPvRmT2_T3_mT4_P12ihipStream_tbEUlT_E_NS1_11comp_targetILNS1_3genE5ELNS1_11target_archE942ELNS1_3gpuE9ELNS1_3repE0EEENS1_30default_config_static_selectorELNS0_4arch9wavefront6targetE0EEEvT1_,comdat
.Lfunc_end377:
	.size	_ZN7rocprim17ROCPRIM_400000_NS6detail17trampoline_kernelINS0_14default_configENS1_35adjacent_difference_config_selectorILb1EsEEZNS1_24adjacent_difference_implIS3_Lb1ELb0EPsS7_N6thrust23THRUST_200600_302600_NS5minusIsEEEE10hipError_tPvRmT2_T3_mT4_P12ihipStream_tbEUlT_E_NS1_11comp_targetILNS1_3genE5ELNS1_11target_archE942ELNS1_3gpuE9ELNS1_3repE0EEENS1_30default_config_static_selectorELNS0_4arch9wavefront6targetE0EEEvT1_, .Lfunc_end377-_ZN7rocprim17ROCPRIM_400000_NS6detail17trampoline_kernelINS0_14default_configENS1_35adjacent_difference_config_selectorILb1EsEEZNS1_24adjacent_difference_implIS3_Lb1ELb0EPsS7_N6thrust23THRUST_200600_302600_NS5minusIsEEEE10hipError_tPvRmT2_T3_mT4_P12ihipStream_tbEUlT_E_NS1_11comp_targetILNS1_3genE5ELNS1_11target_archE942ELNS1_3gpuE9ELNS1_3repE0EEENS1_30default_config_static_selectorELNS0_4arch9wavefront6targetE0EEEvT1_
                                        ; -- End function
	.section	.AMDGPU.csdata,"",@progbits
; Kernel info:
; codeLenInByte = 0
; NumSgprs: 0
; NumVgprs: 0
; ScratchSize: 0
; MemoryBound: 0
; FloatMode: 240
; IeeeMode: 1
; LDSByteSize: 0 bytes/workgroup (compile time only)
; SGPRBlocks: 0
; VGPRBlocks: 0
; NumSGPRsForWavesPerEU: 1
; NumVGPRsForWavesPerEU: 1
; Occupancy: 16
; WaveLimiterHint : 0
; COMPUTE_PGM_RSRC2:SCRATCH_EN: 0
; COMPUTE_PGM_RSRC2:USER_SGPR: 15
; COMPUTE_PGM_RSRC2:TRAP_HANDLER: 0
; COMPUTE_PGM_RSRC2:TGID_X_EN: 1
; COMPUTE_PGM_RSRC2:TGID_Y_EN: 0
; COMPUTE_PGM_RSRC2:TGID_Z_EN: 0
; COMPUTE_PGM_RSRC2:TIDIG_COMP_CNT: 0
	.section	.text._ZN7rocprim17ROCPRIM_400000_NS6detail17trampoline_kernelINS0_14default_configENS1_35adjacent_difference_config_selectorILb1EsEEZNS1_24adjacent_difference_implIS3_Lb1ELb0EPsS7_N6thrust23THRUST_200600_302600_NS5minusIsEEEE10hipError_tPvRmT2_T3_mT4_P12ihipStream_tbEUlT_E_NS1_11comp_targetILNS1_3genE4ELNS1_11target_archE910ELNS1_3gpuE8ELNS1_3repE0EEENS1_30default_config_static_selectorELNS0_4arch9wavefront6targetE0EEEvT1_,"axG",@progbits,_ZN7rocprim17ROCPRIM_400000_NS6detail17trampoline_kernelINS0_14default_configENS1_35adjacent_difference_config_selectorILb1EsEEZNS1_24adjacent_difference_implIS3_Lb1ELb0EPsS7_N6thrust23THRUST_200600_302600_NS5minusIsEEEE10hipError_tPvRmT2_T3_mT4_P12ihipStream_tbEUlT_E_NS1_11comp_targetILNS1_3genE4ELNS1_11target_archE910ELNS1_3gpuE8ELNS1_3repE0EEENS1_30default_config_static_selectorELNS0_4arch9wavefront6targetE0EEEvT1_,comdat
	.protected	_ZN7rocprim17ROCPRIM_400000_NS6detail17trampoline_kernelINS0_14default_configENS1_35adjacent_difference_config_selectorILb1EsEEZNS1_24adjacent_difference_implIS3_Lb1ELb0EPsS7_N6thrust23THRUST_200600_302600_NS5minusIsEEEE10hipError_tPvRmT2_T3_mT4_P12ihipStream_tbEUlT_E_NS1_11comp_targetILNS1_3genE4ELNS1_11target_archE910ELNS1_3gpuE8ELNS1_3repE0EEENS1_30default_config_static_selectorELNS0_4arch9wavefront6targetE0EEEvT1_ ; -- Begin function _ZN7rocprim17ROCPRIM_400000_NS6detail17trampoline_kernelINS0_14default_configENS1_35adjacent_difference_config_selectorILb1EsEEZNS1_24adjacent_difference_implIS3_Lb1ELb0EPsS7_N6thrust23THRUST_200600_302600_NS5minusIsEEEE10hipError_tPvRmT2_T3_mT4_P12ihipStream_tbEUlT_E_NS1_11comp_targetILNS1_3genE4ELNS1_11target_archE910ELNS1_3gpuE8ELNS1_3repE0EEENS1_30default_config_static_selectorELNS0_4arch9wavefront6targetE0EEEvT1_
	.globl	_ZN7rocprim17ROCPRIM_400000_NS6detail17trampoline_kernelINS0_14default_configENS1_35adjacent_difference_config_selectorILb1EsEEZNS1_24adjacent_difference_implIS3_Lb1ELb0EPsS7_N6thrust23THRUST_200600_302600_NS5minusIsEEEE10hipError_tPvRmT2_T3_mT4_P12ihipStream_tbEUlT_E_NS1_11comp_targetILNS1_3genE4ELNS1_11target_archE910ELNS1_3gpuE8ELNS1_3repE0EEENS1_30default_config_static_selectorELNS0_4arch9wavefront6targetE0EEEvT1_
	.p2align	8
	.type	_ZN7rocprim17ROCPRIM_400000_NS6detail17trampoline_kernelINS0_14default_configENS1_35adjacent_difference_config_selectorILb1EsEEZNS1_24adjacent_difference_implIS3_Lb1ELb0EPsS7_N6thrust23THRUST_200600_302600_NS5minusIsEEEE10hipError_tPvRmT2_T3_mT4_P12ihipStream_tbEUlT_E_NS1_11comp_targetILNS1_3genE4ELNS1_11target_archE910ELNS1_3gpuE8ELNS1_3repE0EEENS1_30default_config_static_selectorELNS0_4arch9wavefront6targetE0EEEvT1_,@function
_ZN7rocprim17ROCPRIM_400000_NS6detail17trampoline_kernelINS0_14default_configENS1_35adjacent_difference_config_selectorILb1EsEEZNS1_24adjacent_difference_implIS3_Lb1ELb0EPsS7_N6thrust23THRUST_200600_302600_NS5minusIsEEEE10hipError_tPvRmT2_T3_mT4_P12ihipStream_tbEUlT_E_NS1_11comp_targetILNS1_3genE4ELNS1_11target_archE910ELNS1_3gpuE8ELNS1_3repE0EEENS1_30default_config_static_selectorELNS0_4arch9wavefront6targetE0EEEvT1_: ; @_ZN7rocprim17ROCPRIM_400000_NS6detail17trampoline_kernelINS0_14default_configENS1_35adjacent_difference_config_selectorILb1EsEEZNS1_24adjacent_difference_implIS3_Lb1ELb0EPsS7_N6thrust23THRUST_200600_302600_NS5minusIsEEEE10hipError_tPvRmT2_T3_mT4_P12ihipStream_tbEUlT_E_NS1_11comp_targetILNS1_3genE4ELNS1_11target_archE910ELNS1_3gpuE8ELNS1_3repE0EEENS1_30default_config_static_selectorELNS0_4arch9wavefront6targetE0EEEvT1_
; %bb.0:
	.section	.rodata,"a",@progbits
	.p2align	6, 0x0
	.amdhsa_kernel _ZN7rocprim17ROCPRIM_400000_NS6detail17trampoline_kernelINS0_14default_configENS1_35adjacent_difference_config_selectorILb1EsEEZNS1_24adjacent_difference_implIS3_Lb1ELb0EPsS7_N6thrust23THRUST_200600_302600_NS5minusIsEEEE10hipError_tPvRmT2_T3_mT4_P12ihipStream_tbEUlT_E_NS1_11comp_targetILNS1_3genE4ELNS1_11target_archE910ELNS1_3gpuE8ELNS1_3repE0EEENS1_30default_config_static_selectorELNS0_4arch9wavefront6targetE0EEEvT1_
		.amdhsa_group_segment_fixed_size 0
		.amdhsa_private_segment_fixed_size 0
		.amdhsa_kernarg_size 56
		.amdhsa_user_sgpr_count 15
		.amdhsa_user_sgpr_dispatch_ptr 0
		.amdhsa_user_sgpr_queue_ptr 0
		.amdhsa_user_sgpr_kernarg_segment_ptr 1
		.amdhsa_user_sgpr_dispatch_id 0
		.amdhsa_user_sgpr_private_segment_size 0
		.amdhsa_wavefront_size32 1
		.amdhsa_uses_dynamic_stack 0
		.amdhsa_enable_private_segment 0
		.amdhsa_system_sgpr_workgroup_id_x 1
		.amdhsa_system_sgpr_workgroup_id_y 0
		.amdhsa_system_sgpr_workgroup_id_z 0
		.amdhsa_system_sgpr_workgroup_info 0
		.amdhsa_system_vgpr_workitem_id 0
		.amdhsa_next_free_vgpr 1
		.amdhsa_next_free_sgpr 1
		.amdhsa_reserve_vcc 0
		.amdhsa_float_round_mode_32 0
		.amdhsa_float_round_mode_16_64 0
		.amdhsa_float_denorm_mode_32 3
		.amdhsa_float_denorm_mode_16_64 3
		.amdhsa_dx10_clamp 1
		.amdhsa_ieee_mode 1
		.amdhsa_fp16_overflow 0
		.amdhsa_workgroup_processor_mode 1
		.amdhsa_memory_ordered 1
		.amdhsa_forward_progress 0
		.amdhsa_shared_vgpr_count 0
		.amdhsa_exception_fp_ieee_invalid_op 0
		.amdhsa_exception_fp_denorm_src 0
		.amdhsa_exception_fp_ieee_div_zero 0
		.amdhsa_exception_fp_ieee_overflow 0
		.amdhsa_exception_fp_ieee_underflow 0
		.amdhsa_exception_fp_ieee_inexact 0
		.amdhsa_exception_int_div_zero 0
	.end_amdhsa_kernel
	.section	.text._ZN7rocprim17ROCPRIM_400000_NS6detail17trampoline_kernelINS0_14default_configENS1_35adjacent_difference_config_selectorILb1EsEEZNS1_24adjacent_difference_implIS3_Lb1ELb0EPsS7_N6thrust23THRUST_200600_302600_NS5minusIsEEEE10hipError_tPvRmT2_T3_mT4_P12ihipStream_tbEUlT_E_NS1_11comp_targetILNS1_3genE4ELNS1_11target_archE910ELNS1_3gpuE8ELNS1_3repE0EEENS1_30default_config_static_selectorELNS0_4arch9wavefront6targetE0EEEvT1_,"axG",@progbits,_ZN7rocprim17ROCPRIM_400000_NS6detail17trampoline_kernelINS0_14default_configENS1_35adjacent_difference_config_selectorILb1EsEEZNS1_24adjacent_difference_implIS3_Lb1ELb0EPsS7_N6thrust23THRUST_200600_302600_NS5minusIsEEEE10hipError_tPvRmT2_T3_mT4_P12ihipStream_tbEUlT_E_NS1_11comp_targetILNS1_3genE4ELNS1_11target_archE910ELNS1_3gpuE8ELNS1_3repE0EEENS1_30default_config_static_selectorELNS0_4arch9wavefront6targetE0EEEvT1_,comdat
.Lfunc_end378:
	.size	_ZN7rocprim17ROCPRIM_400000_NS6detail17trampoline_kernelINS0_14default_configENS1_35adjacent_difference_config_selectorILb1EsEEZNS1_24adjacent_difference_implIS3_Lb1ELb0EPsS7_N6thrust23THRUST_200600_302600_NS5minusIsEEEE10hipError_tPvRmT2_T3_mT4_P12ihipStream_tbEUlT_E_NS1_11comp_targetILNS1_3genE4ELNS1_11target_archE910ELNS1_3gpuE8ELNS1_3repE0EEENS1_30default_config_static_selectorELNS0_4arch9wavefront6targetE0EEEvT1_, .Lfunc_end378-_ZN7rocprim17ROCPRIM_400000_NS6detail17trampoline_kernelINS0_14default_configENS1_35adjacent_difference_config_selectorILb1EsEEZNS1_24adjacent_difference_implIS3_Lb1ELb0EPsS7_N6thrust23THRUST_200600_302600_NS5minusIsEEEE10hipError_tPvRmT2_T3_mT4_P12ihipStream_tbEUlT_E_NS1_11comp_targetILNS1_3genE4ELNS1_11target_archE910ELNS1_3gpuE8ELNS1_3repE0EEENS1_30default_config_static_selectorELNS0_4arch9wavefront6targetE0EEEvT1_
                                        ; -- End function
	.section	.AMDGPU.csdata,"",@progbits
; Kernel info:
; codeLenInByte = 0
; NumSgprs: 0
; NumVgprs: 0
; ScratchSize: 0
; MemoryBound: 0
; FloatMode: 240
; IeeeMode: 1
; LDSByteSize: 0 bytes/workgroup (compile time only)
; SGPRBlocks: 0
; VGPRBlocks: 0
; NumSGPRsForWavesPerEU: 1
; NumVGPRsForWavesPerEU: 1
; Occupancy: 16
; WaveLimiterHint : 0
; COMPUTE_PGM_RSRC2:SCRATCH_EN: 0
; COMPUTE_PGM_RSRC2:USER_SGPR: 15
; COMPUTE_PGM_RSRC2:TRAP_HANDLER: 0
; COMPUTE_PGM_RSRC2:TGID_X_EN: 1
; COMPUTE_PGM_RSRC2:TGID_Y_EN: 0
; COMPUTE_PGM_RSRC2:TGID_Z_EN: 0
; COMPUTE_PGM_RSRC2:TIDIG_COMP_CNT: 0
	.section	.text._ZN7rocprim17ROCPRIM_400000_NS6detail17trampoline_kernelINS0_14default_configENS1_35adjacent_difference_config_selectorILb1EsEEZNS1_24adjacent_difference_implIS3_Lb1ELb0EPsS7_N6thrust23THRUST_200600_302600_NS5minusIsEEEE10hipError_tPvRmT2_T3_mT4_P12ihipStream_tbEUlT_E_NS1_11comp_targetILNS1_3genE3ELNS1_11target_archE908ELNS1_3gpuE7ELNS1_3repE0EEENS1_30default_config_static_selectorELNS0_4arch9wavefront6targetE0EEEvT1_,"axG",@progbits,_ZN7rocprim17ROCPRIM_400000_NS6detail17trampoline_kernelINS0_14default_configENS1_35adjacent_difference_config_selectorILb1EsEEZNS1_24adjacent_difference_implIS3_Lb1ELb0EPsS7_N6thrust23THRUST_200600_302600_NS5minusIsEEEE10hipError_tPvRmT2_T3_mT4_P12ihipStream_tbEUlT_E_NS1_11comp_targetILNS1_3genE3ELNS1_11target_archE908ELNS1_3gpuE7ELNS1_3repE0EEENS1_30default_config_static_selectorELNS0_4arch9wavefront6targetE0EEEvT1_,comdat
	.protected	_ZN7rocprim17ROCPRIM_400000_NS6detail17trampoline_kernelINS0_14default_configENS1_35adjacent_difference_config_selectorILb1EsEEZNS1_24adjacent_difference_implIS3_Lb1ELb0EPsS7_N6thrust23THRUST_200600_302600_NS5minusIsEEEE10hipError_tPvRmT2_T3_mT4_P12ihipStream_tbEUlT_E_NS1_11comp_targetILNS1_3genE3ELNS1_11target_archE908ELNS1_3gpuE7ELNS1_3repE0EEENS1_30default_config_static_selectorELNS0_4arch9wavefront6targetE0EEEvT1_ ; -- Begin function _ZN7rocprim17ROCPRIM_400000_NS6detail17trampoline_kernelINS0_14default_configENS1_35adjacent_difference_config_selectorILb1EsEEZNS1_24adjacent_difference_implIS3_Lb1ELb0EPsS7_N6thrust23THRUST_200600_302600_NS5minusIsEEEE10hipError_tPvRmT2_T3_mT4_P12ihipStream_tbEUlT_E_NS1_11comp_targetILNS1_3genE3ELNS1_11target_archE908ELNS1_3gpuE7ELNS1_3repE0EEENS1_30default_config_static_selectorELNS0_4arch9wavefront6targetE0EEEvT1_
	.globl	_ZN7rocprim17ROCPRIM_400000_NS6detail17trampoline_kernelINS0_14default_configENS1_35adjacent_difference_config_selectorILb1EsEEZNS1_24adjacent_difference_implIS3_Lb1ELb0EPsS7_N6thrust23THRUST_200600_302600_NS5minusIsEEEE10hipError_tPvRmT2_T3_mT4_P12ihipStream_tbEUlT_E_NS1_11comp_targetILNS1_3genE3ELNS1_11target_archE908ELNS1_3gpuE7ELNS1_3repE0EEENS1_30default_config_static_selectorELNS0_4arch9wavefront6targetE0EEEvT1_
	.p2align	8
	.type	_ZN7rocprim17ROCPRIM_400000_NS6detail17trampoline_kernelINS0_14default_configENS1_35adjacent_difference_config_selectorILb1EsEEZNS1_24adjacent_difference_implIS3_Lb1ELb0EPsS7_N6thrust23THRUST_200600_302600_NS5minusIsEEEE10hipError_tPvRmT2_T3_mT4_P12ihipStream_tbEUlT_E_NS1_11comp_targetILNS1_3genE3ELNS1_11target_archE908ELNS1_3gpuE7ELNS1_3repE0EEENS1_30default_config_static_selectorELNS0_4arch9wavefront6targetE0EEEvT1_,@function
_ZN7rocprim17ROCPRIM_400000_NS6detail17trampoline_kernelINS0_14default_configENS1_35adjacent_difference_config_selectorILb1EsEEZNS1_24adjacent_difference_implIS3_Lb1ELb0EPsS7_N6thrust23THRUST_200600_302600_NS5minusIsEEEE10hipError_tPvRmT2_T3_mT4_P12ihipStream_tbEUlT_E_NS1_11comp_targetILNS1_3genE3ELNS1_11target_archE908ELNS1_3gpuE7ELNS1_3repE0EEENS1_30default_config_static_selectorELNS0_4arch9wavefront6targetE0EEEvT1_: ; @_ZN7rocprim17ROCPRIM_400000_NS6detail17trampoline_kernelINS0_14default_configENS1_35adjacent_difference_config_selectorILb1EsEEZNS1_24adjacent_difference_implIS3_Lb1ELb0EPsS7_N6thrust23THRUST_200600_302600_NS5minusIsEEEE10hipError_tPvRmT2_T3_mT4_P12ihipStream_tbEUlT_E_NS1_11comp_targetILNS1_3genE3ELNS1_11target_archE908ELNS1_3gpuE7ELNS1_3repE0EEENS1_30default_config_static_selectorELNS0_4arch9wavefront6targetE0EEEvT1_
; %bb.0:
	.section	.rodata,"a",@progbits
	.p2align	6, 0x0
	.amdhsa_kernel _ZN7rocprim17ROCPRIM_400000_NS6detail17trampoline_kernelINS0_14default_configENS1_35adjacent_difference_config_selectorILb1EsEEZNS1_24adjacent_difference_implIS3_Lb1ELb0EPsS7_N6thrust23THRUST_200600_302600_NS5minusIsEEEE10hipError_tPvRmT2_T3_mT4_P12ihipStream_tbEUlT_E_NS1_11comp_targetILNS1_3genE3ELNS1_11target_archE908ELNS1_3gpuE7ELNS1_3repE0EEENS1_30default_config_static_selectorELNS0_4arch9wavefront6targetE0EEEvT1_
		.amdhsa_group_segment_fixed_size 0
		.amdhsa_private_segment_fixed_size 0
		.amdhsa_kernarg_size 56
		.amdhsa_user_sgpr_count 15
		.amdhsa_user_sgpr_dispatch_ptr 0
		.amdhsa_user_sgpr_queue_ptr 0
		.amdhsa_user_sgpr_kernarg_segment_ptr 1
		.amdhsa_user_sgpr_dispatch_id 0
		.amdhsa_user_sgpr_private_segment_size 0
		.amdhsa_wavefront_size32 1
		.amdhsa_uses_dynamic_stack 0
		.amdhsa_enable_private_segment 0
		.amdhsa_system_sgpr_workgroup_id_x 1
		.amdhsa_system_sgpr_workgroup_id_y 0
		.amdhsa_system_sgpr_workgroup_id_z 0
		.amdhsa_system_sgpr_workgroup_info 0
		.amdhsa_system_vgpr_workitem_id 0
		.amdhsa_next_free_vgpr 1
		.amdhsa_next_free_sgpr 1
		.amdhsa_reserve_vcc 0
		.amdhsa_float_round_mode_32 0
		.amdhsa_float_round_mode_16_64 0
		.amdhsa_float_denorm_mode_32 3
		.amdhsa_float_denorm_mode_16_64 3
		.amdhsa_dx10_clamp 1
		.amdhsa_ieee_mode 1
		.amdhsa_fp16_overflow 0
		.amdhsa_workgroup_processor_mode 1
		.amdhsa_memory_ordered 1
		.amdhsa_forward_progress 0
		.amdhsa_shared_vgpr_count 0
		.amdhsa_exception_fp_ieee_invalid_op 0
		.amdhsa_exception_fp_denorm_src 0
		.amdhsa_exception_fp_ieee_div_zero 0
		.amdhsa_exception_fp_ieee_overflow 0
		.amdhsa_exception_fp_ieee_underflow 0
		.amdhsa_exception_fp_ieee_inexact 0
		.amdhsa_exception_int_div_zero 0
	.end_amdhsa_kernel
	.section	.text._ZN7rocprim17ROCPRIM_400000_NS6detail17trampoline_kernelINS0_14default_configENS1_35adjacent_difference_config_selectorILb1EsEEZNS1_24adjacent_difference_implIS3_Lb1ELb0EPsS7_N6thrust23THRUST_200600_302600_NS5minusIsEEEE10hipError_tPvRmT2_T3_mT4_P12ihipStream_tbEUlT_E_NS1_11comp_targetILNS1_3genE3ELNS1_11target_archE908ELNS1_3gpuE7ELNS1_3repE0EEENS1_30default_config_static_selectorELNS0_4arch9wavefront6targetE0EEEvT1_,"axG",@progbits,_ZN7rocprim17ROCPRIM_400000_NS6detail17trampoline_kernelINS0_14default_configENS1_35adjacent_difference_config_selectorILb1EsEEZNS1_24adjacent_difference_implIS3_Lb1ELb0EPsS7_N6thrust23THRUST_200600_302600_NS5minusIsEEEE10hipError_tPvRmT2_T3_mT4_P12ihipStream_tbEUlT_E_NS1_11comp_targetILNS1_3genE3ELNS1_11target_archE908ELNS1_3gpuE7ELNS1_3repE0EEENS1_30default_config_static_selectorELNS0_4arch9wavefront6targetE0EEEvT1_,comdat
.Lfunc_end379:
	.size	_ZN7rocprim17ROCPRIM_400000_NS6detail17trampoline_kernelINS0_14default_configENS1_35adjacent_difference_config_selectorILb1EsEEZNS1_24adjacent_difference_implIS3_Lb1ELb0EPsS7_N6thrust23THRUST_200600_302600_NS5minusIsEEEE10hipError_tPvRmT2_T3_mT4_P12ihipStream_tbEUlT_E_NS1_11comp_targetILNS1_3genE3ELNS1_11target_archE908ELNS1_3gpuE7ELNS1_3repE0EEENS1_30default_config_static_selectorELNS0_4arch9wavefront6targetE0EEEvT1_, .Lfunc_end379-_ZN7rocprim17ROCPRIM_400000_NS6detail17trampoline_kernelINS0_14default_configENS1_35adjacent_difference_config_selectorILb1EsEEZNS1_24adjacent_difference_implIS3_Lb1ELb0EPsS7_N6thrust23THRUST_200600_302600_NS5minusIsEEEE10hipError_tPvRmT2_T3_mT4_P12ihipStream_tbEUlT_E_NS1_11comp_targetILNS1_3genE3ELNS1_11target_archE908ELNS1_3gpuE7ELNS1_3repE0EEENS1_30default_config_static_selectorELNS0_4arch9wavefront6targetE0EEEvT1_
                                        ; -- End function
	.section	.AMDGPU.csdata,"",@progbits
; Kernel info:
; codeLenInByte = 0
; NumSgprs: 0
; NumVgprs: 0
; ScratchSize: 0
; MemoryBound: 0
; FloatMode: 240
; IeeeMode: 1
; LDSByteSize: 0 bytes/workgroup (compile time only)
; SGPRBlocks: 0
; VGPRBlocks: 0
; NumSGPRsForWavesPerEU: 1
; NumVGPRsForWavesPerEU: 1
; Occupancy: 16
; WaveLimiterHint : 0
; COMPUTE_PGM_RSRC2:SCRATCH_EN: 0
; COMPUTE_PGM_RSRC2:USER_SGPR: 15
; COMPUTE_PGM_RSRC2:TRAP_HANDLER: 0
; COMPUTE_PGM_RSRC2:TGID_X_EN: 1
; COMPUTE_PGM_RSRC2:TGID_Y_EN: 0
; COMPUTE_PGM_RSRC2:TGID_Z_EN: 0
; COMPUTE_PGM_RSRC2:TIDIG_COMP_CNT: 0
	.section	.text._ZN7rocprim17ROCPRIM_400000_NS6detail17trampoline_kernelINS0_14default_configENS1_35adjacent_difference_config_selectorILb1EsEEZNS1_24adjacent_difference_implIS3_Lb1ELb0EPsS7_N6thrust23THRUST_200600_302600_NS5minusIsEEEE10hipError_tPvRmT2_T3_mT4_P12ihipStream_tbEUlT_E_NS1_11comp_targetILNS1_3genE2ELNS1_11target_archE906ELNS1_3gpuE6ELNS1_3repE0EEENS1_30default_config_static_selectorELNS0_4arch9wavefront6targetE0EEEvT1_,"axG",@progbits,_ZN7rocprim17ROCPRIM_400000_NS6detail17trampoline_kernelINS0_14default_configENS1_35adjacent_difference_config_selectorILb1EsEEZNS1_24adjacent_difference_implIS3_Lb1ELb0EPsS7_N6thrust23THRUST_200600_302600_NS5minusIsEEEE10hipError_tPvRmT2_T3_mT4_P12ihipStream_tbEUlT_E_NS1_11comp_targetILNS1_3genE2ELNS1_11target_archE906ELNS1_3gpuE6ELNS1_3repE0EEENS1_30default_config_static_selectorELNS0_4arch9wavefront6targetE0EEEvT1_,comdat
	.protected	_ZN7rocprim17ROCPRIM_400000_NS6detail17trampoline_kernelINS0_14default_configENS1_35adjacent_difference_config_selectorILb1EsEEZNS1_24adjacent_difference_implIS3_Lb1ELb0EPsS7_N6thrust23THRUST_200600_302600_NS5minusIsEEEE10hipError_tPvRmT2_T3_mT4_P12ihipStream_tbEUlT_E_NS1_11comp_targetILNS1_3genE2ELNS1_11target_archE906ELNS1_3gpuE6ELNS1_3repE0EEENS1_30default_config_static_selectorELNS0_4arch9wavefront6targetE0EEEvT1_ ; -- Begin function _ZN7rocprim17ROCPRIM_400000_NS6detail17trampoline_kernelINS0_14default_configENS1_35adjacent_difference_config_selectorILb1EsEEZNS1_24adjacent_difference_implIS3_Lb1ELb0EPsS7_N6thrust23THRUST_200600_302600_NS5minusIsEEEE10hipError_tPvRmT2_T3_mT4_P12ihipStream_tbEUlT_E_NS1_11comp_targetILNS1_3genE2ELNS1_11target_archE906ELNS1_3gpuE6ELNS1_3repE0EEENS1_30default_config_static_selectorELNS0_4arch9wavefront6targetE0EEEvT1_
	.globl	_ZN7rocprim17ROCPRIM_400000_NS6detail17trampoline_kernelINS0_14default_configENS1_35adjacent_difference_config_selectorILb1EsEEZNS1_24adjacent_difference_implIS3_Lb1ELb0EPsS7_N6thrust23THRUST_200600_302600_NS5minusIsEEEE10hipError_tPvRmT2_T3_mT4_P12ihipStream_tbEUlT_E_NS1_11comp_targetILNS1_3genE2ELNS1_11target_archE906ELNS1_3gpuE6ELNS1_3repE0EEENS1_30default_config_static_selectorELNS0_4arch9wavefront6targetE0EEEvT1_
	.p2align	8
	.type	_ZN7rocprim17ROCPRIM_400000_NS6detail17trampoline_kernelINS0_14default_configENS1_35adjacent_difference_config_selectorILb1EsEEZNS1_24adjacent_difference_implIS3_Lb1ELb0EPsS7_N6thrust23THRUST_200600_302600_NS5minusIsEEEE10hipError_tPvRmT2_T3_mT4_P12ihipStream_tbEUlT_E_NS1_11comp_targetILNS1_3genE2ELNS1_11target_archE906ELNS1_3gpuE6ELNS1_3repE0EEENS1_30default_config_static_selectorELNS0_4arch9wavefront6targetE0EEEvT1_,@function
_ZN7rocprim17ROCPRIM_400000_NS6detail17trampoline_kernelINS0_14default_configENS1_35adjacent_difference_config_selectorILb1EsEEZNS1_24adjacent_difference_implIS3_Lb1ELb0EPsS7_N6thrust23THRUST_200600_302600_NS5minusIsEEEE10hipError_tPvRmT2_T3_mT4_P12ihipStream_tbEUlT_E_NS1_11comp_targetILNS1_3genE2ELNS1_11target_archE906ELNS1_3gpuE6ELNS1_3repE0EEENS1_30default_config_static_selectorELNS0_4arch9wavefront6targetE0EEEvT1_: ; @_ZN7rocprim17ROCPRIM_400000_NS6detail17trampoline_kernelINS0_14default_configENS1_35adjacent_difference_config_selectorILb1EsEEZNS1_24adjacent_difference_implIS3_Lb1ELb0EPsS7_N6thrust23THRUST_200600_302600_NS5minusIsEEEE10hipError_tPvRmT2_T3_mT4_P12ihipStream_tbEUlT_E_NS1_11comp_targetILNS1_3genE2ELNS1_11target_archE906ELNS1_3gpuE6ELNS1_3repE0EEENS1_30default_config_static_selectorELNS0_4arch9wavefront6targetE0EEEvT1_
; %bb.0:
	.section	.rodata,"a",@progbits
	.p2align	6, 0x0
	.amdhsa_kernel _ZN7rocprim17ROCPRIM_400000_NS6detail17trampoline_kernelINS0_14default_configENS1_35adjacent_difference_config_selectorILb1EsEEZNS1_24adjacent_difference_implIS3_Lb1ELb0EPsS7_N6thrust23THRUST_200600_302600_NS5minusIsEEEE10hipError_tPvRmT2_T3_mT4_P12ihipStream_tbEUlT_E_NS1_11comp_targetILNS1_3genE2ELNS1_11target_archE906ELNS1_3gpuE6ELNS1_3repE0EEENS1_30default_config_static_selectorELNS0_4arch9wavefront6targetE0EEEvT1_
		.amdhsa_group_segment_fixed_size 0
		.amdhsa_private_segment_fixed_size 0
		.amdhsa_kernarg_size 56
		.amdhsa_user_sgpr_count 15
		.amdhsa_user_sgpr_dispatch_ptr 0
		.amdhsa_user_sgpr_queue_ptr 0
		.amdhsa_user_sgpr_kernarg_segment_ptr 1
		.amdhsa_user_sgpr_dispatch_id 0
		.amdhsa_user_sgpr_private_segment_size 0
		.amdhsa_wavefront_size32 1
		.amdhsa_uses_dynamic_stack 0
		.amdhsa_enable_private_segment 0
		.amdhsa_system_sgpr_workgroup_id_x 1
		.amdhsa_system_sgpr_workgroup_id_y 0
		.amdhsa_system_sgpr_workgroup_id_z 0
		.amdhsa_system_sgpr_workgroup_info 0
		.amdhsa_system_vgpr_workitem_id 0
		.amdhsa_next_free_vgpr 1
		.amdhsa_next_free_sgpr 1
		.amdhsa_reserve_vcc 0
		.amdhsa_float_round_mode_32 0
		.amdhsa_float_round_mode_16_64 0
		.amdhsa_float_denorm_mode_32 3
		.amdhsa_float_denorm_mode_16_64 3
		.amdhsa_dx10_clamp 1
		.amdhsa_ieee_mode 1
		.amdhsa_fp16_overflow 0
		.amdhsa_workgroup_processor_mode 1
		.amdhsa_memory_ordered 1
		.amdhsa_forward_progress 0
		.amdhsa_shared_vgpr_count 0
		.amdhsa_exception_fp_ieee_invalid_op 0
		.amdhsa_exception_fp_denorm_src 0
		.amdhsa_exception_fp_ieee_div_zero 0
		.amdhsa_exception_fp_ieee_overflow 0
		.amdhsa_exception_fp_ieee_underflow 0
		.amdhsa_exception_fp_ieee_inexact 0
		.amdhsa_exception_int_div_zero 0
	.end_amdhsa_kernel
	.section	.text._ZN7rocprim17ROCPRIM_400000_NS6detail17trampoline_kernelINS0_14default_configENS1_35adjacent_difference_config_selectorILb1EsEEZNS1_24adjacent_difference_implIS3_Lb1ELb0EPsS7_N6thrust23THRUST_200600_302600_NS5minusIsEEEE10hipError_tPvRmT2_T3_mT4_P12ihipStream_tbEUlT_E_NS1_11comp_targetILNS1_3genE2ELNS1_11target_archE906ELNS1_3gpuE6ELNS1_3repE0EEENS1_30default_config_static_selectorELNS0_4arch9wavefront6targetE0EEEvT1_,"axG",@progbits,_ZN7rocprim17ROCPRIM_400000_NS6detail17trampoline_kernelINS0_14default_configENS1_35adjacent_difference_config_selectorILb1EsEEZNS1_24adjacent_difference_implIS3_Lb1ELb0EPsS7_N6thrust23THRUST_200600_302600_NS5minusIsEEEE10hipError_tPvRmT2_T3_mT4_P12ihipStream_tbEUlT_E_NS1_11comp_targetILNS1_3genE2ELNS1_11target_archE906ELNS1_3gpuE6ELNS1_3repE0EEENS1_30default_config_static_selectorELNS0_4arch9wavefront6targetE0EEEvT1_,comdat
.Lfunc_end380:
	.size	_ZN7rocprim17ROCPRIM_400000_NS6detail17trampoline_kernelINS0_14default_configENS1_35adjacent_difference_config_selectorILb1EsEEZNS1_24adjacent_difference_implIS3_Lb1ELb0EPsS7_N6thrust23THRUST_200600_302600_NS5minusIsEEEE10hipError_tPvRmT2_T3_mT4_P12ihipStream_tbEUlT_E_NS1_11comp_targetILNS1_3genE2ELNS1_11target_archE906ELNS1_3gpuE6ELNS1_3repE0EEENS1_30default_config_static_selectorELNS0_4arch9wavefront6targetE0EEEvT1_, .Lfunc_end380-_ZN7rocprim17ROCPRIM_400000_NS6detail17trampoline_kernelINS0_14default_configENS1_35adjacent_difference_config_selectorILb1EsEEZNS1_24adjacent_difference_implIS3_Lb1ELb0EPsS7_N6thrust23THRUST_200600_302600_NS5minusIsEEEE10hipError_tPvRmT2_T3_mT4_P12ihipStream_tbEUlT_E_NS1_11comp_targetILNS1_3genE2ELNS1_11target_archE906ELNS1_3gpuE6ELNS1_3repE0EEENS1_30default_config_static_selectorELNS0_4arch9wavefront6targetE0EEEvT1_
                                        ; -- End function
	.section	.AMDGPU.csdata,"",@progbits
; Kernel info:
; codeLenInByte = 0
; NumSgprs: 0
; NumVgprs: 0
; ScratchSize: 0
; MemoryBound: 0
; FloatMode: 240
; IeeeMode: 1
; LDSByteSize: 0 bytes/workgroup (compile time only)
; SGPRBlocks: 0
; VGPRBlocks: 0
; NumSGPRsForWavesPerEU: 1
; NumVGPRsForWavesPerEU: 1
; Occupancy: 16
; WaveLimiterHint : 0
; COMPUTE_PGM_RSRC2:SCRATCH_EN: 0
; COMPUTE_PGM_RSRC2:USER_SGPR: 15
; COMPUTE_PGM_RSRC2:TRAP_HANDLER: 0
; COMPUTE_PGM_RSRC2:TGID_X_EN: 1
; COMPUTE_PGM_RSRC2:TGID_Y_EN: 0
; COMPUTE_PGM_RSRC2:TGID_Z_EN: 0
; COMPUTE_PGM_RSRC2:TIDIG_COMP_CNT: 0
	.section	.text._ZN7rocprim17ROCPRIM_400000_NS6detail17trampoline_kernelINS0_14default_configENS1_35adjacent_difference_config_selectorILb1EsEEZNS1_24adjacent_difference_implIS3_Lb1ELb0EPsS7_N6thrust23THRUST_200600_302600_NS5minusIsEEEE10hipError_tPvRmT2_T3_mT4_P12ihipStream_tbEUlT_E_NS1_11comp_targetILNS1_3genE9ELNS1_11target_archE1100ELNS1_3gpuE3ELNS1_3repE0EEENS1_30default_config_static_selectorELNS0_4arch9wavefront6targetE0EEEvT1_,"axG",@progbits,_ZN7rocprim17ROCPRIM_400000_NS6detail17trampoline_kernelINS0_14default_configENS1_35adjacent_difference_config_selectorILb1EsEEZNS1_24adjacent_difference_implIS3_Lb1ELb0EPsS7_N6thrust23THRUST_200600_302600_NS5minusIsEEEE10hipError_tPvRmT2_T3_mT4_P12ihipStream_tbEUlT_E_NS1_11comp_targetILNS1_3genE9ELNS1_11target_archE1100ELNS1_3gpuE3ELNS1_3repE0EEENS1_30default_config_static_selectorELNS0_4arch9wavefront6targetE0EEEvT1_,comdat
	.protected	_ZN7rocprim17ROCPRIM_400000_NS6detail17trampoline_kernelINS0_14default_configENS1_35adjacent_difference_config_selectorILb1EsEEZNS1_24adjacent_difference_implIS3_Lb1ELb0EPsS7_N6thrust23THRUST_200600_302600_NS5minusIsEEEE10hipError_tPvRmT2_T3_mT4_P12ihipStream_tbEUlT_E_NS1_11comp_targetILNS1_3genE9ELNS1_11target_archE1100ELNS1_3gpuE3ELNS1_3repE0EEENS1_30default_config_static_selectorELNS0_4arch9wavefront6targetE0EEEvT1_ ; -- Begin function _ZN7rocprim17ROCPRIM_400000_NS6detail17trampoline_kernelINS0_14default_configENS1_35adjacent_difference_config_selectorILb1EsEEZNS1_24adjacent_difference_implIS3_Lb1ELb0EPsS7_N6thrust23THRUST_200600_302600_NS5minusIsEEEE10hipError_tPvRmT2_T3_mT4_P12ihipStream_tbEUlT_E_NS1_11comp_targetILNS1_3genE9ELNS1_11target_archE1100ELNS1_3gpuE3ELNS1_3repE0EEENS1_30default_config_static_selectorELNS0_4arch9wavefront6targetE0EEEvT1_
	.globl	_ZN7rocprim17ROCPRIM_400000_NS6detail17trampoline_kernelINS0_14default_configENS1_35adjacent_difference_config_selectorILb1EsEEZNS1_24adjacent_difference_implIS3_Lb1ELb0EPsS7_N6thrust23THRUST_200600_302600_NS5minusIsEEEE10hipError_tPvRmT2_T3_mT4_P12ihipStream_tbEUlT_E_NS1_11comp_targetILNS1_3genE9ELNS1_11target_archE1100ELNS1_3gpuE3ELNS1_3repE0EEENS1_30default_config_static_selectorELNS0_4arch9wavefront6targetE0EEEvT1_
	.p2align	8
	.type	_ZN7rocprim17ROCPRIM_400000_NS6detail17trampoline_kernelINS0_14default_configENS1_35adjacent_difference_config_selectorILb1EsEEZNS1_24adjacent_difference_implIS3_Lb1ELb0EPsS7_N6thrust23THRUST_200600_302600_NS5minusIsEEEE10hipError_tPvRmT2_T3_mT4_P12ihipStream_tbEUlT_E_NS1_11comp_targetILNS1_3genE9ELNS1_11target_archE1100ELNS1_3gpuE3ELNS1_3repE0EEENS1_30default_config_static_selectorELNS0_4arch9wavefront6targetE0EEEvT1_,@function
_ZN7rocprim17ROCPRIM_400000_NS6detail17trampoline_kernelINS0_14default_configENS1_35adjacent_difference_config_selectorILb1EsEEZNS1_24adjacent_difference_implIS3_Lb1ELb0EPsS7_N6thrust23THRUST_200600_302600_NS5minusIsEEEE10hipError_tPvRmT2_T3_mT4_P12ihipStream_tbEUlT_E_NS1_11comp_targetILNS1_3genE9ELNS1_11target_archE1100ELNS1_3gpuE3ELNS1_3repE0EEENS1_30default_config_static_selectorELNS0_4arch9wavefront6targetE0EEEvT1_: ; @_ZN7rocprim17ROCPRIM_400000_NS6detail17trampoline_kernelINS0_14default_configENS1_35adjacent_difference_config_selectorILb1EsEEZNS1_24adjacent_difference_implIS3_Lb1ELb0EPsS7_N6thrust23THRUST_200600_302600_NS5minusIsEEEE10hipError_tPvRmT2_T3_mT4_P12ihipStream_tbEUlT_E_NS1_11comp_targetILNS1_3genE9ELNS1_11target_archE1100ELNS1_3gpuE3ELNS1_3repE0EEENS1_30default_config_static_selectorELNS0_4arch9wavefront6targetE0EEEvT1_
; %bb.0:
	s_load_b256 s[16:23], s[0:1], 0x0
	s_mov_b32 s8, s15
	s_delay_alu instid0(SALU_CYCLE_1) | instskip(SKIP_2) | instid1(SALU_CYCLE_1)
	s_mul_i32 s24, s8, 0xb80
	s_waitcnt lgkmcnt(0)
	s_lshl_b64 s[26:27], s[18:19], 1
	s_add_u32 s14, s16, s26
	s_addc_u32 s15, s17, s27
	s_add_u32 s2, 0, 0x590b2000
	s_addc_u32 s3, 0, 0
	s_mul_hi_u32 s5, s2, 0xfffff480
	s_add_i32 s3, s3, 0x1642c8
	s_sub_i32 s5, s5, s2
	s_mul_i32 s7, s3, 0xfffff480
	s_mul_i32 s4, s2, 0xfffff480
	s_add_i32 s5, s5, s7
	s_mul_hi_u32 s6, s2, s4
	s_mul_i32 s10, s2, s5
	s_mul_hi_u32 s7, s2, s5
	s_mul_hi_u32 s9, s3, s4
	s_mul_i32 s4, s3, s4
	s_add_u32 s6, s6, s10
	s_addc_u32 s7, 0, s7
	s_mul_hi_u32 s11, s3, s5
	s_add_u32 s4, s6, s4
	s_mul_i32 s5, s3, s5
	s_addc_u32 s4, s7, s9
	s_addc_u32 s6, s11, 0
	s_add_u32 s4, s4, s5
	s_delay_alu instid0(SALU_CYCLE_1) | instskip(SKIP_3) | instid1(VALU_DEP_1)
	v_add_co_u32 v1, s2, s2, s4
	s_addc_u32 s4, 0, s6
	s_cmp_lg_u32 s2, 0
	s_addc_u32 s2, s3, s4
	v_readfirstlane_b32 s3, v1
	s_mul_i32 s5, s22, s2
	s_mul_hi_u32 s4, s22, s2
	s_mul_hi_u32 s6, s23, s2
	s_mul_i32 s2, s23, s2
	s_mul_hi_u32 s7, s22, s3
	s_mul_hi_u32 s9, s23, s3
	s_mul_i32 s3, s23, s3
	s_add_u32 s5, s7, s5
	s_addc_u32 s4, 0, s4
	s_add_u32 s3, s5, s3
	s_addc_u32 s3, s4, s9
	s_addc_u32 s4, s6, 0
	s_add_u32 s5, s3, s2
	s_addc_u32 s4, 0, s4
	s_mul_i32 s3, s5, 0xb80
	s_add_u32 s2, s5, 1
	v_sub_co_u32 v1, s3, s22, s3
	s_mul_hi_u32 s6, s5, 0xb80
	s_addc_u32 s7, s4, 0
	s_mul_i32 s9, s4, 0xb80
	s_delay_alu instid0(VALU_DEP_1)
	v_subrev_co_u32 v2, s10, 0xb80, v1
	s_add_u32 s11, s5, 2
	s_addc_u32 s12, s4, 0
	s_add_i32 s6, s6, s9
	s_cmp_lg_u32 s3, 0
	v_readfirstlane_b32 s3, v2
	s_subb_u32 s6, s23, s6
	s_cmp_lg_u32 s10, 0
	s_subb_u32 s9, s6, 0
	s_delay_alu instid0(VALU_DEP_1) | instskip(SKIP_4) | instid1(SALU_CYCLE_1)
	s_cmpk_gt_u32 s3, 0xb7f
	s_cselect_b32 s3, -1, 0
	s_cmp_eq_u32 s9, 0
	v_readfirstlane_b32 s9, v1
	s_cselect_b32 s3, s3, -1
	s_cmp_lg_u32 s3, 0
	s_cselect_b32 s10, s11, s2
	s_cselect_b32 s7, s12, s7
	s_cmpk_gt_u32 s9, 0xb7f
	s_mov_b32 s12, -1
	s_cselect_b32 s2, -1, 0
	s_cmp_eq_u32 s6, 0
	s_cselect_b32 s2, s2, -1
	s_delay_alu instid0(SALU_CYCLE_1)
	s_cmp_lg_u32 s2, 0
	s_load_b128 s[0:3], s[0:1], 0x28
	s_cselect_b32 s6, s7, s4
	s_cselect_b32 s7, s10, s5
	s_mul_i32 s4, s6, 0xb80
	s_mul_hi_u32 s5, s7, 0xb80
	s_mul_i32 s9, s7, 0xb80
	s_add_i32 s5, s5, s4
	s_sub_u32 s4, s22, s9
	s_subb_u32 s5, s23, s5
	s_mov_b32 s9, 0
	s_cmp_lg_u64 s[4:5], 0
	s_cselect_b32 s4, -1, 0
	s_delay_alu instid0(SALU_CYCLE_1) | instskip(NEXT) | instid1(VALU_DEP_1)
	v_cndmask_b32_e64 v1, 0, 1, s4
	v_readfirstlane_b32 s4, v1
	s_delay_alu instid0(VALU_DEP_1)
	s_add_u32 s4, s7, s4
	s_addc_u32 s5, s6, 0
	s_waitcnt lgkmcnt(0)
	s_add_u32 s6, s2, s8
	s_addc_u32 s7, s3, 0
	s_add_u32 s10, s4, -1
	s_addc_u32 s11, s5, -1
	s_mul_i32 s23, s10, 0xfffff480
	v_cmp_ge_u64_e64 s28, s[6:7], s[10:11]
	s_delay_alu instid0(VALU_DEP_1)
	s_and_b32 vcc_lo, exec_lo, s28
	s_cbranch_vccz .LBB381_48
; %bb.1:
	s_mov_b32 s25, s9
	s_add_i32 s16, s23, s22
	s_lshl_b64 s[12:13], s[24:25], 1
	s_mov_b32 s17, exec_lo
	s_add_u32 s12, s14, s12
	s_addc_u32 s13, s15, s13
                                        ; implicit-def: $vgpr1
	v_cmpx_gt_u32_e64 s16, v0
	s_cbranch_execz .LBB381_3
; %bb.2:
	v_lshlrev_b32_e32 v1, 1, v0
	global_load_u16 v1, v1, s[12:13]
.LBB381_3:
	s_or_b32 exec_lo, exec_lo, s17
	v_or_b32_e32 v2, 0x80, v0
	s_delay_alu instid0(VALU_DEP_1)
	v_cmp_gt_u32_e32 vcc_lo, s16, v2
                                        ; implicit-def: $vgpr2
	s_and_saveexec_b32 s17, vcc_lo
	s_cbranch_execz .LBB381_5
; %bb.4:
	v_lshlrev_b32_e32 v2, 1, v0
	global_load_u16 v2, v2, s[12:13] offset:256
.LBB381_5:
	s_or_b32 exec_lo, exec_lo, s17
	v_or_b32_e32 v3, 0x100, v0
	s_delay_alu instid0(VALU_DEP_1)
	v_cmp_gt_u32_e32 vcc_lo, s16, v3
                                        ; implicit-def: $vgpr3
	s_and_saveexec_b32 s17, vcc_lo
	s_cbranch_execz .LBB381_7
; %bb.6:
	v_lshlrev_b32_e32 v3, 1, v0
	global_load_u16 v3, v3, s[12:13] offset:512
.LBB381_7:
	s_or_b32 exec_lo, exec_lo, s17
	v_or_b32_e32 v4, 0x180, v0
	s_delay_alu instid0(VALU_DEP_1)
	v_cmp_gt_u32_e32 vcc_lo, s16, v4
                                        ; implicit-def: $vgpr4
	s_and_saveexec_b32 s17, vcc_lo
	s_cbranch_execz .LBB381_9
; %bb.8:
	v_lshlrev_b32_e32 v4, 1, v0
	global_load_u16 v4, v4, s[12:13] offset:768
.LBB381_9:
	s_or_b32 exec_lo, exec_lo, s17
	v_or_b32_e32 v5, 0x200, v0
	s_delay_alu instid0(VALU_DEP_1)
	v_cmp_gt_u32_e32 vcc_lo, s16, v5
                                        ; implicit-def: $vgpr5
	s_and_saveexec_b32 s17, vcc_lo
	s_cbranch_execz .LBB381_11
; %bb.10:
	v_lshlrev_b32_e32 v5, 1, v0
	global_load_u16 v5, v5, s[12:13] offset:1024
.LBB381_11:
	s_or_b32 exec_lo, exec_lo, s17
	v_or_b32_e32 v6, 0x280, v0
	s_delay_alu instid0(VALU_DEP_1)
	v_cmp_gt_u32_e32 vcc_lo, s16, v6
                                        ; implicit-def: $vgpr6
	s_and_saveexec_b32 s17, vcc_lo
	s_cbranch_execz .LBB381_13
; %bb.12:
	v_lshlrev_b32_e32 v6, 1, v0
	global_load_u16 v6, v6, s[12:13] offset:1280
.LBB381_13:
	s_or_b32 exec_lo, exec_lo, s17
	v_or_b32_e32 v7, 0x300, v0
	s_delay_alu instid0(VALU_DEP_1)
	v_cmp_gt_u32_e32 vcc_lo, s16, v7
                                        ; implicit-def: $vgpr7
	s_and_saveexec_b32 s17, vcc_lo
	s_cbranch_execz .LBB381_15
; %bb.14:
	v_lshlrev_b32_e32 v7, 1, v0
	global_load_u16 v7, v7, s[12:13] offset:1536
.LBB381_15:
	s_or_b32 exec_lo, exec_lo, s17
	v_or_b32_e32 v8, 0x380, v0
	s_delay_alu instid0(VALU_DEP_1)
	v_cmp_gt_u32_e32 vcc_lo, s16, v8
                                        ; implicit-def: $vgpr8
	s_and_saveexec_b32 s17, vcc_lo
	s_cbranch_execz .LBB381_17
; %bb.16:
	v_lshlrev_b32_e32 v8, 1, v0
	global_load_u16 v8, v8, s[12:13] offset:1792
.LBB381_17:
	s_or_b32 exec_lo, exec_lo, s17
	v_or_b32_e32 v9, 0x400, v0
	s_delay_alu instid0(VALU_DEP_1)
	v_cmp_gt_u32_e32 vcc_lo, s16, v9
                                        ; implicit-def: $vgpr9
	s_and_saveexec_b32 s17, vcc_lo
	s_cbranch_execz .LBB381_19
; %bb.18:
	v_lshlrev_b32_e32 v9, 1, v0
	global_load_u16 v9, v9, s[12:13] offset:2048
.LBB381_19:
	s_or_b32 exec_lo, exec_lo, s17
	v_or_b32_e32 v10, 0x480, v0
	s_delay_alu instid0(VALU_DEP_1)
	v_cmp_gt_u32_e32 vcc_lo, s16, v10
                                        ; implicit-def: $vgpr10
	s_and_saveexec_b32 s17, vcc_lo
	s_cbranch_execz .LBB381_21
; %bb.20:
	v_lshlrev_b32_e32 v10, 1, v0
	global_load_u16 v10, v10, s[12:13] offset:2304
.LBB381_21:
	s_or_b32 exec_lo, exec_lo, s17
	v_or_b32_e32 v11, 0x500, v0
	s_delay_alu instid0(VALU_DEP_1)
	v_cmp_gt_u32_e32 vcc_lo, s16, v11
                                        ; implicit-def: $vgpr11
	s_and_saveexec_b32 s17, vcc_lo
	s_cbranch_execz .LBB381_23
; %bb.22:
	v_lshlrev_b32_e32 v11, 1, v0
	global_load_u16 v11, v11, s[12:13] offset:2560
.LBB381_23:
	s_or_b32 exec_lo, exec_lo, s17
	v_or_b32_e32 v12, 0x580, v0
	s_delay_alu instid0(VALU_DEP_1)
	v_cmp_gt_u32_e32 vcc_lo, s16, v12
                                        ; implicit-def: $vgpr12
	s_and_saveexec_b32 s17, vcc_lo
	s_cbranch_execz .LBB381_25
; %bb.24:
	v_lshlrev_b32_e32 v12, 1, v0
	global_load_u16 v12, v12, s[12:13] offset:2816
.LBB381_25:
	s_or_b32 exec_lo, exec_lo, s17
	v_or_b32_e32 v13, 0x600, v0
	s_delay_alu instid0(VALU_DEP_1)
	v_cmp_gt_u32_e32 vcc_lo, s16, v13
                                        ; implicit-def: $vgpr13
	s_and_saveexec_b32 s17, vcc_lo
	s_cbranch_execz .LBB381_27
; %bb.26:
	v_lshlrev_b32_e32 v13, 1, v0
	global_load_u16 v13, v13, s[12:13] offset:3072
.LBB381_27:
	s_or_b32 exec_lo, exec_lo, s17
	v_or_b32_e32 v14, 0x680, v0
	s_delay_alu instid0(VALU_DEP_1)
	v_cmp_gt_u32_e32 vcc_lo, s16, v14
                                        ; implicit-def: $vgpr14
	s_and_saveexec_b32 s17, vcc_lo
	s_cbranch_execz .LBB381_29
; %bb.28:
	v_lshlrev_b32_e32 v14, 1, v0
	global_load_u16 v14, v14, s[12:13] offset:3328
.LBB381_29:
	s_or_b32 exec_lo, exec_lo, s17
	v_or_b32_e32 v15, 0x700, v0
	s_delay_alu instid0(VALU_DEP_1)
	v_cmp_gt_u32_e32 vcc_lo, s16, v15
                                        ; implicit-def: $vgpr15
	s_and_saveexec_b32 s17, vcc_lo
	s_cbranch_execz .LBB381_31
; %bb.30:
	v_lshlrev_b32_e32 v15, 1, v0
	global_load_u16 v15, v15, s[12:13] offset:3584
.LBB381_31:
	s_or_b32 exec_lo, exec_lo, s17
	v_or_b32_e32 v16, 0x780, v0
	s_delay_alu instid0(VALU_DEP_1)
	v_cmp_gt_u32_e32 vcc_lo, s16, v16
                                        ; implicit-def: $vgpr16
	s_and_saveexec_b32 s17, vcc_lo
	s_cbranch_execz .LBB381_33
; %bb.32:
	v_lshlrev_b32_e32 v16, 1, v0
	global_load_u16 v16, v16, s[12:13] offset:3840
.LBB381_33:
	s_or_b32 exec_lo, exec_lo, s17
	v_or_b32_e32 v18, 0x800, v0
	s_mov_b32 s17, exec_lo
                                        ; implicit-def: $vgpr17
	s_delay_alu instid0(VALU_DEP_1)
	v_cmpx_gt_u32_e64 s16, v18
	s_cbranch_execz .LBB381_35
; %bb.34:
	v_lshlrev_b32_e32 v17, 1, v18
	global_load_u16 v17, v17, s[12:13]
.LBB381_35:
	s_or_b32 exec_lo, exec_lo, s17
	v_or_b32_e32 v19, 0x880, v0
	s_mov_b32 s17, exec_lo
                                        ; implicit-def: $vgpr18
	s_delay_alu instid0(VALU_DEP_1)
	v_cmpx_gt_u32_e64 s16, v19
	s_cbranch_execz .LBB381_37
; %bb.36:
	v_lshlrev_b32_e32 v18, 1, v19
	global_load_u16 v18, v18, s[12:13]
.LBB381_37:
	s_or_b32 exec_lo, exec_lo, s17
	v_or_b32_e32 v20, 0x900, v0
	s_mov_b32 s17, exec_lo
                                        ; implicit-def: $vgpr19
	s_delay_alu instid0(VALU_DEP_1)
	v_cmpx_gt_u32_e64 s16, v20
	s_cbranch_execz .LBB381_39
; %bb.38:
	v_lshlrev_b32_e32 v19, 1, v20
	global_load_u16 v19, v19, s[12:13]
.LBB381_39:
	s_or_b32 exec_lo, exec_lo, s17
	v_or_b32_e32 v21, 0x980, v0
	s_mov_b32 s17, exec_lo
                                        ; implicit-def: $vgpr20
	s_delay_alu instid0(VALU_DEP_1)
	v_cmpx_gt_u32_e64 s16, v21
	s_cbranch_execz .LBB381_41
; %bb.40:
	v_lshlrev_b32_e32 v20, 1, v21
	global_load_u16 v20, v20, s[12:13]
.LBB381_41:
	s_or_b32 exec_lo, exec_lo, s17
	v_or_b32_e32 v22, 0xa00, v0
	s_mov_b32 s17, exec_lo
                                        ; implicit-def: $vgpr21
	s_delay_alu instid0(VALU_DEP_1)
	v_cmpx_gt_u32_e64 s16, v22
	s_cbranch_execz .LBB381_43
; %bb.42:
	v_lshlrev_b32_e32 v21, 1, v22
	global_load_u16 v21, v21, s[12:13]
.LBB381_43:
	s_or_b32 exec_lo, exec_lo, s17
	v_or_b32_e32 v23, 0xa80, v0
	s_mov_b32 s17, exec_lo
                                        ; implicit-def: $vgpr22
	s_delay_alu instid0(VALU_DEP_1)
	v_cmpx_gt_u32_e64 s16, v23
	s_cbranch_execz .LBB381_45
; %bb.44:
	v_lshlrev_b32_e32 v22, 1, v23
	global_load_u16 v22, v22, s[12:13]
.LBB381_45:
	s_or_b32 exec_lo, exec_lo, s17
	v_or_b32_e32 v24, 0xb00, v0
                                        ; implicit-def: $vgpr23
	s_delay_alu instid0(VALU_DEP_1)
	v_cmp_gt_u32_e32 vcc_lo, s16, v24
	s_and_saveexec_b32 s16, vcc_lo
	s_cbranch_execz .LBB381_47
; %bb.46:
	v_lshlrev_b32_e32 v23, 1, v24
	global_load_u16 v23, v23, s[12:13]
.LBB381_47:
	s_or_b32 exec_lo, exec_lo, s16
	v_lshlrev_b32_e32 v24, 1, v0
	s_mov_b32 s12, 0
	s_waitcnt vmcnt(0)
	ds_store_b16 v24, v1
	ds_store_b16 v24, v2 offset:256
	ds_store_b16 v24, v3 offset:512
	;; [unrolled: 1-line block ×22, first 2 shown]
	s_waitcnt lgkmcnt(0)
	s_barrier
.LBB381_48:
	v_lshlrev_b32_e32 v14, 1, v0
	s_and_b32 vcc_lo, exec_lo, s12
	s_cbranch_vccz .LBB381_50
; %bb.49:
	s_mov_b32 s25, 0
	s_delay_alu instid0(SALU_CYCLE_1) | instskip(NEXT) | instid1(SALU_CYCLE_1)
	s_lshl_b64 s[12:13], s[24:25], 1
	s_add_u32 s12, s14, s12
	s_addc_u32 s13, s15, s13
	v_add_co_u32 v1, s14, s12, v14
	s_delay_alu instid0(VALU_DEP_1)
	v_add_co_ci_u32_e64 v2, null, s13, 0, s14
	s_clause 0x8
	global_load_u16 v3, v14, s[12:13]
	global_load_u16 v4, v14, s[12:13] offset:256
	global_load_u16 v5, v14, s[12:13] offset:512
	;; [unrolled: 1-line block ×8, first 2 shown]
	v_add_co_u32 v1, vcc_lo, 0x1000, v1
	v_add_co_ci_u32_e32 v2, vcc_lo, 0, v2, vcc_lo
	s_clause 0xd
	global_load_u16 v12, v14, s[12:13] offset:2304
	global_load_u16 v13, v14, s[12:13] offset:2560
	;; [unrolled: 1-line block ×7, first 2 shown]
	global_load_u16 v20, v[1:2], off
	global_load_u16 v21, v[1:2], off offset:256
	global_load_u16 v22, v[1:2], off offset:512
	;; [unrolled: 1-line block ×6, first 2 shown]
	s_waitcnt vmcnt(22)
	ds_store_b16 v14, v3
	s_waitcnt vmcnt(21)
	ds_store_b16 v14, v4 offset:256
	s_waitcnt vmcnt(20)
	ds_store_b16 v14, v5 offset:512
	s_waitcnt vmcnt(19)
	ds_store_b16 v14, v6 offset:768
	s_waitcnt vmcnt(18)
	ds_store_b16 v14, v7 offset:1024
	s_waitcnt vmcnt(17)
	ds_store_b16 v14, v8 offset:1280
	s_waitcnt vmcnt(16)
	ds_store_b16 v14, v9 offset:1536
	s_waitcnt vmcnt(15)
	ds_store_b16 v14, v10 offset:1792
	s_waitcnt vmcnt(14)
	ds_store_b16 v14, v11 offset:2048
	s_waitcnt vmcnt(13)
	ds_store_b16 v14, v12 offset:2304
	s_waitcnt vmcnt(12)
	ds_store_b16 v14, v13 offset:2560
	s_waitcnt vmcnt(11)
	ds_store_b16 v14, v15 offset:2816
	s_waitcnt vmcnt(10)
	ds_store_b16 v14, v16 offset:3072
	s_waitcnt vmcnt(9)
	ds_store_b16 v14, v17 offset:3328
	s_waitcnt vmcnt(8)
	ds_store_b16 v14, v18 offset:3584
	s_waitcnt vmcnt(7)
	ds_store_b16 v14, v19 offset:3840
	s_waitcnt vmcnt(6)
	ds_store_b16 v14, v20 offset:4096
	s_waitcnt vmcnt(5)
	ds_store_b16 v14, v21 offset:4352
	s_waitcnt vmcnt(4)
	ds_store_b16 v14, v22 offset:4608
	s_waitcnt vmcnt(3)
	ds_store_b16 v14, v23 offset:4864
	s_waitcnt vmcnt(2)
	ds_store_b16 v14, v24 offset:5120
	s_waitcnt vmcnt(1)
	ds_store_b16 v14, v25 offset:5376
	s_waitcnt vmcnt(0)
	ds_store_b16 v14, v1 offset:5632
	s_waitcnt lgkmcnt(0)
	s_barrier
.LBB381_50:
	v_mul_u32_u24_e32 v1, 23, v0
	buffer_gl0_inv
	s_cmp_eq_u64 s[6:7], 0
	v_lshlrev_b32_e32 v12, 1, v1
	ds_load_b96 v[9:11], v12 offset:32
	ds_load_b128 v[5:8], v12
	ds_load_b128 v[1:4], v12 offset:16
	ds_load_u16 v12, v12 offset:44
	s_waitcnt lgkmcnt(0)
	s_barrier
	buffer_gl0_inv
	v_lshrrev_b32_e32 v13, 16, v9
	v_lshrrev_b32_e32 v15, 16, v10
	;; [unrolled: 1-line block ×3, first 2 shown]
	v_alignbit_b32 v17, v7, v6, 16
	v_alignbit_b32 v6, v6, v5, 16
	v_lshrrev_b32_e32 v7, 16, v7
	v_lshrrev_b32_e32 v18, 16, v8
	;; [unrolled: 1-line block ×6, first 2 shown]
	s_cbranch_scc1 .LBB381_55
; %bb.51:
	s_lshl_b64 s[2:3], s[2:3], 1
	v_mov_b32_e32 v23, 0
	s_add_u32 s2, s0, s2
	s_addc_u32 s3, s1, s3
	s_lshl_b64 s[0:1], s[8:9], 1
	s_delay_alu instid0(SALU_CYCLE_1)
	s_add_u32 s0, s2, s0
	s_addc_u32 s1, s3, s1
	s_cmp_eq_u64 s[6:7], s[10:11]
	global_load_u16 v44, v23, s[0:1] offset:-2
	s_cbranch_scc1 .LBB381_56
; %bb.52:
	s_waitcnt vmcnt(0)
	v_mov_b32_e32 v23, v44
	s_mov_b32 s0, 0
	s_mov_b32 s1, exec_lo
	ds_store_b16 v14, v12
	s_waitcnt lgkmcnt(0)
	s_barrier
	buffer_gl0_inv
	v_cmpx_ne_u32_e32 0, v0
	s_cbranch_execz .LBB381_54
; %bb.53:
	v_add_nc_u32_e32 v23, -2, v14
	ds_load_u16 v23, v23
.LBB381_54:
	s_or_b32 exec_lo, exec_lo, s1
	s_waitcnt lgkmcnt(0)
	v_sub_nc_u16 v23, v5, v23
	v_perm_b32 v24, v6, v5, 0x5040100
	v_alignbit_b32 v25, v17, v6, 16
	v_lshrrev_b32_e32 v26, 16, v17
	s_branch .LBB381_57
.LBB381_55:
                                        ; implicit-def: $vgpr25
                                        ; implicit-def: $vgpr24
                                        ; implicit-def: $vgpr23
                                        ; implicit-def: $vgpr26
                                        ; implicit-def: $vgpr43
                                        ; implicit-def: $vgpr42
                                        ; implicit-def: $vgpr41
                                        ; implicit-def: $vgpr40
                                        ; implicit-def: $vgpr39
                                        ; implicit-def: $vgpr38
                                        ; implicit-def: $vgpr37
                                        ; implicit-def: $vgpr36
                                        ; implicit-def: $vgpr35
                                        ; implicit-def: $vgpr34
                                        ; implicit-def: $vgpr33
                                        ; implicit-def: $vgpr32
                                        ; implicit-def: $vgpr31
                                        ; implicit-def: $vgpr30
                                        ; implicit-def: $vgpr29
                                        ; implicit-def: $vgpr28
                                        ; implicit-def: $vgpr27
	s_branch .LBB381_62
.LBB381_56:
	s_mov_b32 s0, -1
                                        ; implicit-def: $vgpr25
                                        ; implicit-def: $vgpr24
                                        ; implicit-def: $vgpr23
                                        ; implicit-def: $vgpr26
.LBB381_57:
	v_dual_mov_b32 v43, v7 :: v_dual_mov_b32 v42, v8
	v_dual_mov_b32 v41, v18 :: v_dual_mov_b32 v40, v1
	;; [unrolled: 1-line block ×7, first 2 shown]
	v_mov_b32_e32 v29, v15
	v_dual_mov_b32 v28, v11 :: v_dual_mov_b32 v27, v16
	s_and_b32 vcc_lo, exec_lo, s0
	s_cbranch_vccz .LBB381_61
; %bb.58:
	v_mul_u32_u24_e32 v23, 23, v0
	s_mov_b32 s0, exec_lo
	ds_store_b16 v14, v12
	s_waitcnt vmcnt(0) lgkmcnt(0)
	s_barrier
	buffer_gl0_inv
	v_cmpx_ne_u32_e32 0, v0
	s_cbranch_execz .LBB381_60
; %bb.59:
	v_add_nc_u32_e32 v24, -2, v14
	ds_load_u16 v44, v24
.LBB381_60:
	s_or_b32 exec_lo, exec_lo, s0
	v_add_nc_u32_e32 v24, 22, v23
	s_mul_i32 s0, s6, 0xfffff480
	v_add_nc_u32_e32 v25, 21, v23
	s_add_i32 s0, s0, s22
	v_add_nc_u32_e32 v26, 19, v23
	v_cmp_gt_u32_e32 vcc_lo, s0, v24
	v_add_nc_u32_e32 v24, 20, v23
	v_lshrrev_b32_e32 v45, 16, v6
	v_add_nc_u32_e32 v46, 1, v23
	v_dual_cndmask_b32 v27, 0, v16 :: v_dual_add_nc_u32 v48, 2, v23
	v_cmp_gt_u32_e32 vcc_lo, s0, v25
	v_add_nc_u32_e32 v25, 18, v23
	v_cndmask_b32_e32 v28, 0, v11, vcc_lo
	v_cmp_gt_u32_e32 vcc_lo, s0, v24
	v_add_nc_u32_e32 v24, 17, v23
	v_cndmask_b32_e32 v29, 0, v15, vcc_lo
	;; [unrolled: 3-line block ×7, first 2 shown]
	v_cmp_gt_u32_e32 vcc_lo, s0, v24
	v_dual_cndmask_b32 v35, 0, v21 :: v_dual_add_nc_u32 v24, 12, v23
	v_cmp_gt_u32_e32 vcc_lo, s0, v25
	v_add_nc_u32_e32 v25, 10, v23
	v_cndmask_b32_e32 v36, 0, v3, vcc_lo
	s_delay_alu instid0(VALU_DEP_4)
	v_cmp_gt_u32_e32 vcc_lo, s0, v24
	v_dual_cndmask_b32 v37, 0, v20 :: v_dual_add_nc_u32 v24, 9, v23
	v_cmp_gt_u32_e32 vcc_lo, s0, v26
	v_add_nc_u32_e32 v26, 7, v23
	v_cndmask_b32_e32 v38, 0, v2, vcc_lo
	v_cmp_gt_u32_e32 vcc_lo, s0, v25
	v_add_nc_u32_e32 v25, 8, v23
	v_cndmask_b32_e32 v39, 0, v19, vcc_lo
	;; [unrolled: 3-line block ×3, first 2 shown]
	v_cmp_gt_u32_e32 vcc_lo, s0, v25
	v_lshrrev_b32_e32 v25, 16, v17
	v_add_nc_u32_e32 v47, 4, v23
	v_cndmask_b32_e32 v41, 0, v18, vcc_lo
	v_cmp_gt_u32_e32 vcc_lo, s0, v26
	v_add_nc_u32_e32 v26, 3, v23
	v_cndmask_b32_e32 v42, 0, v8, vcc_lo
	v_cmp_gt_u32_e32 vcc_lo, s0, v24
	v_add_nc_u32_e32 v24, 5, v23
	v_cndmask_b32_e32 v43, 0, v7, vcc_lo
	v_cmp_gt_u32_e32 vcc_lo, s0, v26
	v_cndmask_b32_e32 v45, 0, v45, vcc_lo
	v_cmp_gt_u32_e32 vcc_lo, s0, v46
	v_cndmask_b32_e32 v46, 0, v5, vcc_lo
	v_cmp_gt_u32_e32 vcc_lo, s0, v48
	;; [unrolled: 2-line block ×3, first 2 shown]
	s_waitcnt lgkmcnt(0)
	v_cndmask_b32_e32 v23, 0, v44, vcc_lo
	v_cmp_gt_u32_e32 vcc_lo, s0, v47
	s_delay_alu instid0(VALU_DEP_2) | instskip(SKIP_4) | instid1(VALU_DEP_4)
	v_sub_nc_u16 v23, v5, v23
	v_cndmask_b32_e32 v44, 0, v17, vcc_lo
	v_cmp_gt_u32_e32 vcc_lo, s0, v24
	v_perm_b32 v24, v48, v46, 0x5040100
	v_cndmask_b32_e32 v26, 0, v25, vcc_lo
	v_perm_b32 v25, v44, v45, 0x5040100
.LBB381_61:
	s_cbranch_execnz .LBB381_71
.LBB381_62:
	v_cmp_ne_u32_e32 vcc_lo, 0, v0
	s_cmp_eq_u64 s[4:5], 1
	s_cbranch_scc1 .LBB381_66
; %bb.63:
	v_mov_b32_e32 v23, v5
	s_mov_b32 s0, 0
	ds_store_b16 v14, v12
	s_waitcnt vmcnt(0) lgkmcnt(0)
	s_barrier
	buffer_gl0_inv
	s_and_saveexec_b32 s1, vcc_lo
	s_cbranch_execz .LBB381_65
; %bb.64:
	v_add_nc_u32_e32 v23, -2, v14
	ds_load_u16 v23, v23
	s_waitcnt lgkmcnt(0)
	v_sub_nc_u16 v23, v5, v23
.LBB381_65:
	s_or_b32 exec_lo, exec_lo, s1
	v_perm_b32 v24, v6, v5, 0x5040100
	v_alignbit_b32 v25, v17, v6, 16
	v_lshrrev_b32_e32 v26, 16, v17
	s_branch .LBB381_67
.LBB381_66:
	s_mov_b32 s0, -1
                                        ; implicit-def: $vgpr25
                                        ; implicit-def: $vgpr24
                                        ; implicit-def: $vgpr23
                                        ; implicit-def: $vgpr26
.LBB381_67:
	v_dual_mov_b32 v43, v7 :: v_dual_mov_b32 v42, v8
	v_dual_mov_b32 v41, v18 :: v_dual_mov_b32 v40, v1
	v_dual_mov_b32 v39, v19 :: v_dual_mov_b32 v38, v2
	v_dual_mov_b32 v37, v20 :: v_dual_mov_b32 v36, v3
	v_dual_mov_b32 v35, v21 :: v_dual_mov_b32 v34, v4
	v_dual_mov_b32 v33, v22 :: v_dual_mov_b32 v32, v9
	v_dual_mov_b32 v31, v13 :: v_dual_mov_b32 v30, v10
	v_mov_b32_e32 v29, v15
	v_dual_mov_b32 v28, v11 :: v_dual_mov_b32 v27, v16
	s_and_not1_b32 vcc_lo, exec_lo, s0
	s_cbranch_vccnz .LBB381_71
; %bb.68:
	v_mad_u32_u24 v24, v0, 23, 21
	v_mad_u32_u24 v25, v0, 23, 20
	;; [unrolled: 1-line block ×5, first 2 shown]
	v_cmp_gt_u32_e64 s0, s22, v24
	v_mad_u32_u24 v24, v0, 23, 18
	v_cmp_gt_u32_e64 s1, s22, v25
	v_mad_u32_u24 v25, v0, 23, 17
	;; [unrolled: 2-line block ×4, first 2 shown]
	v_cmp_gt_u32_e64 s4, s22, v25
	v_cmp_gt_u32_e64 s6, s22, v28
	v_mad_u32_u24 v25, v0, 23, 12
	v_mad_u32_u24 v28, v0, 23, 10
	v_cmp_gt_u32_e64 s8, s22, v24
	v_mad_u32_u24 v24, v0, 23, 8
	v_cmp_gt_u32_e64 s10, s22, v27
	;; [unrolled: 2-line block ×3, first 2 shown]
	v_cmp_gt_u32_e64 s11, s22, v28
	v_cmp_gt_u32_e64 s13, s22, v24
	v_mad_u32_u24 v24, v0, 23, 4
	v_mad_u32_u24 v25, v0, 23, 7
	;; [unrolled: 1-line block ×3, first 2 shown]
	v_cmp_gt_u32_e64 s15, s22, v27
	v_mad_u32_u24 v27, v0, 23, 3
	v_cmp_gt_u32_e64 s17, s22, v24
	v_cmp_gt_u32_e32 vcc_lo, s22, v23
	v_mad_u32_u24 v23, v0, 23, 19
	v_cmp_gt_u32_e64 s14, s22, v25
	v_cmp_gt_u32_e64 s16, s22, v28
	v_mad_u32_u24 v28, v0, 23, 1
	v_lshrrev_b32_e32 v29, 16, v6
	v_cndmask_b32_e64 v25, 0, v17, s17
	v_cmp_gt_u32_e64 s17, s22, v27
	v_cmp_gt_u32_e64 s2, s22, v23
	v_mad_u32_u24 v23, v0, 23, 14
	v_mad_u32_u24 v30, v0, 23, 2
	v_mul_u32_u24_e32 v26, 23, v0
	s_waitcnt vmcnt(0)
	v_cndmask_b32_e64 v44, 0, v29, s17
	v_cmp_gt_u32_e64 s17, s22, v28
	v_cmp_gt_u32_e64 s7, s22, v23
	v_mad_u32_u24 v23, v0, 23, 9
	v_cmp_gt_u32_e64 s19, s22, v30
	v_cmp_gt_u32_e64 s18, s22, v26
	v_cndmask_b32_e64 v24, 0, v5, s17
	v_cmp_ne_u32_e64 s17, 0, v0
	v_cmp_gt_u32_e64 s12, s22, v23
	v_lshrrev_b32_e32 v23, 16, v17
	v_cndmask_b32_e64 v45, 0, v6, s19
	ds_store_b16 v14, v12
	s_and_b32 s18, s17, s18
	s_waitcnt lgkmcnt(0)
	s_barrier
	buffer_gl0_inv
	s_and_saveexec_b32 s17, s18
	s_cbranch_execz .LBB381_70
; %bb.69:
	v_add_nc_u32_e32 v26, -2, v14
	ds_load_u16 v26, v26
	s_waitcnt lgkmcnt(0)
	v_sub_nc_u16 v5, v5, v26
.LBB381_70:
	s_or_b32 exec_lo, exec_lo, s17
	v_cndmask_b32_e32 v27, 0, v16, vcc_lo
	v_cndmask_b32_e64 v28, 0, v11, s0
	v_cndmask_b32_e64 v29, 0, v15, s1
	;; [unrolled: 1-line block ×17, first 2 shown]
	v_perm_b32 v24, v45, v24, 0x5040100
	v_perm_b32 v25, v25, v44, 0x5040100
	v_mov_b32_e32 v23, v5
.LBB381_71:
	s_delay_alu instid0(VALU_DEP_1) | instskip(NEXT) | instid1(VALU_DEP_4)
	v_pk_sub_i16 v17, v17, v25
	v_pk_sub_i16 v6, v6, v24
	v_sub_nc_u16 v7, v7, v26
	v_sub_nc_u16 v5, v8, v43
	;; [unrolled: 1-line block ×18, first 2 shown]
	v_mul_u32_u24_e32 v16, 46, v0
	v_perm_b32 v8, v8, v5, 0x5040100
	v_perm_b32 v5, v6, v23, 0x5040100
	v_alignbit_b32 v7, v7, v17, 16
	v_alignbit_b32 v6, v17, v6, 16
	v_perm_b32 v4, v21, v4, 0x5040100
	v_perm_b32 v3, v20, v3, 0x5040100
	;; [unrolled: 1-line block ×7, first 2 shown]
	v_mul_i32_i24_e32 v17, 0xffffffd4, v0
	s_add_u32 s0, s20, s26
	s_addc_u32 s1, s21, s27
	s_and_b32 vcc_lo, exec_lo, s28
	s_waitcnt vmcnt(0)
	s_barrier
	buffer_gl0_inv
	s_cbranch_vccz .LBB381_117
; %bb.72:
	v_mad_u32_u24 v12, v0, 46, v17
	ds_store_b128 v16, v[5:8]
	ds_store_b128 v16, v[1:4] offset:16
	ds_store_b96 v16, v[9:11] offset:32
	ds_store_b16 v16, v15 offset:44
	s_waitcnt lgkmcnt(0)
	s_barrier
	buffer_gl0_inv
	ds_load_u16 v39, v12 offset:256
	ds_load_u16 v38, v12 offset:512
	;; [unrolled: 1-line block ×22, first 2 shown]
	s_mov_b32 s25, 0
	s_add_i32 s23, s23, s22
	s_lshl_b64 s[2:3], s[24:25], 1
	s_delay_alu instid0(SALU_CYCLE_1) | instskip(SKIP_2) | instid1(VALU_DEP_1)
	s_add_u32 s2, s0, s2
	s_addc_u32 s3, s1, s3
	v_add_co_u32 v12, s2, s2, v14
	v_add_co_ci_u32_e64 v13, null, s3, 0, s2
	s_mov_b32 s2, exec_lo
	v_cmpx_gt_u32_e64 s23, v0
	s_cbranch_execz .LBB381_74
; %bb.73:
	v_add_nc_u32_e32 v40, v16, v17
	ds_load_u16 v40, v40
	s_waitcnt lgkmcnt(0)
	global_store_b16 v[12:13], v40, off
.LBB381_74:
	s_or_b32 exec_lo, exec_lo, s2
	v_or_b32_e32 v40, 0x80, v0
	s_mov_b32 s2, exec_lo
	s_delay_alu instid0(VALU_DEP_1)
	v_cmpx_gt_u32_e64 s23, v40
	s_cbranch_execz .LBB381_76
; %bb.75:
	s_waitcnt lgkmcnt(21)
	global_store_b16 v[12:13], v39, off offset:256
.LBB381_76:
	s_or_b32 exec_lo, exec_lo, s2
	s_waitcnt lgkmcnt(21)
	v_or_b32_e32 v39, 0x100, v0
	s_mov_b32 s2, exec_lo
	s_delay_alu instid0(VALU_DEP_1)
	v_cmpx_gt_u32_e64 s23, v39
	s_cbranch_execz .LBB381_78
; %bb.77:
	s_waitcnt lgkmcnt(20)
	global_store_b16 v[12:13], v38, off offset:512
.LBB381_78:
	s_or_b32 exec_lo, exec_lo, s2
	s_waitcnt lgkmcnt(20)
	;; [unrolled: 11-line block ×15, first 2 shown]
	v_or_b32_e32 v25, 0x800, v0
	s_mov_b32 s2, exec_lo
	s_delay_alu instid0(VALU_DEP_1)
	v_cmpx_gt_u32_e64 s23, v25
	s_cbranch_execz .LBB381_106
; %bb.105:
	v_add_co_u32 v25, vcc_lo, 0x1000, v12
	v_add_co_ci_u32_e32 v26, vcc_lo, 0, v13, vcc_lo
	s_waitcnt lgkmcnt(6)
	global_store_b16 v[25:26], v24, off
.LBB381_106:
	s_or_b32 exec_lo, exec_lo, s2
	s_waitcnt lgkmcnt(6)
	v_or_b32_e32 v24, 0x880, v0
	s_mov_b32 s2, exec_lo
	s_delay_alu instid0(VALU_DEP_1)
	v_cmpx_gt_u32_e64 s23, v24
	s_cbranch_execz .LBB381_108
; %bb.107:
	v_add_co_u32 v24, vcc_lo, 0x1000, v12
	v_add_co_ci_u32_e32 v25, vcc_lo, 0, v13, vcc_lo
	s_waitcnt lgkmcnt(5)
	global_store_b16 v[24:25], v23, off offset:256
.LBB381_108:
	s_or_b32 exec_lo, exec_lo, s2
	s_waitcnt lgkmcnt(5)
	v_or_b32_e32 v23, 0x900, v0
	s_mov_b32 s2, exec_lo
	s_delay_alu instid0(VALU_DEP_1)
	v_cmpx_gt_u32_e64 s23, v23
	s_cbranch_execz .LBB381_110
; %bb.109:
	v_add_co_u32 v23, vcc_lo, 0x1000, v12
	v_add_co_ci_u32_e32 v24, vcc_lo, 0, v13, vcc_lo
	s_waitcnt lgkmcnt(4)
	global_store_b16 v[23:24], v22, off offset:512
.LBB381_110:
	;; [unrolled: 13-line block ×5, first 2 shown]
	s_or_b32 exec_lo, exec_lo, s2
	s_waitcnt lgkmcnt(1)
	v_or_b32_e32 v19, 0xb00, v0
	s_delay_alu instid0(VALU_DEP_1)
	v_cmp_gt_u32_e64 s2, s23, v19
	s_branch .LBB381_119
.LBB381_117:
	s_mov_b32 s2, 0
                                        ; implicit-def: $vgpr18
                                        ; implicit-def: $vgpr12_vgpr13
	s_cbranch_execz .LBB381_119
; %bb.118:
	v_mad_u32_u24 v0, v0, 46, v17
	ds_store_b128 v16, v[5:8]
	ds_store_b128 v16, v[1:4] offset:16
	ds_store_b96 v16, v[9:11] offset:32
	ds_store_b16 v16, v15 offset:44
	s_waitcnt lgkmcnt(0)
	s_waitcnt_vscnt null, 0x0
	s_barrier
	buffer_gl0_inv
	ds_load_u16 v2, v0
	ds_load_u16 v1, v0 offset:256
	ds_load_u16 v3, v0 offset:512
	;; [unrolled: 1-line block ×22, first 2 shown]
	s_mov_b32 s25, 0
	s_delay_alu instid0(SALU_CYCLE_1) | instskip(NEXT) | instid1(SALU_CYCLE_1)
	s_lshl_b64 s[4:5], s[24:25], 1
	s_add_u32 s0, s0, s4
	s_addc_u32 s1, s1, s5
	v_add_co_u32 v12, s3, s0, v14
	s_delay_alu instid0(VALU_DEP_1)
	v_add_co_ci_u32_e64 v13, null, s1, 0, s3
	s_waitcnt lgkmcnt(21)
	global_store_b16 v14, v1, s[0:1] offset:256
	s_waitcnt lgkmcnt(20)
	global_store_b16 v14, v3, s[0:1] offset:512
	;; [unrolled: 2-line block ×9, first 2 shown]
	v_add_co_u32 v0, vcc_lo, 0x1000, v12
	v_add_co_ci_u32_e32 v1, vcc_lo, 0, v13, vcc_lo
	s_or_b32 s2, s2, exec_lo
	s_waitcnt lgkmcnt(12)
	global_store_b16 v14, v11, s[0:1] offset:2560
	s_waitcnt lgkmcnt(11)
	global_store_b16 v14, v15, s[0:1] offset:2816
	;; [unrolled: 2-line block ×6, first 2 shown]
	s_waitcnt lgkmcnt(6)
	global_store_b16 v[0:1], v21, off
	s_waitcnt lgkmcnt(5)
	global_store_b16 v[0:1], v22, off offset:256
	s_waitcnt lgkmcnt(4)
	global_store_b16 v[0:1], v23, off offset:512
	;; [unrolled: 2-line block ×3, first 2 shown]
	s_waitcnt lgkmcnt(2)
	s_clause 0x1
	global_store_b16 v[0:1], v25, off offset:1024
	global_store_b16 v14, v2, s[0:1]
	s_waitcnt lgkmcnt(1)
	global_store_b16 v[0:1], v26, off offset:1280
.LBB381_119:
	s_delay_alu instid0(VALU_DEP_1)
	s_and_saveexec_b32 s0, s2
	s_cbranch_execnz .LBB381_121
; %bb.120:
	s_nop 0
	s_sendmsg sendmsg(MSG_DEALLOC_VGPRS)
	s_endpgm
.LBB381_121:
	v_add_co_u32 v0, vcc_lo, 0x1000, v12
	v_add_co_ci_u32_e32 v1, vcc_lo, 0, v13, vcc_lo
	s_waitcnt lgkmcnt(0)
	global_store_b16 v[0:1], v18, off offset:1536
	s_nop 0
	s_sendmsg sendmsg(MSG_DEALLOC_VGPRS)
	s_endpgm
	.section	.rodata,"a",@progbits
	.p2align	6, 0x0
	.amdhsa_kernel _ZN7rocprim17ROCPRIM_400000_NS6detail17trampoline_kernelINS0_14default_configENS1_35adjacent_difference_config_selectorILb1EsEEZNS1_24adjacent_difference_implIS3_Lb1ELb0EPsS7_N6thrust23THRUST_200600_302600_NS5minusIsEEEE10hipError_tPvRmT2_T3_mT4_P12ihipStream_tbEUlT_E_NS1_11comp_targetILNS1_3genE9ELNS1_11target_archE1100ELNS1_3gpuE3ELNS1_3repE0EEENS1_30default_config_static_selectorELNS0_4arch9wavefront6targetE0EEEvT1_
		.amdhsa_group_segment_fixed_size 5888
		.amdhsa_private_segment_fixed_size 0
		.amdhsa_kernarg_size 56
		.amdhsa_user_sgpr_count 15
		.amdhsa_user_sgpr_dispatch_ptr 0
		.amdhsa_user_sgpr_queue_ptr 0
		.amdhsa_user_sgpr_kernarg_segment_ptr 1
		.amdhsa_user_sgpr_dispatch_id 0
		.amdhsa_user_sgpr_private_segment_size 0
		.amdhsa_wavefront_size32 1
		.amdhsa_uses_dynamic_stack 0
		.amdhsa_enable_private_segment 0
		.amdhsa_system_sgpr_workgroup_id_x 1
		.amdhsa_system_sgpr_workgroup_id_y 0
		.amdhsa_system_sgpr_workgroup_id_z 0
		.amdhsa_system_sgpr_workgroup_info 0
		.amdhsa_system_vgpr_workitem_id 0
		.amdhsa_next_free_vgpr 49
		.amdhsa_next_free_sgpr 29
		.amdhsa_reserve_vcc 1
		.amdhsa_float_round_mode_32 0
		.amdhsa_float_round_mode_16_64 0
		.amdhsa_float_denorm_mode_32 3
		.amdhsa_float_denorm_mode_16_64 3
		.amdhsa_dx10_clamp 1
		.amdhsa_ieee_mode 1
		.amdhsa_fp16_overflow 0
		.amdhsa_workgroup_processor_mode 1
		.amdhsa_memory_ordered 1
		.amdhsa_forward_progress 0
		.amdhsa_shared_vgpr_count 0
		.amdhsa_exception_fp_ieee_invalid_op 0
		.amdhsa_exception_fp_denorm_src 0
		.amdhsa_exception_fp_ieee_div_zero 0
		.amdhsa_exception_fp_ieee_overflow 0
		.amdhsa_exception_fp_ieee_underflow 0
		.amdhsa_exception_fp_ieee_inexact 0
		.amdhsa_exception_int_div_zero 0
	.end_amdhsa_kernel
	.section	.text._ZN7rocprim17ROCPRIM_400000_NS6detail17trampoline_kernelINS0_14default_configENS1_35adjacent_difference_config_selectorILb1EsEEZNS1_24adjacent_difference_implIS3_Lb1ELb0EPsS7_N6thrust23THRUST_200600_302600_NS5minusIsEEEE10hipError_tPvRmT2_T3_mT4_P12ihipStream_tbEUlT_E_NS1_11comp_targetILNS1_3genE9ELNS1_11target_archE1100ELNS1_3gpuE3ELNS1_3repE0EEENS1_30default_config_static_selectorELNS0_4arch9wavefront6targetE0EEEvT1_,"axG",@progbits,_ZN7rocprim17ROCPRIM_400000_NS6detail17trampoline_kernelINS0_14default_configENS1_35adjacent_difference_config_selectorILb1EsEEZNS1_24adjacent_difference_implIS3_Lb1ELb0EPsS7_N6thrust23THRUST_200600_302600_NS5minusIsEEEE10hipError_tPvRmT2_T3_mT4_P12ihipStream_tbEUlT_E_NS1_11comp_targetILNS1_3genE9ELNS1_11target_archE1100ELNS1_3gpuE3ELNS1_3repE0EEENS1_30default_config_static_selectorELNS0_4arch9wavefront6targetE0EEEvT1_,comdat
.Lfunc_end381:
	.size	_ZN7rocprim17ROCPRIM_400000_NS6detail17trampoline_kernelINS0_14default_configENS1_35adjacent_difference_config_selectorILb1EsEEZNS1_24adjacent_difference_implIS3_Lb1ELb0EPsS7_N6thrust23THRUST_200600_302600_NS5minusIsEEEE10hipError_tPvRmT2_T3_mT4_P12ihipStream_tbEUlT_E_NS1_11comp_targetILNS1_3genE9ELNS1_11target_archE1100ELNS1_3gpuE3ELNS1_3repE0EEENS1_30default_config_static_selectorELNS0_4arch9wavefront6targetE0EEEvT1_, .Lfunc_end381-_ZN7rocprim17ROCPRIM_400000_NS6detail17trampoline_kernelINS0_14default_configENS1_35adjacent_difference_config_selectorILb1EsEEZNS1_24adjacent_difference_implIS3_Lb1ELb0EPsS7_N6thrust23THRUST_200600_302600_NS5minusIsEEEE10hipError_tPvRmT2_T3_mT4_P12ihipStream_tbEUlT_E_NS1_11comp_targetILNS1_3genE9ELNS1_11target_archE1100ELNS1_3gpuE3ELNS1_3repE0EEENS1_30default_config_static_selectorELNS0_4arch9wavefront6targetE0EEEvT1_
                                        ; -- End function
	.section	.AMDGPU.csdata,"",@progbits
; Kernel info:
; codeLenInByte = 6228
; NumSgprs: 31
; NumVgprs: 49
; ScratchSize: 0
; MemoryBound: 0
; FloatMode: 240
; IeeeMode: 1
; LDSByteSize: 5888 bytes/workgroup (compile time only)
; SGPRBlocks: 3
; VGPRBlocks: 6
; NumSGPRsForWavesPerEU: 31
; NumVGPRsForWavesPerEU: 49
; Occupancy: 16
; WaveLimiterHint : 1
; COMPUTE_PGM_RSRC2:SCRATCH_EN: 0
; COMPUTE_PGM_RSRC2:USER_SGPR: 15
; COMPUTE_PGM_RSRC2:TRAP_HANDLER: 0
; COMPUTE_PGM_RSRC2:TGID_X_EN: 1
; COMPUTE_PGM_RSRC2:TGID_Y_EN: 0
; COMPUTE_PGM_RSRC2:TGID_Z_EN: 0
; COMPUTE_PGM_RSRC2:TIDIG_COMP_CNT: 0
	.section	.text._ZN7rocprim17ROCPRIM_400000_NS6detail17trampoline_kernelINS0_14default_configENS1_35adjacent_difference_config_selectorILb1EsEEZNS1_24adjacent_difference_implIS3_Lb1ELb0EPsS7_N6thrust23THRUST_200600_302600_NS5minusIsEEEE10hipError_tPvRmT2_T3_mT4_P12ihipStream_tbEUlT_E_NS1_11comp_targetILNS1_3genE8ELNS1_11target_archE1030ELNS1_3gpuE2ELNS1_3repE0EEENS1_30default_config_static_selectorELNS0_4arch9wavefront6targetE0EEEvT1_,"axG",@progbits,_ZN7rocprim17ROCPRIM_400000_NS6detail17trampoline_kernelINS0_14default_configENS1_35adjacent_difference_config_selectorILb1EsEEZNS1_24adjacent_difference_implIS3_Lb1ELb0EPsS7_N6thrust23THRUST_200600_302600_NS5minusIsEEEE10hipError_tPvRmT2_T3_mT4_P12ihipStream_tbEUlT_E_NS1_11comp_targetILNS1_3genE8ELNS1_11target_archE1030ELNS1_3gpuE2ELNS1_3repE0EEENS1_30default_config_static_selectorELNS0_4arch9wavefront6targetE0EEEvT1_,comdat
	.protected	_ZN7rocprim17ROCPRIM_400000_NS6detail17trampoline_kernelINS0_14default_configENS1_35adjacent_difference_config_selectorILb1EsEEZNS1_24adjacent_difference_implIS3_Lb1ELb0EPsS7_N6thrust23THRUST_200600_302600_NS5minusIsEEEE10hipError_tPvRmT2_T3_mT4_P12ihipStream_tbEUlT_E_NS1_11comp_targetILNS1_3genE8ELNS1_11target_archE1030ELNS1_3gpuE2ELNS1_3repE0EEENS1_30default_config_static_selectorELNS0_4arch9wavefront6targetE0EEEvT1_ ; -- Begin function _ZN7rocprim17ROCPRIM_400000_NS6detail17trampoline_kernelINS0_14default_configENS1_35adjacent_difference_config_selectorILb1EsEEZNS1_24adjacent_difference_implIS3_Lb1ELb0EPsS7_N6thrust23THRUST_200600_302600_NS5minusIsEEEE10hipError_tPvRmT2_T3_mT4_P12ihipStream_tbEUlT_E_NS1_11comp_targetILNS1_3genE8ELNS1_11target_archE1030ELNS1_3gpuE2ELNS1_3repE0EEENS1_30default_config_static_selectorELNS0_4arch9wavefront6targetE0EEEvT1_
	.globl	_ZN7rocprim17ROCPRIM_400000_NS6detail17trampoline_kernelINS0_14default_configENS1_35adjacent_difference_config_selectorILb1EsEEZNS1_24adjacent_difference_implIS3_Lb1ELb0EPsS7_N6thrust23THRUST_200600_302600_NS5minusIsEEEE10hipError_tPvRmT2_T3_mT4_P12ihipStream_tbEUlT_E_NS1_11comp_targetILNS1_3genE8ELNS1_11target_archE1030ELNS1_3gpuE2ELNS1_3repE0EEENS1_30default_config_static_selectorELNS0_4arch9wavefront6targetE0EEEvT1_
	.p2align	8
	.type	_ZN7rocprim17ROCPRIM_400000_NS6detail17trampoline_kernelINS0_14default_configENS1_35adjacent_difference_config_selectorILb1EsEEZNS1_24adjacent_difference_implIS3_Lb1ELb0EPsS7_N6thrust23THRUST_200600_302600_NS5minusIsEEEE10hipError_tPvRmT2_T3_mT4_P12ihipStream_tbEUlT_E_NS1_11comp_targetILNS1_3genE8ELNS1_11target_archE1030ELNS1_3gpuE2ELNS1_3repE0EEENS1_30default_config_static_selectorELNS0_4arch9wavefront6targetE0EEEvT1_,@function
_ZN7rocprim17ROCPRIM_400000_NS6detail17trampoline_kernelINS0_14default_configENS1_35adjacent_difference_config_selectorILb1EsEEZNS1_24adjacent_difference_implIS3_Lb1ELb0EPsS7_N6thrust23THRUST_200600_302600_NS5minusIsEEEE10hipError_tPvRmT2_T3_mT4_P12ihipStream_tbEUlT_E_NS1_11comp_targetILNS1_3genE8ELNS1_11target_archE1030ELNS1_3gpuE2ELNS1_3repE0EEENS1_30default_config_static_selectorELNS0_4arch9wavefront6targetE0EEEvT1_: ; @_ZN7rocprim17ROCPRIM_400000_NS6detail17trampoline_kernelINS0_14default_configENS1_35adjacent_difference_config_selectorILb1EsEEZNS1_24adjacent_difference_implIS3_Lb1ELb0EPsS7_N6thrust23THRUST_200600_302600_NS5minusIsEEEE10hipError_tPvRmT2_T3_mT4_P12ihipStream_tbEUlT_E_NS1_11comp_targetILNS1_3genE8ELNS1_11target_archE1030ELNS1_3gpuE2ELNS1_3repE0EEENS1_30default_config_static_selectorELNS0_4arch9wavefront6targetE0EEEvT1_
; %bb.0:
	.section	.rodata,"a",@progbits
	.p2align	6, 0x0
	.amdhsa_kernel _ZN7rocprim17ROCPRIM_400000_NS6detail17trampoline_kernelINS0_14default_configENS1_35adjacent_difference_config_selectorILb1EsEEZNS1_24adjacent_difference_implIS3_Lb1ELb0EPsS7_N6thrust23THRUST_200600_302600_NS5minusIsEEEE10hipError_tPvRmT2_T3_mT4_P12ihipStream_tbEUlT_E_NS1_11comp_targetILNS1_3genE8ELNS1_11target_archE1030ELNS1_3gpuE2ELNS1_3repE0EEENS1_30default_config_static_selectorELNS0_4arch9wavefront6targetE0EEEvT1_
		.amdhsa_group_segment_fixed_size 0
		.amdhsa_private_segment_fixed_size 0
		.amdhsa_kernarg_size 56
		.amdhsa_user_sgpr_count 15
		.amdhsa_user_sgpr_dispatch_ptr 0
		.amdhsa_user_sgpr_queue_ptr 0
		.amdhsa_user_sgpr_kernarg_segment_ptr 1
		.amdhsa_user_sgpr_dispatch_id 0
		.amdhsa_user_sgpr_private_segment_size 0
		.amdhsa_wavefront_size32 1
		.amdhsa_uses_dynamic_stack 0
		.amdhsa_enable_private_segment 0
		.amdhsa_system_sgpr_workgroup_id_x 1
		.amdhsa_system_sgpr_workgroup_id_y 0
		.amdhsa_system_sgpr_workgroup_id_z 0
		.amdhsa_system_sgpr_workgroup_info 0
		.amdhsa_system_vgpr_workitem_id 0
		.amdhsa_next_free_vgpr 1
		.amdhsa_next_free_sgpr 1
		.amdhsa_reserve_vcc 0
		.amdhsa_float_round_mode_32 0
		.amdhsa_float_round_mode_16_64 0
		.amdhsa_float_denorm_mode_32 3
		.amdhsa_float_denorm_mode_16_64 3
		.amdhsa_dx10_clamp 1
		.amdhsa_ieee_mode 1
		.amdhsa_fp16_overflow 0
		.amdhsa_workgroup_processor_mode 1
		.amdhsa_memory_ordered 1
		.amdhsa_forward_progress 0
		.amdhsa_shared_vgpr_count 0
		.amdhsa_exception_fp_ieee_invalid_op 0
		.amdhsa_exception_fp_denorm_src 0
		.amdhsa_exception_fp_ieee_div_zero 0
		.amdhsa_exception_fp_ieee_overflow 0
		.amdhsa_exception_fp_ieee_underflow 0
		.amdhsa_exception_fp_ieee_inexact 0
		.amdhsa_exception_int_div_zero 0
	.end_amdhsa_kernel
	.section	.text._ZN7rocprim17ROCPRIM_400000_NS6detail17trampoline_kernelINS0_14default_configENS1_35adjacent_difference_config_selectorILb1EsEEZNS1_24adjacent_difference_implIS3_Lb1ELb0EPsS7_N6thrust23THRUST_200600_302600_NS5minusIsEEEE10hipError_tPvRmT2_T3_mT4_P12ihipStream_tbEUlT_E_NS1_11comp_targetILNS1_3genE8ELNS1_11target_archE1030ELNS1_3gpuE2ELNS1_3repE0EEENS1_30default_config_static_selectorELNS0_4arch9wavefront6targetE0EEEvT1_,"axG",@progbits,_ZN7rocprim17ROCPRIM_400000_NS6detail17trampoline_kernelINS0_14default_configENS1_35adjacent_difference_config_selectorILb1EsEEZNS1_24adjacent_difference_implIS3_Lb1ELb0EPsS7_N6thrust23THRUST_200600_302600_NS5minusIsEEEE10hipError_tPvRmT2_T3_mT4_P12ihipStream_tbEUlT_E_NS1_11comp_targetILNS1_3genE8ELNS1_11target_archE1030ELNS1_3gpuE2ELNS1_3repE0EEENS1_30default_config_static_selectorELNS0_4arch9wavefront6targetE0EEEvT1_,comdat
.Lfunc_end382:
	.size	_ZN7rocprim17ROCPRIM_400000_NS6detail17trampoline_kernelINS0_14default_configENS1_35adjacent_difference_config_selectorILb1EsEEZNS1_24adjacent_difference_implIS3_Lb1ELb0EPsS7_N6thrust23THRUST_200600_302600_NS5minusIsEEEE10hipError_tPvRmT2_T3_mT4_P12ihipStream_tbEUlT_E_NS1_11comp_targetILNS1_3genE8ELNS1_11target_archE1030ELNS1_3gpuE2ELNS1_3repE0EEENS1_30default_config_static_selectorELNS0_4arch9wavefront6targetE0EEEvT1_, .Lfunc_end382-_ZN7rocprim17ROCPRIM_400000_NS6detail17trampoline_kernelINS0_14default_configENS1_35adjacent_difference_config_selectorILb1EsEEZNS1_24adjacent_difference_implIS3_Lb1ELb0EPsS7_N6thrust23THRUST_200600_302600_NS5minusIsEEEE10hipError_tPvRmT2_T3_mT4_P12ihipStream_tbEUlT_E_NS1_11comp_targetILNS1_3genE8ELNS1_11target_archE1030ELNS1_3gpuE2ELNS1_3repE0EEENS1_30default_config_static_selectorELNS0_4arch9wavefront6targetE0EEEvT1_
                                        ; -- End function
	.section	.AMDGPU.csdata,"",@progbits
; Kernel info:
; codeLenInByte = 0
; NumSgprs: 0
; NumVgprs: 0
; ScratchSize: 0
; MemoryBound: 0
; FloatMode: 240
; IeeeMode: 1
; LDSByteSize: 0 bytes/workgroup (compile time only)
; SGPRBlocks: 0
; VGPRBlocks: 0
; NumSGPRsForWavesPerEU: 1
; NumVGPRsForWavesPerEU: 1
; Occupancy: 16
; WaveLimiterHint : 0
; COMPUTE_PGM_RSRC2:SCRATCH_EN: 0
; COMPUTE_PGM_RSRC2:USER_SGPR: 15
; COMPUTE_PGM_RSRC2:TRAP_HANDLER: 0
; COMPUTE_PGM_RSRC2:TGID_X_EN: 1
; COMPUTE_PGM_RSRC2:TGID_Y_EN: 0
; COMPUTE_PGM_RSRC2:TGID_Z_EN: 0
; COMPUTE_PGM_RSRC2:TIDIG_COMP_CNT: 0
	.section	.text._ZN7rocprim17ROCPRIM_400000_NS6detail17trampoline_kernelINS0_14default_configENS1_35adjacent_difference_config_selectorILb0EsEEZNS1_24adjacent_difference_implIS3_Lb0ELb0EPsS7_N6thrust23THRUST_200600_302600_NS4plusIsEEEE10hipError_tPvRmT2_T3_mT4_P12ihipStream_tbEUlT_E_NS1_11comp_targetILNS1_3genE0ELNS1_11target_archE4294967295ELNS1_3gpuE0ELNS1_3repE0EEENS1_30default_config_static_selectorELNS0_4arch9wavefront6targetE0EEEvT1_,"axG",@progbits,_ZN7rocprim17ROCPRIM_400000_NS6detail17trampoline_kernelINS0_14default_configENS1_35adjacent_difference_config_selectorILb0EsEEZNS1_24adjacent_difference_implIS3_Lb0ELb0EPsS7_N6thrust23THRUST_200600_302600_NS4plusIsEEEE10hipError_tPvRmT2_T3_mT4_P12ihipStream_tbEUlT_E_NS1_11comp_targetILNS1_3genE0ELNS1_11target_archE4294967295ELNS1_3gpuE0ELNS1_3repE0EEENS1_30default_config_static_selectorELNS0_4arch9wavefront6targetE0EEEvT1_,comdat
	.protected	_ZN7rocprim17ROCPRIM_400000_NS6detail17trampoline_kernelINS0_14default_configENS1_35adjacent_difference_config_selectorILb0EsEEZNS1_24adjacent_difference_implIS3_Lb0ELb0EPsS7_N6thrust23THRUST_200600_302600_NS4plusIsEEEE10hipError_tPvRmT2_T3_mT4_P12ihipStream_tbEUlT_E_NS1_11comp_targetILNS1_3genE0ELNS1_11target_archE4294967295ELNS1_3gpuE0ELNS1_3repE0EEENS1_30default_config_static_selectorELNS0_4arch9wavefront6targetE0EEEvT1_ ; -- Begin function _ZN7rocprim17ROCPRIM_400000_NS6detail17trampoline_kernelINS0_14default_configENS1_35adjacent_difference_config_selectorILb0EsEEZNS1_24adjacent_difference_implIS3_Lb0ELb0EPsS7_N6thrust23THRUST_200600_302600_NS4plusIsEEEE10hipError_tPvRmT2_T3_mT4_P12ihipStream_tbEUlT_E_NS1_11comp_targetILNS1_3genE0ELNS1_11target_archE4294967295ELNS1_3gpuE0ELNS1_3repE0EEENS1_30default_config_static_selectorELNS0_4arch9wavefront6targetE0EEEvT1_
	.globl	_ZN7rocprim17ROCPRIM_400000_NS6detail17trampoline_kernelINS0_14default_configENS1_35adjacent_difference_config_selectorILb0EsEEZNS1_24adjacent_difference_implIS3_Lb0ELb0EPsS7_N6thrust23THRUST_200600_302600_NS4plusIsEEEE10hipError_tPvRmT2_T3_mT4_P12ihipStream_tbEUlT_E_NS1_11comp_targetILNS1_3genE0ELNS1_11target_archE4294967295ELNS1_3gpuE0ELNS1_3repE0EEENS1_30default_config_static_selectorELNS0_4arch9wavefront6targetE0EEEvT1_
	.p2align	8
	.type	_ZN7rocprim17ROCPRIM_400000_NS6detail17trampoline_kernelINS0_14default_configENS1_35adjacent_difference_config_selectorILb0EsEEZNS1_24adjacent_difference_implIS3_Lb0ELb0EPsS7_N6thrust23THRUST_200600_302600_NS4plusIsEEEE10hipError_tPvRmT2_T3_mT4_P12ihipStream_tbEUlT_E_NS1_11comp_targetILNS1_3genE0ELNS1_11target_archE4294967295ELNS1_3gpuE0ELNS1_3repE0EEENS1_30default_config_static_selectorELNS0_4arch9wavefront6targetE0EEEvT1_,@function
_ZN7rocprim17ROCPRIM_400000_NS6detail17trampoline_kernelINS0_14default_configENS1_35adjacent_difference_config_selectorILb0EsEEZNS1_24adjacent_difference_implIS3_Lb0ELb0EPsS7_N6thrust23THRUST_200600_302600_NS4plusIsEEEE10hipError_tPvRmT2_T3_mT4_P12ihipStream_tbEUlT_E_NS1_11comp_targetILNS1_3genE0ELNS1_11target_archE4294967295ELNS1_3gpuE0ELNS1_3repE0EEENS1_30default_config_static_selectorELNS0_4arch9wavefront6targetE0EEEvT1_: ; @_ZN7rocprim17ROCPRIM_400000_NS6detail17trampoline_kernelINS0_14default_configENS1_35adjacent_difference_config_selectorILb0EsEEZNS1_24adjacent_difference_implIS3_Lb0ELb0EPsS7_N6thrust23THRUST_200600_302600_NS4plusIsEEEE10hipError_tPvRmT2_T3_mT4_P12ihipStream_tbEUlT_E_NS1_11comp_targetILNS1_3genE0ELNS1_11target_archE4294967295ELNS1_3gpuE0ELNS1_3repE0EEENS1_30default_config_static_selectorELNS0_4arch9wavefront6targetE0EEEvT1_
; %bb.0:
	.section	.rodata,"a",@progbits
	.p2align	6, 0x0
	.amdhsa_kernel _ZN7rocprim17ROCPRIM_400000_NS6detail17trampoline_kernelINS0_14default_configENS1_35adjacent_difference_config_selectorILb0EsEEZNS1_24adjacent_difference_implIS3_Lb0ELb0EPsS7_N6thrust23THRUST_200600_302600_NS4plusIsEEEE10hipError_tPvRmT2_T3_mT4_P12ihipStream_tbEUlT_E_NS1_11comp_targetILNS1_3genE0ELNS1_11target_archE4294967295ELNS1_3gpuE0ELNS1_3repE0EEENS1_30default_config_static_selectorELNS0_4arch9wavefront6targetE0EEEvT1_
		.amdhsa_group_segment_fixed_size 0
		.amdhsa_private_segment_fixed_size 0
		.amdhsa_kernarg_size 56
		.amdhsa_user_sgpr_count 15
		.amdhsa_user_sgpr_dispatch_ptr 0
		.amdhsa_user_sgpr_queue_ptr 0
		.amdhsa_user_sgpr_kernarg_segment_ptr 1
		.amdhsa_user_sgpr_dispatch_id 0
		.amdhsa_user_sgpr_private_segment_size 0
		.amdhsa_wavefront_size32 1
		.amdhsa_uses_dynamic_stack 0
		.amdhsa_enable_private_segment 0
		.amdhsa_system_sgpr_workgroup_id_x 1
		.amdhsa_system_sgpr_workgroup_id_y 0
		.amdhsa_system_sgpr_workgroup_id_z 0
		.amdhsa_system_sgpr_workgroup_info 0
		.amdhsa_system_vgpr_workitem_id 0
		.amdhsa_next_free_vgpr 1
		.amdhsa_next_free_sgpr 1
		.amdhsa_reserve_vcc 0
		.amdhsa_float_round_mode_32 0
		.amdhsa_float_round_mode_16_64 0
		.amdhsa_float_denorm_mode_32 3
		.amdhsa_float_denorm_mode_16_64 3
		.amdhsa_dx10_clamp 1
		.amdhsa_ieee_mode 1
		.amdhsa_fp16_overflow 0
		.amdhsa_workgroup_processor_mode 1
		.amdhsa_memory_ordered 1
		.amdhsa_forward_progress 0
		.amdhsa_shared_vgpr_count 0
		.amdhsa_exception_fp_ieee_invalid_op 0
		.amdhsa_exception_fp_denorm_src 0
		.amdhsa_exception_fp_ieee_div_zero 0
		.amdhsa_exception_fp_ieee_overflow 0
		.amdhsa_exception_fp_ieee_underflow 0
		.amdhsa_exception_fp_ieee_inexact 0
		.amdhsa_exception_int_div_zero 0
	.end_amdhsa_kernel
	.section	.text._ZN7rocprim17ROCPRIM_400000_NS6detail17trampoline_kernelINS0_14default_configENS1_35adjacent_difference_config_selectorILb0EsEEZNS1_24adjacent_difference_implIS3_Lb0ELb0EPsS7_N6thrust23THRUST_200600_302600_NS4plusIsEEEE10hipError_tPvRmT2_T3_mT4_P12ihipStream_tbEUlT_E_NS1_11comp_targetILNS1_3genE0ELNS1_11target_archE4294967295ELNS1_3gpuE0ELNS1_3repE0EEENS1_30default_config_static_selectorELNS0_4arch9wavefront6targetE0EEEvT1_,"axG",@progbits,_ZN7rocprim17ROCPRIM_400000_NS6detail17trampoline_kernelINS0_14default_configENS1_35adjacent_difference_config_selectorILb0EsEEZNS1_24adjacent_difference_implIS3_Lb0ELb0EPsS7_N6thrust23THRUST_200600_302600_NS4plusIsEEEE10hipError_tPvRmT2_T3_mT4_P12ihipStream_tbEUlT_E_NS1_11comp_targetILNS1_3genE0ELNS1_11target_archE4294967295ELNS1_3gpuE0ELNS1_3repE0EEENS1_30default_config_static_selectorELNS0_4arch9wavefront6targetE0EEEvT1_,comdat
.Lfunc_end383:
	.size	_ZN7rocprim17ROCPRIM_400000_NS6detail17trampoline_kernelINS0_14default_configENS1_35adjacent_difference_config_selectorILb0EsEEZNS1_24adjacent_difference_implIS3_Lb0ELb0EPsS7_N6thrust23THRUST_200600_302600_NS4plusIsEEEE10hipError_tPvRmT2_T3_mT4_P12ihipStream_tbEUlT_E_NS1_11comp_targetILNS1_3genE0ELNS1_11target_archE4294967295ELNS1_3gpuE0ELNS1_3repE0EEENS1_30default_config_static_selectorELNS0_4arch9wavefront6targetE0EEEvT1_, .Lfunc_end383-_ZN7rocprim17ROCPRIM_400000_NS6detail17trampoline_kernelINS0_14default_configENS1_35adjacent_difference_config_selectorILb0EsEEZNS1_24adjacent_difference_implIS3_Lb0ELb0EPsS7_N6thrust23THRUST_200600_302600_NS4plusIsEEEE10hipError_tPvRmT2_T3_mT4_P12ihipStream_tbEUlT_E_NS1_11comp_targetILNS1_3genE0ELNS1_11target_archE4294967295ELNS1_3gpuE0ELNS1_3repE0EEENS1_30default_config_static_selectorELNS0_4arch9wavefront6targetE0EEEvT1_
                                        ; -- End function
	.section	.AMDGPU.csdata,"",@progbits
; Kernel info:
; codeLenInByte = 0
; NumSgprs: 0
; NumVgprs: 0
; ScratchSize: 0
; MemoryBound: 0
; FloatMode: 240
; IeeeMode: 1
; LDSByteSize: 0 bytes/workgroup (compile time only)
; SGPRBlocks: 0
; VGPRBlocks: 0
; NumSGPRsForWavesPerEU: 1
; NumVGPRsForWavesPerEU: 1
; Occupancy: 16
; WaveLimiterHint : 0
; COMPUTE_PGM_RSRC2:SCRATCH_EN: 0
; COMPUTE_PGM_RSRC2:USER_SGPR: 15
; COMPUTE_PGM_RSRC2:TRAP_HANDLER: 0
; COMPUTE_PGM_RSRC2:TGID_X_EN: 1
; COMPUTE_PGM_RSRC2:TGID_Y_EN: 0
; COMPUTE_PGM_RSRC2:TGID_Z_EN: 0
; COMPUTE_PGM_RSRC2:TIDIG_COMP_CNT: 0
	.section	.text._ZN7rocprim17ROCPRIM_400000_NS6detail17trampoline_kernelINS0_14default_configENS1_35adjacent_difference_config_selectorILb0EsEEZNS1_24adjacent_difference_implIS3_Lb0ELb0EPsS7_N6thrust23THRUST_200600_302600_NS4plusIsEEEE10hipError_tPvRmT2_T3_mT4_P12ihipStream_tbEUlT_E_NS1_11comp_targetILNS1_3genE10ELNS1_11target_archE1201ELNS1_3gpuE5ELNS1_3repE0EEENS1_30default_config_static_selectorELNS0_4arch9wavefront6targetE0EEEvT1_,"axG",@progbits,_ZN7rocprim17ROCPRIM_400000_NS6detail17trampoline_kernelINS0_14default_configENS1_35adjacent_difference_config_selectorILb0EsEEZNS1_24adjacent_difference_implIS3_Lb0ELb0EPsS7_N6thrust23THRUST_200600_302600_NS4plusIsEEEE10hipError_tPvRmT2_T3_mT4_P12ihipStream_tbEUlT_E_NS1_11comp_targetILNS1_3genE10ELNS1_11target_archE1201ELNS1_3gpuE5ELNS1_3repE0EEENS1_30default_config_static_selectorELNS0_4arch9wavefront6targetE0EEEvT1_,comdat
	.protected	_ZN7rocprim17ROCPRIM_400000_NS6detail17trampoline_kernelINS0_14default_configENS1_35adjacent_difference_config_selectorILb0EsEEZNS1_24adjacent_difference_implIS3_Lb0ELb0EPsS7_N6thrust23THRUST_200600_302600_NS4plusIsEEEE10hipError_tPvRmT2_T3_mT4_P12ihipStream_tbEUlT_E_NS1_11comp_targetILNS1_3genE10ELNS1_11target_archE1201ELNS1_3gpuE5ELNS1_3repE0EEENS1_30default_config_static_selectorELNS0_4arch9wavefront6targetE0EEEvT1_ ; -- Begin function _ZN7rocprim17ROCPRIM_400000_NS6detail17trampoline_kernelINS0_14default_configENS1_35adjacent_difference_config_selectorILb0EsEEZNS1_24adjacent_difference_implIS3_Lb0ELb0EPsS7_N6thrust23THRUST_200600_302600_NS4plusIsEEEE10hipError_tPvRmT2_T3_mT4_P12ihipStream_tbEUlT_E_NS1_11comp_targetILNS1_3genE10ELNS1_11target_archE1201ELNS1_3gpuE5ELNS1_3repE0EEENS1_30default_config_static_selectorELNS0_4arch9wavefront6targetE0EEEvT1_
	.globl	_ZN7rocprim17ROCPRIM_400000_NS6detail17trampoline_kernelINS0_14default_configENS1_35adjacent_difference_config_selectorILb0EsEEZNS1_24adjacent_difference_implIS3_Lb0ELb0EPsS7_N6thrust23THRUST_200600_302600_NS4plusIsEEEE10hipError_tPvRmT2_T3_mT4_P12ihipStream_tbEUlT_E_NS1_11comp_targetILNS1_3genE10ELNS1_11target_archE1201ELNS1_3gpuE5ELNS1_3repE0EEENS1_30default_config_static_selectorELNS0_4arch9wavefront6targetE0EEEvT1_
	.p2align	8
	.type	_ZN7rocprim17ROCPRIM_400000_NS6detail17trampoline_kernelINS0_14default_configENS1_35adjacent_difference_config_selectorILb0EsEEZNS1_24adjacent_difference_implIS3_Lb0ELb0EPsS7_N6thrust23THRUST_200600_302600_NS4plusIsEEEE10hipError_tPvRmT2_T3_mT4_P12ihipStream_tbEUlT_E_NS1_11comp_targetILNS1_3genE10ELNS1_11target_archE1201ELNS1_3gpuE5ELNS1_3repE0EEENS1_30default_config_static_selectorELNS0_4arch9wavefront6targetE0EEEvT1_,@function
_ZN7rocprim17ROCPRIM_400000_NS6detail17trampoline_kernelINS0_14default_configENS1_35adjacent_difference_config_selectorILb0EsEEZNS1_24adjacent_difference_implIS3_Lb0ELb0EPsS7_N6thrust23THRUST_200600_302600_NS4plusIsEEEE10hipError_tPvRmT2_T3_mT4_P12ihipStream_tbEUlT_E_NS1_11comp_targetILNS1_3genE10ELNS1_11target_archE1201ELNS1_3gpuE5ELNS1_3repE0EEENS1_30default_config_static_selectorELNS0_4arch9wavefront6targetE0EEEvT1_: ; @_ZN7rocprim17ROCPRIM_400000_NS6detail17trampoline_kernelINS0_14default_configENS1_35adjacent_difference_config_selectorILb0EsEEZNS1_24adjacent_difference_implIS3_Lb0ELb0EPsS7_N6thrust23THRUST_200600_302600_NS4plusIsEEEE10hipError_tPvRmT2_T3_mT4_P12ihipStream_tbEUlT_E_NS1_11comp_targetILNS1_3genE10ELNS1_11target_archE1201ELNS1_3gpuE5ELNS1_3repE0EEENS1_30default_config_static_selectorELNS0_4arch9wavefront6targetE0EEEvT1_
; %bb.0:
	.section	.rodata,"a",@progbits
	.p2align	6, 0x0
	.amdhsa_kernel _ZN7rocprim17ROCPRIM_400000_NS6detail17trampoline_kernelINS0_14default_configENS1_35adjacent_difference_config_selectorILb0EsEEZNS1_24adjacent_difference_implIS3_Lb0ELb0EPsS7_N6thrust23THRUST_200600_302600_NS4plusIsEEEE10hipError_tPvRmT2_T3_mT4_P12ihipStream_tbEUlT_E_NS1_11comp_targetILNS1_3genE10ELNS1_11target_archE1201ELNS1_3gpuE5ELNS1_3repE0EEENS1_30default_config_static_selectorELNS0_4arch9wavefront6targetE0EEEvT1_
		.amdhsa_group_segment_fixed_size 0
		.amdhsa_private_segment_fixed_size 0
		.amdhsa_kernarg_size 56
		.amdhsa_user_sgpr_count 15
		.amdhsa_user_sgpr_dispatch_ptr 0
		.amdhsa_user_sgpr_queue_ptr 0
		.amdhsa_user_sgpr_kernarg_segment_ptr 1
		.amdhsa_user_sgpr_dispatch_id 0
		.amdhsa_user_sgpr_private_segment_size 0
		.amdhsa_wavefront_size32 1
		.amdhsa_uses_dynamic_stack 0
		.amdhsa_enable_private_segment 0
		.amdhsa_system_sgpr_workgroup_id_x 1
		.amdhsa_system_sgpr_workgroup_id_y 0
		.amdhsa_system_sgpr_workgroup_id_z 0
		.amdhsa_system_sgpr_workgroup_info 0
		.amdhsa_system_vgpr_workitem_id 0
		.amdhsa_next_free_vgpr 1
		.amdhsa_next_free_sgpr 1
		.amdhsa_reserve_vcc 0
		.amdhsa_float_round_mode_32 0
		.amdhsa_float_round_mode_16_64 0
		.amdhsa_float_denorm_mode_32 3
		.amdhsa_float_denorm_mode_16_64 3
		.amdhsa_dx10_clamp 1
		.amdhsa_ieee_mode 1
		.amdhsa_fp16_overflow 0
		.amdhsa_workgroup_processor_mode 1
		.amdhsa_memory_ordered 1
		.amdhsa_forward_progress 0
		.amdhsa_shared_vgpr_count 0
		.amdhsa_exception_fp_ieee_invalid_op 0
		.amdhsa_exception_fp_denorm_src 0
		.amdhsa_exception_fp_ieee_div_zero 0
		.amdhsa_exception_fp_ieee_overflow 0
		.amdhsa_exception_fp_ieee_underflow 0
		.amdhsa_exception_fp_ieee_inexact 0
		.amdhsa_exception_int_div_zero 0
	.end_amdhsa_kernel
	.section	.text._ZN7rocprim17ROCPRIM_400000_NS6detail17trampoline_kernelINS0_14default_configENS1_35adjacent_difference_config_selectorILb0EsEEZNS1_24adjacent_difference_implIS3_Lb0ELb0EPsS7_N6thrust23THRUST_200600_302600_NS4plusIsEEEE10hipError_tPvRmT2_T3_mT4_P12ihipStream_tbEUlT_E_NS1_11comp_targetILNS1_3genE10ELNS1_11target_archE1201ELNS1_3gpuE5ELNS1_3repE0EEENS1_30default_config_static_selectorELNS0_4arch9wavefront6targetE0EEEvT1_,"axG",@progbits,_ZN7rocprim17ROCPRIM_400000_NS6detail17trampoline_kernelINS0_14default_configENS1_35adjacent_difference_config_selectorILb0EsEEZNS1_24adjacent_difference_implIS3_Lb0ELb0EPsS7_N6thrust23THRUST_200600_302600_NS4plusIsEEEE10hipError_tPvRmT2_T3_mT4_P12ihipStream_tbEUlT_E_NS1_11comp_targetILNS1_3genE10ELNS1_11target_archE1201ELNS1_3gpuE5ELNS1_3repE0EEENS1_30default_config_static_selectorELNS0_4arch9wavefront6targetE0EEEvT1_,comdat
.Lfunc_end384:
	.size	_ZN7rocprim17ROCPRIM_400000_NS6detail17trampoline_kernelINS0_14default_configENS1_35adjacent_difference_config_selectorILb0EsEEZNS1_24adjacent_difference_implIS3_Lb0ELb0EPsS7_N6thrust23THRUST_200600_302600_NS4plusIsEEEE10hipError_tPvRmT2_T3_mT4_P12ihipStream_tbEUlT_E_NS1_11comp_targetILNS1_3genE10ELNS1_11target_archE1201ELNS1_3gpuE5ELNS1_3repE0EEENS1_30default_config_static_selectorELNS0_4arch9wavefront6targetE0EEEvT1_, .Lfunc_end384-_ZN7rocprim17ROCPRIM_400000_NS6detail17trampoline_kernelINS0_14default_configENS1_35adjacent_difference_config_selectorILb0EsEEZNS1_24adjacent_difference_implIS3_Lb0ELb0EPsS7_N6thrust23THRUST_200600_302600_NS4plusIsEEEE10hipError_tPvRmT2_T3_mT4_P12ihipStream_tbEUlT_E_NS1_11comp_targetILNS1_3genE10ELNS1_11target_archE1201ELNS1_3gpuE5ELNS1_3repE0EEENS1_30default_config_static_selectorELNS0_4arch9wavefront6targetE0EEEvT1_
                                        ; -- End function
	.section	.AMDGPU.csdata,"",@progbits
; Kernel info:
; codeLenInByte = 0
; NumSgprs: 0
; NumVgprs: 0
; ScratchSize: 0
; MemoryBound: 0
; FloatMode: 240
; IeeeMode: 1
; LDSByteSize: 0 bytes/workgroup (compile time only)
; SGPRBlocks: 0
; VGPRBlocks: 0
; NumSGPRsForWavesPerEU: 1
; NumVGPRsForWavesPerEU: 1
; Occupancy: 16
; WaveLimiterHint : 0
; COMPUTE_PGM_RSRC2:SCRATCH_EN: 0
; COMPUTE_PGM_RSRC2:USER_SGPR: 15
; COMPUTE_PGM_RSRC2:TRAP_HANDLER: 0
; COMPUTE_PGM_RSRC2:TGID_X_EN: 1
; COMPUTE_PGM_RSRC2:TGID_Y_EN: 0
; COMPUTE_PGM_RSRC2:TGID_Z_EN: 0
; COMPUTE_PGM_RSRC2:TIDIG_COMP_CNT: 0
	.section	.text._ZN7rocprim17ROCPRIM_400000_NS6detail17trampoline_kernelINS0_14default_configENS1_35adjacent_difference_config_selectorILb0EsEEZNS1_24adjacent_difference_implIS3_Lb0ELb0EPsS7_N6thrust23THRUST_200600_302600_NS4plusIsEEEE10hipError_tPvRmT2_T3_mT4_P12ihipStream_tbEUlT_E_NS1_11comp_targetILNS1_3genE5ELNS1_11target_archE942ELNS1_3gpuE9ELNS1_3repE0EEENS1_30default_config_static_selectorELNS0_4arch9wavefront6targetE0EEEvT1_,"axG",@progbits,_ZN7rocprim17ROCPRIM_400000_NS6detail17trampoline_kernelINS0_14default_configENS1_35adjacent_difference_config_selectorILb0EsEEZNS1_24adjacent_difference_implIS3_Lb0ELb0EPsS7_N6thrust23THRUST_200600_302600_NS4plusIsEEEE10hipError_tPvRmT2_T3_mT4_P12ihipStream_tbEUlT_E_NS1_11comp_targetILNS1_3genE5ELNS1_11target_archE942ELNS1_3gpuE9ELNS1_3repE0EEENS1_30default_config_static_selectorELNS0_4arch9wavefront6targetE0EEEvT1_,comdat
	.protected	_ZN7rocprim17ROCPRIM_400000_NS6detail17trampoline_kernelINS0_14default_configENS1_35adjacent_difference_config_selectorILb0EsEEZNS1_24adjacent_difference_implIS3_Lb0ELb0EPsS7_N6thrust23THRUST_200600_302600_NS4plusIsEEEE10hipError_tPvRmT2_T3_mT4_P12ihipStream_tbEUlT_E_NS1_11comp_targetILNS1_3genE5ELNS1_11target_archE942ELNS1_3gpuE9ELNS1_3repE0EEENS1_30default_config_static_selectorELNS0_4arch9wavefront6targetE0EEEvT1_ ; -- Begin function _ZN7rocprim17ROCPRIM_400000_NS6detail17trampoline_kernelINS0_14default_configENS1_35adjacent_difference_config_selectorILb0EsEEZNS1_24adjacent_difference_implIS3_Lb0ELb0EPsS7_N6thrust23THRUST_200600_302600_NS4plusIsEEEE10hipError_tPvRmT2_T3_mT4_P12ihipStream_tbEUlT_E_NS1_11comp_targetILNS1_3genE5ELNS1_11target_archE942ELNS1_3gpuE9ELNS1_3repE0EEENS1_30default_config_static_selectorELNS0_4arch9wavefront6targetE0EEEvT1_
	.globl	_ZN7rocprim17ROCPRIM_400000_NS6detail17trampoline_kernelINS0_14default_configENS1_35adjacent_difference_config_selectorILb0EsEEZNS1_24adjacent_difference_implIS3_Lb0ELb0EPsS7_N6thrust23THRUST_200600_302600_NS4plusIsEEEE10hipError_tPvRmT2_T3_mT4_P12ihipStream_tbEUlT_E_NS1_11comp_targetILNS1_3genE5ELNS1_11target_archE942ELNS1_3gpuE9ELNS1_3repE0EEENS1_30default_config_static_selectorELNS0_4arch9wavefront6targetE0EEEvT1_
	.p2align	8
	.type	_ZN7rocprim17ROCPRIM_400000_NS6detail17trampoline_kernelINS0_14default_configENS1_35adjacent_difference_config_selectorILb0EsEEZNS1_24adjacent_difference_implIS3_Lb0ELb0EPsS7_N6thrust23THRUST_200600_302600_NS4plusIsEEEE10hipError_tPvRmT2_T3_mT4_P12ihipStream_tbEUlT_E_NS1_11comp_targetILNS1_3genE5ELNS1_11target_archE942ELNS1_3gpuE9ELNS1_3repE0EEENS1_30default_config_static_selectorELNS0_4arch9wavefront6targetE0EEEvT1_,@function
_ZN7rocprim17ROCPRIM_400000_NS6detail17trampoline_kernelINS0_14default_configENS1_35adjacent_difference_config_selectorILb0EsEEZNS1_24adjacent_difference_implIS3_Lb0ELb0EPsS7_N6thrust23THRUST_200600_302600_NS4plusIsEEEE10hipError_tPvRmT2_T3_mT4_P12ihipStream_tbEUlT_E_NS1_11comp_targetILNS1_3genE5ELNS1_11target_archE942ELNS1_3gpuE9ELNS1_3repE0EEENS1_30default_config_static_selectorELNS0_4arch9wavefront6targetE0EEEvT1_: ; @_ZN7rocprim17ROCPRIM_400000_NS6detail17trampoline_kernelINS0_14default_configENS1_35adjacent_difference_config_selectorILb0EsEEZNS1_24adjacent_difference_implIS3_Lb0ELb0EPsS7_N6thrust23THRUST_200600_302600_NS4plusIsEEEE10hipError_tPvRmT2_T3_mT4_P12ihipStream_tbEUlT_E_NS1_11comp_targetILNS1_3genE5ELNS1_11target_archE942ELNS1_3gpuE9ELNS1_3repE0EEENS1_30default_config_static_selectorELNS0_4arch9wavefront6targetE0EEEvT1_
; %bb.0:
	.section	.rodata,"a",@progbits
	.p2align	6, 0x0
	.amdhsa_kernel _ZN7rocprim17ROCPRIM_400000_NS6detail17trampoline_kernelINS0_14default_configENS1_35adjacent_difference_config_selectorILb0EsEEZNS1_24adjacent_difference_implIS3_Lb0ELb0EPsS7_N6thrust23THRUST_200600_302600_NS4plusIsEEEE10hipError_tPvRmT2_T3_mT4_P12ihipStream_tbEUlT_E_NS1_11comp_targetILNS1_3genE5ELNS1_11target_archE942ELNS1_3gpuE9ELNS1_3repE0EEENS1_30default_config_static_selectorELNS0_4arch9wavefront6targetE0EEEvT1_
		.amdhsa_group_segment_fixed_size 0
		.amdhsa_private_segment_fixed_size 0
		.amdhsa_kernarg_size 56
		.amdhsa_user_sgpr_count 15
		.amdhsa_user_sgpr_dispatch_ptr 0
		.amdhsa_user_sgpr_queue_ptr 0
		.amdhsa_user_sgpr_kernarg_segment_ptr 1
		.amdhsa_user_sgpr_dispatch_id 0
		.amdhsa_user_sgpr_private_segment_size 0
		.amdhsa_wavefront_size32 1
		.amdhsa_uses_dynamic_stack 0
		.amdhsa_enable_private_segment 0
		.amdhsa_system_sgpr_workgroup_id_x 1
		.amdhsa_system_sgpr_workgroup_id_y 0
		.amdhsa_system_sgpr_workgroup_id_z 0
		.amdhsa_system_sgpr_workgroup_info 0
		.amdhsa_system_vgpr_workitem_id 0
		.amdhsa_next_free_vgpr 1
		.amdhsa_next_free_sgpr 1
		.amdhsa_reserve_vcc 0
		.amdhsa_float_round_mode_32 0
		.amdhsa_float_round_mode_16_64 0
		.amdhsa_float_denorm_mode_32 3
		.amdhsa_float_denorm_mode_16_64 3
		.amdhsa_dx10_clamp 1
		.amdhsa_ieee_mode 1
		.amdhsa_fp16_overflow 0
		.amdhsa_workgroup_processor_mode 1
		.amdhsa_memory_ordered 1
		.amdhsa_forward_progress 0
		.amdhsa_shared_vgpr_count 0
		.amdhsa_exception_fp_ieee_invalid_op 0
		.amdhsa_exception_fp_denorm_src 0
		.amdhsa_exception_fp_ieee_div_zero 0
		.amdhsa_exception_fp_ieee_overflow 0
		.amdhsa_exception_fp_ieee_underflow 0
		.amdhsa_exception_fp_ieee_inexact 0
		.amdhsa_exception_int_div_zero 0
	.end_amdhsa_kernel
	.section	.text._ZN7rocprim17ROCPRIM_400000_NS6detail17trampoline_kernelINS0_14default_configENS1_35adjacent_difference_config_selectorILb0EsEEZNS1_24adjacent_difference_implIS3_Lb0ELb0EPsS7_N6thrust23THRUST_200600_302600_NS4plusIsEEEE10hipError_tPvRmT2_T3_mT4_P12ihipStream_tbEUlT_E_NS1_11comp_targetILNS1_3genE5ELNS1_11target_archE942ELNS1_3gpuE9ELNS1_3repE0EEENS1_30default_config_static_selectorELNS0_4arch9wavefront6targetE0EEEvT1_,"axG",@progbits,_ZN7rocprim17ROCPRIM_400000_NS6detail17trampoline_kernelINS0_14default_configENS1_35adjacent_difference_config_selectorILb0EsEEZNS1_24adjacent_difference_implIS3_Lb0ELb0EPsS7_N6thrust23THRUST_200600_302600_NS4plusIsEEEE10hipError_tPvRmT2_T3_mT4_P12ihipStream_tbEUlT_E_NS1_11comp_targetILNS1_3genE5ELNS1_11target_archE942ELNS1_3gpuE9ELNS1_3repE0EEENS1_30default_config_static_selectorELNS0_4arch9wavefront6targetE0EEEvT1_,comdat
.Lfunc_end385:
	.size	_ZN7rocprim17ROCPRIM_400000_NS6detail17trampoline_kernelINS0_14default_configENS1_35adjacent_difference_config_selectorILb0EsEEZNS1_24adjacent_difference_implIS3_Lb0ELb0EPsS7_N6thrust23THRUST_200600_302600_NS4plusIsEEEE10hipError_tPvRmT2_T3_mT4_P12ihipStream_tbEUlT_E_NS1_11comp_targetILNS1_3genE5ELNS1_11target_archE942ELNS1_3gpuE9ELNS1_3repE0EEENS1_30default_config_static_selectorELNS0_4arch9wavefront6targetE0EEEvT1_, .Lfunc_end385-_ZN7rocprim17ROCPRIM_400000_NS6detail17trampoline_kernelINS0_14default_configENS1_35adjacent_difference_config_selectorILb0EsEEZNS1_24adjacent_difference_implIS3_Lb0ELb0EPsS7_N6thrust23THRUST_200600_302600_NS4plusIsEEEE10hipError_tPvRmT2_T3_mT4_P12ihipStream_tbEUlT_E_NS1_11comp_targetILNS1_3genE5ELNS1_11target_archE942ELNS1_3gpuE9ELNS1_3repE0EEENS1_30default_config_static_selectorELNS0_4arch9wavefront6targetE0EEEvT1_
                                        ; -- End function
	.section	.AMDGPU.csdata,"",@progbits
; Kernel info:
; codeLenInByte = 0
; NumSgprs: 0
; NumVgprs: 0
; ScratchSize: 0
; MemoryBound: 0
; FloatMode: 240
; IeeeMode: 1
; LDSByteSize: 0 bytes/workgroup (compile time only)
; SGPRBlocks: 0
; VGPRBlocks: 0
; NumSGPRsForWavesPerEU: 1
; NumVGPRsForWavesPerEU: 1
; Occupancy: 16
; WaveLimiterHint : 0
; COMPUTE_PGM_RSRC2:SCRATCH_EN: 0
; COMPUTE_PGM_RSRC2:USER_SGPR: 15
; COMPUTE_PGM_RSRC2:TRAP_HANDLER: 0
; COMPUTE_PGM_RSRC2:TGID_X_EN: 1
; COMPUTE_PGM_RSRC2:TGID_Y_EN: 0
; COMPUTE_PGM_RSRC2:TGID_Z_EN: 0
; COMPUTE_PGM_RSRC2:TIDIG_COMP_CNT: 0
	.section	.text._ZN7rocprim17ROCPRIM_400000_NS6detail17trampoline_kernelINS0_14default_configENS1_35adjacent_difference_config_selectorILb0EsEEZNS1_24adjacent_difference_implIS3_Lb0ELb0EPsS7_N6thrust23THRUST_200600_302600_NS4plusIsEEEE10hipError_tPvRmT2_T3_mT4_P12ihipStream_tbEUlT_E_NS1_11comp_targetILNS1_3genE4ELNS1_11target_archE910ELNS1_3gpuE8ELNS1_3repE0EEENS1_30default_config_static_selectorELNS0_4arch9wavefront6targetE0EEEvT1_,"axG",@progbits,_ZN7rocprim17ROCPRIM_400000_NS6detail17trampoline_kernelINS0_14default_configENS1_35adjacent_difference_config_selectorILb0EsEEZNS1_24adjacent_difference_implIS3_Lb0ELb0EPsS7_N6thrust23THRUST_200600_302600_NS4plusIsEEEE10hipError_tPvRmT2_T3_mT4_P12ihipStream_tbEUlT_E_NS1_11comp_targetILNS1_3genE4ELNS1_11target_archE910ELNS1_3gpuE8ELNS1_3repE0EEENS1_30default_config_static_selectorELNS0_4arch9wavefront6targetE0EEEvT1_,comdat
	.protected	_ZN7rocprim17ROCPRIM_400000_NS6detail17trampoline_kernelINS0_14default_configENS1_35adjacent_difference_config_selectorILb0EsEEZNS1_24adjacent_difference_implIS3_Lb0ELb0EPsS7_N6thrust23THRUST_200600_302600_NS4plusIsEEEE10hipError_tPvRmT2_T3_mT4_P12ihipStream_tbEUlT_E_NS1_11comp_targetILNS1_3genE4ELNS1_11target_archE910ELNS1_3gpuE8ELNS1_3repE0EEENS1_30default_config_static_selectorELNS0_4arch9wavefront6targetE0EEEvT1_ ; -- Begin function _ZN7rocprim17ROCPRIM_400000_NS6detail17trampoline_kernelINS0_14default_configENS1_35adjacent_difference_config_selectorILb0EsEEZNS1_24adjacent_difference_implIS3_Lb0ELb0EPsS7_N6thrust23THRUST_200600_302600_NS4plusIsEEEE10hipError_tPvRmT2_T3_mT4_P12ihipStream_tbEUlT_E_NS1_11comp_targetILNS1_3genE4ELNS1_11target_archE910ELNS1_3gpuE8ELNS1_3repE0EEENS1_30default_config_static_selectorELNS0_4arch9wavefront6targetE0EEEvT1_
	.globl	_ZN7rocprim17ROCPRIM_400000_NS6detail17trampoline_kernelINS0_14default_configENS1_35adjacent_difference_config_selectorILb0EsEEZNS1_24adjacent_difference_implIS3_Lb0ELb0EPsS7_N6thrust23THRUST_200600_302600_NS4plusIsEEEE10hipError_tPvRmT2_T3_mT4_P12ihipStream_tbEUlT_E_NS1_11comp_targetILNS1_3genE4ELNS1_11target_archE910ELNS1_3gpuE8ELNS1_3repE0EEENS1_30default_config_static_selectorELNS0_4arch9wavefront6targetE0EEEvT1_
	.p2align	8
	.type	_ZN7rocprim17ROCPRIM_400000_NS6detail17trampoline_kernelINS0_14default_configENS1_35adjacent_difference_config_selectorILb0EsEEZNS1_24adjacent_difference_implIS3_Lb0ELb0EPsS7_N6thrust23THRUST_200600_302600_NS4plusIsEEEE10hipError_tPvRmT2_T3_mT4_P12ihipStream_tbEUlT_E_NS1_11comp_targetILNS1_3genE4ELNS1_11target_archE910ELNS1_3gpuE8ELNS1_3repE0EEENS1_30default_config_static_selectorELNS0_4arch9wavefront6targetE0EEEvT1_,@function
_ZN7rocprim17ROCPRIM_400000_NS6detail17trampoline_kernelINS0_14default_configENS1_35adjacent_difference_config_selectorILb0EsEEZNS1_24adjacent_difference_implIS3_Lb0ELb0EPsS7_N6thrust23THRUST_200600_302600_NS4plusIsEEEE10hipError_tPvRmT2_T3_mT4_P12ihipStream_tbEUlT_E_NS1_11comp_targetILNS1_3genE4ELNS1_11target_archE910ELNS1_3gpuE8ELNS1_3repE0EEENS1_30default_config_static_selectorELNS0_4arch9wavefront6targetE0EEEvT1_: ; @_ZN7rocprim17ROCPRIM_400000_NS6detail17trampoline_kernelINS0_14default_configENS1_35adjacent_difference_config_selectorILb0EsEEZNS1_24adjacent_difference_implIS3_Lb0ELb0EPsS7_N6thrust23THRUST_200600_302600_NS4plusIsEEEE10hipError_tPvRmT2_T3_mT4_P12ihipStream_tbEUlT_E_NS1_11comp_targetILNS1_3genE4ELNS1_11target_archE910ELNS1_3gpuE8ELNS1_3repE0EEENS1_30default_config_static_selectorELNS0_4arch9wavefront6targetE0EEEvT1_
; %bb.0:
	.section	.rodata,"a",@progbits
	.p2align	6, 0x0
	.amdhsa_kernel _ZN7rocprim17ROCPRIM_400000_NS6detail17trampoline_kernelINS0_14default_configENS1_35adjacent_difference_config_selectorILb0EsEEZNS1_24adjacent_difference_implIS3_Lb0ELb0EPsS7_N6thrust23THRUST_200600_302600_NS4plusIsEEEE10hipError_tPvRmT2_T3_mT4_P12ihipStream_tbEUlT_E_NS1_11comp_targetILNS1_3genE4ELNS1_11target_archE910ELNS1_3gpuE8ELNS1_3repE0EEENS1_30default_config_static_selectorELNS0_4arch9wavefront6targetE0EEEvT1_
		.amdhsa_group_segment_fixed_size 0
		.amdhsa_private_segment_fixed_size 0
		.amdhsa_kernarg_size 56
		.amdhsa_user_sgpr_count 15
		.amdhsa_user_sgpr_dispatch_ptr 0
		.amdhsa_user_sgpr_queue_ptr 0
		.amdhsa_user_sgpr_kernarg_segment_ptr 1
		.amdhsa_user_sgpr_dispatch_id 0
		.amdhsa_user_sgpr_private_segment_size 0
		.amdhsa_wavefront_size32 1
		.amdhsa_uses_dynamic_stack 0
		.amdhsa_enable_private_segment 0
		.amdhsa_system_sgpr_workgroup_id_x 1
		.amdhsa_system_sgpr_workgroup_id_y 0
		.amdhsa_system_sgpr_workgroup_id_z 0
		.amdhsa_system_sgpr_workgroup_info 0
		.amdhsa_system_vgpr_workitem_id 0
		.amdhsa_next_free_vgpr 1
		.amdhsa_next_free_sgpr 1
		.amdhsa_reserve_vcc 0
		.amdhsa_float_round_mode_32 0
		.amdhsa_float_round_mode_16_64 0
		.amdhsa_float_denorm_mode_32 3
		.amdhsa_float_denorm_mode_16_64 3
		.amdhsa_dx10_clamp 1
		.amdhsa_ieee_mode 1
		.amdhsa_fp16_overflow 0
		.amdhsa_workgroup_processor_mode 1
		.amdhsa_memory_ordered 1
		.amdhsa_forward_progress 0
		.amdhsa_shared_vgpr_count 0
		.amdhsa_exception_fp_ieee_invalid_op 0
		.amdhsa_exception_fp_denorm_src 0
		.amdhsa_exception_fp_ieee_div_zero 0
		.amdhsa_exception_fp_ieee_overflow 0
		.amdhsa_exception_fp_ieee_underflow 0
		.amdhsa_exception_fp_ieee_inexact 0
		.amdhsa_exception_int_div_zero 0
	.end_amdhsa_kernel
	.section	.text._ZN7rocprim17ROCPRIM_400000_NS6detail17trampoline_kernelINS0_14default_configENS1_35adjacent_difference_config_selectorILb0EsEEZNS1_24adjacent_difference_implIS3_Lb0ELb0EPsS7_N6thrust23THRUST_200600_302600_NS4plusIsEEEE10hipError_tPvRmT2_T3_mT4_P12ihipStream_tbEUlT_E_NS1_11comp_targetILNS1_3genE4ELNS1_11target_archE910ELNS1_3gpuE8ELNS1_3repE0EEENS1_30default_config_static_selectorELNS0_4arch9wavefront6targetE0EEEvT1_,"axG",@progbits,_ZN7rocprim17ROCPRIM_400000_NS6detail17trampoline_kernelINS0_14default_configENS1_35adjacent_difference_config_selectorILb0EsEEZNS1_24adjacent_difference_implIS3_Lb0ELb0EPsS7_N6thrust23THRUST_200600_302600_NS4plusIsEEEE10hipError_tPvRmT2_T3_mT4_P12ihipStream_tbEUlT_E_NS1_11comp_targetILNS1_3genE4ELNS1_11target_archE910ELNS1_3gpuE8ELNS1_3repE0EEENS1_30default_config_static_selectorELNS0_4arch9wavefront6targetE0EEEvT1_,comdat
.Lfunc_end386:
	.size	_ZN7rocprim17ROCPRIM_400000_NS6detail17trampoline_kernelINS0_14default_configENS1_35adjacent_difference_config_selectorILb0EsEEZNS1_24adjacent_difference_implIS3_Lb0ELb0EPsS7_N6thrust23THRUST_200600_302600_NS4plusIsEEEE10hipError_tPvRmT2_T3_mT4_P12ihipStream_tbEUlT_E_NS1_11comp_targetILNS1_3genE4ELNS1_11target_archE910ELNS1_3gpuE8ELNS1_3repE0EEENS1_30default_config_static_selectorELNS0_4arch9wavefront6targetE0EEEvT1_, .Lfunc_end386-_ZN7rocprim17ROCPRIM_400000_NS6detail17trampoline_kernelINS0_14default_configENS1_35adjacent_difference_config_selectorILb0EsEEZNS1_24adjacent_difference_implIS3_Lb0ELb0EPsS7_N6thrust23THRUST_200600_302600_NS4plusIsEEEE10hipError_tPvRmT2_T3_mT4_P12ihipStream_tbEUlT_E_NS1_11comp_targetILNS1_3genE4ELNS1_11target_archE910ELNS1_3gpuE8ELNS1_3repE0EEENS1_30default_config_static_selectorELNS0_4arch9wavefront6targetE0EEEvT1_
                                        ; -- End function
	.section	.AMDGPU.csdata,"",@progbits
; Kernel info:
; codeLenInByte = 0
; NumSgprs: 0
; NumVgprs: 0
; ScratchSize: 0
; MemoryBound: 0
; FloatMode: 240
; IeeeMode: 1
; LDSByteSize: 0 bytes/workgroup (compile time only)
; SGPRBlocks: 0
; VGPRBlocks: 0
; NumSGPRsForWavesPerEU: 1
; NumVGPRsForWavesPerEU: 1
; Occupancy: 16
; WaveLimiterHint : 0
; COMPUTE_PGM_RSRC2:SCRATCH_EN: 0
; COMPUTE_PGM_RSRC2:USER_SGPR: 15
; COMPUTE_PGM_RSRC2:TRAP_HANDLER: 0
; COMPUTE_PGM_RSRC2:TGID_X_EN: 1
; COMPUTE_PGM_RSRC2:TGID_Y_EN: 0
; COMPUTE_PGM_RSRC2:TGID_Z_EN: 0
; COMPUTE_PGM_RSRC2:TIDIG_COMP_CNT: 0
	.section	.text._ZN7rocprim17ROCPRIM_400000_NS6detail17trampoline_kernelINS0_14default_configENS1_35adjacent_difference_config_selectorILb0EsEEZNS1_24adjacent_difference_implIS3_Lb0ELb0EPsS7_N6thrust23THRUST_200600_302600_NS4plusIsEEEE10hipError_tPvRmT2_T3_mT4_P12ihipStream_tbEUlT_E_NS1_11comp_targetILNS1_3genE3ELNS1_11target_archE908ELNS1_3gpuE7ELNS1_3repE0EEENS1_30default_config_static_selectorELNS0_4arch9wavefront6targetE0EEEvT1_,"axG",@progbits,_ZN7rocprim17ROCPRIM_400000_NS6detail17trampoline_kernelINS0_14default_configENS1_35adjacent_difference_config_selectorILb0EsEEZNS1_24adjacent_difference_implIS3_Lb0ELb0EPsS7_N6thrust23THRUST_200600_302600_NS4plusIsEEEE10hipError_tPvRmT2_T3_mT4_P12ihipStream_tbEUlT_E_NS1_11comp_targetILNS1_3genE3ELNS1_11target_archE908ELNS1_3gpuE7ELNS1_3repE0EEENS1_30default_config_static_selectorELNS0_4arch9wavefront6targetE0EEEvT1_,comdat
	.protected	_ZN7rocprim17ROCPRIM_400000_NS6detail17trampoline_kernelINS0_14default_configENS1_35adjacent_difference_config_selectorILb0EsEEZNS1_24adjacent_difference_implIS3_Lb0ELb0EPsS7_N6thrust23THRUST_200600_302600_NS4plusIsEEEE10hipError_tPvRmT2_T3_mT4_P12ihipStream_tbEUlT_E_NS1_11comp_targetILNS1_3genE3ELNS1_11target_archE908ELNS1_3gpuE7ELNS1_3repE0EEENS1_30default_config_static_selectorELNS0_4arch9wavefront6targetE0EEEvT1_ ; -- Begin function _ZN7rocprim17ROCPRIM_400000_NS6detail17trampoline_kernelINS0_14default_configENS1_35adjacent_difference_config_selectorILb0EsEEZNS1_24adjacent_difference_implIS3_Lb0ELb0EPsS7_N6thrust23THRUST_200600_302600_NS4plusIsEEEE10hipError_tPvRmT2_T3_mT4_P12ihipStream_tbEUlT_E_NS1_11comp_targetILNS1_3genE3ELNS1_11target_archE908ELNS1_3gpuE7ELNS1_3repE0EEENS1_30default_config_static_selectorELNS0_4arch9wavefront6targetE0EEEvT1_
	.globl	_ZN7rocprim17ROCPRIM_400000_NS6detail17trampoline_kernelINS0_14default_configENS1_35adjacent_difference_config_selectorILb0EsEEZNS1_24adjacent_difference_implIS3_Lb0ELb0EPsS7_N6thrust23THRUST_200600_302600_NS4plusIsEEEE10hipError_tPvRmT2_T3_mT4_P12ihipStream_tbEUlT_E_NS1_11comp_targetILNS1_3genE3ELNS1_11target_archE908ELNS1_3gpuE7ELNS1_3repE0EEENS1_30default_config_static_selectorELNS0_4arch9wavefront6targetE0EEEvT1_
	.p2align	8
	.type	_ZN7rocprim17ROCPRIM_400000_NS6detail17trampoline_kernelINS0_14default_configENS1_35adjacent_difference_config_selectorILb0EsEEZNS1_24adjacent_difference_implIS3_Lb0ELb0EPsS7_N6thrust23THRUST_200600_302600_NS4plusIsEEEE10hipError_tPvRmT2_T3_mT4_P12ihipStream_tbEUlT_E_NS1_11comp_targetILNS1_3genE3ELNS1_11target_archE908ELNS1_3gpuE7ELNS1_3repE0EEENS1_30default_config_static_selectorELNS0_4arch9wavefront6targetE0EEEvT1_,@function
_ZN7rocprim17ROCPRIM_400000_NS6detail17trampoline_kernelINS0_14default_configENS1_35adjacent_difference_config_selectorILb0EsEEZNS1_24adjacent_difference_implIS3_Lb0ELb0EPsS7_N6thrust23THRUST_200600_302600_NS4plusIsEEEE10hipError_tPvRmT2_T3_mT4_P12ihipStream_tbEUlT_E_NS1_11comp_targetILNS1_3genE3ELNS1_11target_archE908ELNS1_3gpuE7ELNS1_3repE0EEENS1_30default_config_static_selectorELNS0_4arch9wavefront6targetE0EEEvT1_: ; @_ZN7rocprim17ROCPRIM_400000_NS6detail17trampoline_kernelINS0_14default_configENS1_35adjacent_difference_config_selectorILb0EsEEZNS1_24adjacent_difference_implIS3_Lb0ELb0EPsS7_N6thrust23THRUST_200600_302600_NS4plusIsEEEE10hipError_tPvRmT2_T3_mT4_P12ihipStream_tbEUlT_E_NS1_11comp_targetILNS1_3genE3ELNS1_11target_archE908ELNS1_3gpuE7ELNS1_3repE0EEENS1_30default_config_static_selectorELNS0_4arch9wavefront6targetE0EEEvT1_
; %bb.0:
	.section	.rodata,"a",@progbits
	.p2align	6, 0x0
	.amdhsa_kernel _ZN7rocprim17ROCPRIM_400000_NS6detail17trampoline_kernelINS0_14default_configENS1_35adjacent_difference_config_selectorILb0EsEEZNS1_24adjacent_difference_implIS3_Lb0ELb0EPsS7_N6thrust23THRUST_200600_302600_NS4plusIsEEEE10hipError_tPvRmT2_T3_mT4_P12ihipStream_tbEUlT_E_NS1_11comp_targetILNS1_3genE3ELNS1_11target_archE908ELNS1_3gpuE7ELNS1_3repE0EEENS1_30default_config_static_selectorELNS0_4arch9wavefront6targetE0EEEvT1_
		.amdhsa_group_segment_fixed_size 0
		.amdhsa_private_segment_fixed_size 0
		.amdhsa_kernarg_size 56
		.amdhsa_user_sgpr_count 15
		.amdhsa_user_sgpr_dispatch_ptr 0
		.amdhsa_user_sgpr_queue_ptr 0
		.amdhsa_user_sgpr_kernarg_segment_ptr 1
		.amdhsa_user_sgpr_dispatch_id 0
		.amdhsa_user_sgpr_private_segment_size 0
		.amdhsa_wavefront_size32 1
		.amdhsa_uses_dynamic_stack 0
		.amdhsa_enable_private_segment 0
		.amdhsa_system_sgpr_workgroup_id_x 1
		.amdhsa_system_sgpr_workgroup_id_y 0
		.amdhsa_system_sgpr_workgroup_id_z 0
		.amdhsa_system_sgpr_workgroup_info 0
		.amdhsa_system_vgpr_workitem_id 0
		.amdhsa_next_free_vgpr 1
		.amdhsa_next_free_sgpr 1
		.amdhsa_reserve_vcc 0
		.amdhsa_float_round_mode_32 0
		.amdhsa_float_round_mode_16_64 0
		.amdhsa_float_denorm_mode_32 3
		.amdhsa_float_denorm_mode_16_64 3
		.amdhsa_dx10_clamp 1
		.amdhsa_ieee_mode 1
		.amdhsa_fp16_overflow 0
		.amdhsa_workgroup_processor_mode 1
		.amdhsa_memory_ordered 1
		.amdhsa_forward_progress 0
		.amdhsa_shared_vgpr_count 0
		.amdhsa_exception_fp_ieee_invalid_op 0
		.amdhsa_exception_fp_denorm_src 0
		.amdhsa_exception_fp_ieee_div_zero 0
		.amdhsa_exception_fp_ieee_overflow 0
		.amdhsa_exception_fp_ieee_underflow 0
		.amdhsa_exception_fp_ieee_inexact 0
		.amdhsa_exception_int_div_zero 0
	.end_amdhsa_kernel
	.section	.text._ZN7rocprim17ROCPRIM_400000_NS6detail17trampoline_kernelINS0_14default_configENS1_35adjacent_difference_config_selectorILb0EsEEZNS1_24adjacent_difference_implIS3_Lb0ELb0EPsS7_N6thrust23THRUST_200600_302600_NS4plusIsEEEE10hipError_tPvRmT2_T3_mT4_P12ihipStream_tbEUlT_E_NS1_11comp_targetILNS1_3genE3ELNS1_11target_archE908ELNS1_3gpuE7ELNS1_3repE0EEENS1_30default_config_static_selectorELNS0_4arch9wavefront6targetE0EEEvT1_,"axG",@progbits,_ZN7rocprim17ROCPRIM_400000_NS6detail17trampoline_kernelINS0_14default_configENS1_35adjacent_difference_config_selectorILb0EsEEZNS1_24adjacent_difference_implIS3_Lb0ELb0EPsS7_N6thrust23THRUST_200600_302600_NS4plusIsEEEE10hipError_tPvRmT2_T3_mT4_P12ihipStream_tbEUlT_E_NS1_11comp_targetILNS1_3genE3ELNS1_11target_archE908ELNS1_3gpuE7ELNS1_3repE0EEENS1_30default_config_static_selectorELNS0_4arch9wavefront6targetE0EEEvT1_,comdat
.Lfunc_end387:
	.size	_ZN7rocprim17ROCPRIM_400000_NS6detail17trampoline_kernelINS0_14default_configENS1_35adjacent_difference_config_selectorILb0EsEEZNS1_24adjacent_difference_implIS3_Lb0ELb0EPsS7_N6thrust23THRUST_200600_302600_NS4plusIsEEEE10hipError_tPvRmT2_T3_mT4_P12ihipStream_tbEUlT_E_NS1_11comp_targetILNS1_3genE3ELNS1_11target_archE908ELNS1_3gpuE7ELNS1_3repE0EEENS1_30default_config_static_selectorELNS0_4arch9wavefront6targetE0EEEvT1_, .Lfunc_end387-_ZN7rocprim17ROCPRIM_400000_NS6detail17trampoline_kernelINS0_14default_configENS1_35adjacent_difference_config_selectorILb0EsEEZNS1_24adjacent_difference_implIS3_Lb0ELb0EPsS7_N6thrust23THRUST_200600_302600_NS4plusIsEEEE10hipError_tPvRmT2_T3_mT4_P12ihipStream_tbEUlT_E_NS1_11comp_targetILNS1_3genE3ELNS1_11target_archE908ELNS1_3gpuE7ELNS1_3repE0EEENS1_30default_config_static_selectorELNS0_4arch9wavefront6targetE0EEEvT1_
                                        ; -- End function
	.section	.AMDGPU.csdata,"",@progbits
; Kernel info:
; codeLenInByte = 0
; NumSgprs: 0
; NumVgprs: 0
; ScratchSize: 0
; MemoryBound: 0
; FloatMode: 240
; IeeeMode: 1
; LDSByteSize: 0 bytes/workgroup (compile time only)
; SGPRBlocks: 0
; VGPRBlocks: 0
; NumSGPRsForWavesPerEU: 1
; NumVGPRsForWavesPerEU: 1
; Occupancy: 16
; WaveLimiterHint : 0
; COMPUTE_PGM_RSRC2:SCRATCH_EN: 0
; COMPUTE_PGM_RSRC2:USER_SGPR: 15
; COMPUTE_PGM_RSRC2:TRAP_HANDLER: 0
; COMPUTE_PGM_RSRC2:TGID_X_EN: 1
; COMPUTE_PGM_RSRC2:TGID_Y_EN: 0
; COMPUTE_PGM_RSRC2:TGID_Z_EN: 0
; COMPUTE_PGM_RSRC2:TIDIG_COMP_CNT: 0
	.section	.text._ZN7rocprim17ROCPRIM_400000_NS6detail17trampoline_kernelINS0_14default_configENS1_35adjacent_difference_config_selectorILb0EsEEZNS1_24adjacent_difference_implIS3_Lb0ELb0EPsS7_N6thrust23THRUST_200600_302600_NS4plusIsEEEE10hipError_tPvRmT2_T3_mT4_P12ihipStream_tbEUlT_E_NS1_11comp_targetILNS1_3genE2ELNS1_11target_archE906ELNS1_3gpuE6ELNS1_3repE0EEENS1_30default_config_static_selectorELNS0_4arch9wavefront6targetE0EEEvT1_,"axG",@progbits,_ZN7rocprim17ROCPRIM_400000_NS6detail17trampoline_kernelINS0_14default_configENS1_35adjacent_difference_config_selectorILb0EsEEZNS1_24adjacent_difference_implIS3_Lb0ELb0EPsS7_N6thrust23THRUST_200600_302600_NS4plusIsEEEE10hipError_tPvRmT2_T3_mT4_P12ihipStream_tbEUlT_E_NS1_11comp_targetILNS1_3genE2ELNS1_11target_archE906ELNS1_3gpuE6ELNS1_3repE0EEENS1_30default_config_static_selectorELNS0_4arch9wavefront6targetE0EEEvT1_,comdat
	.protected	_ZN7rocprim17ROCPRIM_400000_NS6detail17trampoline_kernelINS0_14default_configENS1_35adjacent_difference_config_selectorILb0EsEEZNS1_24adjacent_difference_implIS3_Lb0ELb0EPsS7_N6thrust23THRUST_200600_302600_NS4plusIsEEEE10hipError_tPvRmT2_T3_mT4_P12ihipStream_tbEUlT_E_NS1_11comp_targetILNS1_3genE2ELNS1_11target_archE906ELNS1_3gpuE6ELNS1_3repE0EEENS1_30default_config_static_selectorELNS0_4arch9wavefront6targetE0EEEvT1_ ; -- Begin function _ZN7rocprim17ROCPRIM_400000_NS6detail17trampoline_kernelINS0_14default_configENS1_35adjacent_difference_config_selectorILb0EsEEZNS1_24adjacent_difference_implIS3_Lb0ELb0EPsS7_N6thrust23THRUST_200600_302600_NS4plusIsEEEE10hipError_tPvRmT2_T3_mT4_P12ihipStream_tbEUlT_E_NS1_11comp_targetILNS1_3genE2ELNS1_11target_archE906ELNS1_3gpuE6ELNS1_3repE0EEENS1_30default_config_static_selectorELNS0_4arch9wavefront6targetE0EEEvT1_
	.globl	_ZN7rocprim17ROCPRIM_400000_NS6detail17trampoline_kernelINS0_14default_configENS1_35adjacent_difference_config_selectorILb0EsEEZNS1_24adjacent_difference_implIS3_Lb0ELb0EPsS7_N6thrust23THRUST_200600_302600_NS4plusIsEEEE10hipError_tPvRmT2_T3_mT4_P12ihipStream_tbEUlT_E_NS1_11comp_targetILNS1_3genE2ELNS1_11target_archE906ELNS1_3gpuE6ELNS1_3repE0EEENS1_30default_config_static_selectorELNS0_4arch9wavefront6targetE0EEEvT1_
	.p2align	8
	.type	_ZN7rocprim17ROCPRIM_400000_NS6detail17trampoline_kernelINS0_14default_configENS1_35adjacent_difference_config_selectorILb0EsEEZNS1_24adjacent_difference_implIS3_Lb0ELb0EPsS7_N6thrust23THRUST_200600_302600_NS4plusIsEEEE10hipError_tPvRmT2_T3_mT4_P12ihipStream_tbEUlT_E_NS1_11comp_targetILNS1_3genE2ELNS1_11target_archE906ELNS1_3gpuE6ELNS1_3repE0EEENS1_30default_config_static_selectorELNS0_4arch9wavefront6targetE0EEEvT1_,@function
_ZN7rocprim17ROCPRIM_400000_NS6detail17trampoline_kernelINS0_14default_configENS1_35adjacent_difference_config_selectorILb0EsEEZNS1_24adjacent_difference_implIS3_Lb0ELb0EPsS7_N6thrust23THRUST_200600_302600_NS4plusIsEEEE10hipError_tPvRmT2_T3_mT4_P12ihipStream_tbEUlT_E_NS1_11comp_targetILNS1_3genE2ELNS1_11target_archE906ELNS1_3gpuE6ELNS1_3repE0EEENS1_30default_config_static_selectorELNS0_4arch9wavefront6targetE0EEEvT1_: ; @_ZN7rocprim17ROCPRIM_400000_NS6detail17trampoline_kernelINS0_14default_configENS1_35adjacent_difference_config_selectorILb0EsEEZNS1_24adjacent_difference_implIS3_Lb0ELb0EPsS7_N6thrust23THRUST_200600_302600_NS4plusIsEEEE10hipError_tPvRmT2_T3_mT4_P12ihipStream_tbEUlT_E_NS1_11comp_targetILNS1_3genE2ELNS1_11target_archE906ELNS1_3gpuE6ELNS1_3repE0EEENS1_30default_config_static_selectorELNS0_4arch9wavefront6targetE0EEEvT1_
; %bb.0:
	.section	.rodata,"a",@progbits
	.p2align	6, 0x0
	.amdhsa_kernel _ZN7rocprim17ROCPRIM_400000_NS6detail17trampoline_kernelINS0_14default_configENS1_35adjacent_difference_config_selectorILb0EsEEZNS1_24adjacent_difference_implIS3_Lb0ELb0EPsS7_N6thrust23THRUST_200600_302600_NS4plusIsEEEE10hipError_tPvRmT2_T3_mT4_P12ihipStream_tbEUlT_E_NS1_11comp_targetILNS1_3genE2ELNS1_11target_archE906ELNS1_3gpuE6ELNS1_3repE0EEENS1_30default_config_static_selectorELNS0_4arch9wavefront6targetE0EEEvT1_
		.amdhsa_group_segment_fixed_size 0
		.amdhsa_private_segment_fixed_size 0
		.amdhsa_kernarg_size 56
		.amdhsa_user_sgpr_count 15
		.amdhsa_user_sgpr_dispatch_ptr 0
		.amdhsa_user_sgpr_queue_ptr 0
		.amdhsa_user_sgpr_kernarg_segment_ptr 1
		.amdhsa_user_sgpr_dispatch_id 0
		.amdhsa_user_sgpr_private_segment_size 0
		.amdhsa_wavefront_size32 1
		.amdhsa_uses_dynamic_stack 0
		.amdhsa_enable_private_segment 0
		.amdhsa_system_sgpr_workgroup_id_x 1
		.amdhsa_system_sgpr_workgroup_id_y 0
		.amdhsa_system_sgpr_workgroup_id_z 0
		.amdhsa_system_sgpr_workgroup_info 0
		.amdhsa_system_vgpr_workitem_id 0
		.amdhsa_next_free_vgpr 1
		.amdhsa_next_free_sgpr 1
		.amdhsa_reserve_vcc 0
		.amdhsa_float_round_mode_32 0
		.amdhsa_float_round_mode_16_64 0
		.amdhsa_float_denorm_mode_32 3
		.amdhsa_float_denorm_mode_16_64 3
		.amdhsa_dx10_clamp 1
		.amdhsa_ieee_mode 1
		.amdhsa_fp16_overflow 0
		.amdhsa_workgroup_processor_mode 1
		.amdhsa_memory_ordered 1
		.amdhsa_forward_progress 0
		.amdhsa_shared_vgpr_count 0
		.amdhsa_exception_fp_ieee_invalid_op 0
		.amdhsa_exception_fp_denorm_src 0
		.amdhsa_exception_fp_ieee_div_zero 0
		.amdhsa_exception_fp_ieee_overflow 0
		.amdhsa_exception_fp_ieee_underflow 0
		.amdhsa_exception_fp_ieee_inexact 0
		.amdhsa_exception_int_div_zero 0
	.end_amdhsa_kernel
	.section	.text._ZN7rocprim17ROCPRIM_400000_NS6detail17trampoline_kernelINS0_14default_configENS1_35adjacent_difference_config_selectorILb0EsEEZNS1_24adjacent_difference_implIS3_Lb0ELb0EPsS7_N6thrust23THRUST_200600_302600_NS4plusIsEEEE10hipError_tPvRmT2_T3_mT4_P12ihipStream_tbEUlT_E_NS1_11comp_targetILNS1_3genE2ELNS1_11target_archE906ELNS1_3gpuE6ELNS1_3repE0EEENS1_30default_config_static_selectorELNS0_4arch9wavefront6targetE0EEEvT1_,"axG",@progbits,_ZN7rocprim17ROCPRIM_400000_NS6detail17trampoline_kernelINS0_14default_configENS1_35adjacent_difference_config_selectorILb0EsEEZNS1_24adjacent_difference_implIS3_Lb0ELb0EPsS7_N6thrust23THRUST_200600_302600_NS4plusIsEEEE10hipError_tPvRmT2_T3_mT4_P12ihipStream_tbEUlT_E_NS1_11comp_targetILNS1_3genE2ELNS1_11target_archE906ELNS1_3gpuE6ELNS1_3repE0EEENS1_30default_config_static_selectorELNS0_4arch9wavefront6targetE0EEEvT1_,comdat
.Lfunc_end388:
	.size	_ZN7rocprim17ROCPRIM_400000_NS6detail17trampoline_kernelINS0_14default_configENS1_35adjacent_difference_config_selectorILb0EsEEZNS1_24adjacent_difference_implIS3_Lb0ELb0EPsS7_N6thrust23THRUST_200600_302600_NS4plusIsEEEE10hipError_tPvRmT2_T3_mT4_P12ihipStream_tbEUlT_E_NS1_11comp_targetILNS1_3genE2ELNS1_11target_archE906ELNS1_3gpuE6ELNS1_3repE0EEENS1_30default_config_static_selectorELNS0_4arch9wavefront6targetE0EEEvT1_, .Lfunc_end388-_ZN7rocprim17ROCPRIM_400000_NS6detail17trampoline_kernelINS0_14default_configENS1_35adjacent_difference_config_selectorILb0EsEEZNS1_24adjacent_difference_implIS3_Lb0ELb0EPsS7_N6thrust23THRUST_200600_302600_NS4plusIsEEEE10hipError_tPvRmT2_T3_mT4_P12ihipStream_tbEUlT_E_NS1_11comp_targetILNS1_3genE2ELNS1_11target_archE906ELNS1_3gpuE6ELNS1_3repE0EEENS1_30default_config_static_selectorELNS0_4arch9wavefront6targetE0EEEvT1_
                                        ; -- End function
	.section	.AMDGPU.csdata,"",@progbits
; Kernel info:
; codeLenInByte = 0
; NumSgprs: 0
; NumVgprs: 0
; ScratchSize: 0
; MemoryBound: 0
; FloatMode: 240
; IeeeMode: 1
; LDSByteSize: 0 bytes/workgroup (compile time only)
; SGPRBlocks: 0
; VGPRBlocks: 0
; NumSGPRsForWavesPerEU: 1
; NumVGPRsForWavesPerEU: 1
; Occupancy: 16
; WaveLimiterHint : 0
; COMPUTE_PGM_RSRC2:SCRATCH_EN: 0
; COMPUTE_PGM_RSRC2:USER_SGPR: 15
; COMPUTE_PGM_RSRC2:TRAP_HANDLER: 0
; COMPUTE_PGM_RSRC2:TGID_X_EN: 1
; COMPUTE_PGM_RSRC2:TGID_Y_EN: 0
; COMPUTE_PGM_RSRC2:TGID_Z_EN: 0
; COMPUTE_PGM_RSRC2:TIDIG_COMP_CNT: 0
	.section	.text._ZN7rocprim17ROCPRIM_400000_NS6detail17trampoline_kernelINS0_14default_configENS1_35adjacent_difference_config_selectorILb0EsEEZNS1_24adjacent_difference_implIS3_Lb0ELb0EPsS7_N6thrust23THRUST_200600_302600_NS4plusIsEEEE10hipError_tPvRmT2_T3_mT4_P12ihipStream_tbEUlT_E_NS1_11comp_targetILNS1_3genE9ELNS1_11target_archE1100ELNS1_3gpuE3ELNS1_3repE0EEENS1_30default_config_static_selectorELNS0_4arch9wavefront6targetE0EEEvT1_,"axG",@progbits,_ZN7rocprim17ROCPRIM_400000_NS6detail17trampoline_kernelINS0_14default_configENS1_35adjacent_difference_config_selectorILb0EsEEZNS1_24adjacent_difference_implIS3_Lb0ELb0EPsS7_N6thrust23THRUST_200600_302600_NS4plusIsEEEE10hipError_tPvRmT2_T3_mT4_P12ihipStream_tbEUlT_E_NS1_11comp_targetILNS1_3genE9ELNS1_11target_archE1100ELNS1_3gpuE3ELNS1_3repE0EEENS1_30default_config_static_selectorELNS0_4arch9wavefront6targetE0EEEvT1_,comdat
	.protected	_ZN7rocprim17ROCPRIM_400000_NS6detail17trampoline_kernelINS0_14default_configENS1_35adjacent_difference_config_selectorILb0EsEEZNS1_24adjacent_difference_implIS3_Lb0ELb0EPsS7_N6thrust23THRUST_200600_302600_NS4plusIsEEEE10hipError_tPvRmT2_T3_mT4_P12ihipStream_tbEUlT_E_NS1_11comp_targetILNS1_3genE9ELNS1_11target_archE1100ELNS1_3gpuE3ELNS1_3repE0EEENS1_30default_config_static_selectorELNS0_4arch9wavefront6targetE0EEEvT1_ ; -- Begin function _ZN7rocprim17ROCPRIM_400000_NS6detail17trampoline_kernelINS0_14default_configENS1_35adjacent_difference_config_selectorILb0EsEEZNS1_24adjacent_difference_implIS3_Lb0ELb0EPsS7_N6thrust23THRUST_200600_302600_NS4plusIsEEEE10hipError_tPvRmT2_T3_mT4_P12ihipStream_tbEUlT_E_NS1_11comp_targetILNS1_3genE9ELNS1_11target_archE1100ELNS1_3gpuE3ELNS1_3repE0EEENS1_30default_config_static_selectorELNS0_4arch9wavefront6targetE0EEEvT1_
	.globl	_ZN7rocprim17ROCPRIM_400000_NS6detail17trampoline_kernelINS0_14default_configENS1_35adjacent_difference_config_selectorILb0EsEEZNS1_24adjacent_difference_implIS3_Lb0ELb0EPsS7_N6thrust23THRUST_200600_302600_NS4plusIsEEEE10hipError_tPvRmT2_T3_mT4_P12ihipStream_tbEUlT_E_NS1_11comp_targetILNS1_3genE9ELNS1_11target_archE1100ELNS1_3gpuE3ELNS1_3repE0EEENS1_30default_config_static_selectorELNS0_4arch9wavefront6targetE0EEEvT1_
	.p2align	8
	.type	_ZN7rocprim17ROCPRIM_400000_NS6detail17trampoline_kernelINS0_14default_configENS1_35adjacent_difference_config_selectorILb0EsEEZNS1_24adjacent_difference_implIS3_Lb0ELb0EPsS7_N6thrust23THRUST_200600_302600_NS4plusIsEEEE10hipError_tPvRmT2_T3_mT4_P12ihipStream_tbEUlT_E_NS1_11comp_targetILNS1_3genE9ELNS1_11target_archE1100ELNS1_3gpuE3ELNS1_3repE0EEENS1_30default_config_static_selectorELNS0_4arch9wavefront6targetE0EEEvT1_,@function
_ZN7rocprim17ROCPRIM_400000_NS6detail17trampoline_kernelINS0_14default_configENS1_35adjacent_difference_config_selectorILb0EsEEZNS1_24adjacent_difference_implIS3_Lb0ELb0EPsS7_N6thrust23THRUST_200600_302600_NS4plusIsEEEE10hipError_tPvRmT2_T3_mT4_P12ihipStream_tbEUlT_E_NS1_11comp_targetILNS1_3genE9ELNS1_11target_archE1100ELNS1_3gpuE3ELNS1_3repE0EEENS1_30default_config_static_selectorELNS0_4arch9wavefront6targetE0EEEvT1_: ; @_ZN7rocprim17ROCPRIM_400000_NS6detail17trampoline_kernelINS0_14default_configENS1_35adjacent_difference_config_selectorILb0EsEEZNS1_24adjacent_difference_implIS3_Lb0ELb0EPsS7_N6thrust23THRUST_200600_302600_NS4plusIsEEEE10hipError_tPvRmT2_T3_mT4_P12ihipStream_tbEUlT_E_NS1_11comp_targetILNS1_3genE9ELNS1_11target_archE1100ELNS1_3gpuE3ELNS1_3repE0EEENS1_30default_config_static_selectorELNS0_4arch9wavefront6targetE0EEEvT1_
; %bb.0:
	s_load_b256 s[4:11], s[0:1], 0x0
	s_waitcnt lgkmcnt(0)
	s_lshl_b64 s[6:7], s[6:7], 1
	s_delay_alu instid0(SALU_CYCLE_1)
	s_add_u32 s17, s4, s6
	s_addc_u32 s18, s5, s7
	s_add_u32 s2, 0, 0x45249
	s_addc_u32 s3, 0, 0
	;; [unrolled: 2-line block ×3, first 2 shown]
	s_addc_u32 s3, 0, 0
	s_add_u32 s2, s2, 0
	s_addc_u32 s3, 0, s3
	v_add_co_u32 v1, s2, 0x92492040, s2
	s_delay_alu instid0(VALU_DEP_1) | instskip(SKIP_1) | instid1(VALU_DEP_1)
	s_cmp_lg_u32 s2, 0
	s_addc_u32 s2, s3, 0x924924
	v_readfirstlane_b32 s3, v1
	s_mul_i32 s5, s10, s2
	s_mul_hi_u32 s4, s10, s2
	s_mul_hi_u32 s12, s11, s2
	s_mul_i32 s2, s11, s2
	s_mul_hi_u32 s13, s10, s3
	s_mul_hi_u32 s14, s11, s3
	s_mul_i32 s3, s11, s3
	s_add_u32 s5, s13, s5
	s_addc_u32 s4, 0, s4
	s_add_u32 s3, s5, s3
	s_addc_u32 s3, s4, s14
	s_addc_u32 s4, s12, 0
	s_add_u32 s5, s3, s2
	s_addc_u32 s4, 0, s4
	s_mul_i32 s3, s5, 0x1c0
	s_add_u32 s2, s5, 1
	v_sub_co_u32 v1, s3, s10, s3
	s_mul_hi_u32 s12, s5, 0x1c0
	s_addc_u32 s13, s4, 0
	s_mul_i32 s14, s4, 0x1c0
	s_delay_alu instid0(VALU_DEP_1)
	v_subrev_co_u32 v2, s16, 0x1c0, v1
	s_add_u32 s19, s5, 2
	s_addc_u32 s20, s4, 0
	s_add_i32 s12, s12, s14
	s_cmp_lg_u32 s3, 0
	v_readfirstlane_b32 s3, v2
	s_subb_u32 s12, s11, s12
	s_cmp_lg_u32 s16, 0
	s_subb_u32 s14, s12, 0
	s_delay_alu instid0(VALU_DEP_1) | instskip(SKIP_4) | instid1(SALU_CYCLE_1)
	s_cmpk_gt_u32 s3, 0x1bf
	s_cselect_b32 s3, -1, 0
	s_cmp_eq_u32 s14, 0
	v_readfirstlane_b32 s14, v1
	s_cselect_b32 s3, s3, -1
	s_cmp_lg_u32 s3, 0
	s_cselect_b32 s16, s19, s2
	s_cselect_b32 s13, s20, s13
	s_cmpk_gt_u32 s14, 0x1bf
	s_mov_b32 s14, -1
	s_cselect_b32 s2, -1, 0
	s_cmp_eq_u32 s12, 0
	s_cselect_b32 s2, s2, -1
	s_delay_alu instid0(SALU_CYCLE_1)
	s_cmp_lg_u32 s2, 0
	s_load_b64 s[2:3], s[0:1], 0x30
	s_cselect_b32 s4, s13, s4
	s_cselect_b32 s5, s16, s5
	s_mul_i32 s0, s4, 0x1c0
	s_mul_hi_u32 s1, s5, 0x1c0
	s_mul_i32 s12, s5, 0x1c0
	s_add_i32 s1, s1, s0
	s_sub_u32 s0, s10, s12
	s_subb_u32 s1, s11, s1
	s_delay_alu instid0(SALU_CYCLE_1) | instskip(SKIP_1) | instid1(SALU_CYCLE_1)
	s_cmp_lg_u64 s[0:1], 0
	s_cselect_b32 s0, -1, 0
	v_cndmask_b32_e64 v1, 0, 1, s0
	s_delay_alu instid0(VALU_DEP_1) | instskip(NEXT) | instid1(VALU_DEP_1)
	v_readfirstlane_b32 s0, v1
	s_add_u32 s0, s5, s0
	s_addc_u32 s1, s4, 0
	s_waitcnt lgkmcnt(0)
	s_add_u32 s4, s2, s15
	s_addc_u32 s5, s3, 0
	s_add_u32 s12, s0, -1
	s_addc_u32 s13, s1, -1
	s_mul_i32 s2, s15, 0x1c0
	v_cmp_ge_u64_e64 s16, s[4:5], s[12:13]
	s_mov_b32 s3, 0
	s_mul_i32 s11, s12, 0xfffffe40
	s_delay_alu instid0(VALU_DEP_1)
	s_and_b32 vcc_lo, exec_lo, s16
	s_cbranch_vccz .LBB389_16
; %bb.1:
	s_lshl_b64 s[14:15], s[2:3], 1
	s_add_i32 s19, s11, s10
	s_add_u32 s14, s17, s14
	s_addc_u32 s15, s18, s15
	s_mov_b32 s3, exec_lo
                                        ; implicit-def: $vgpr1_vgpr2_vgpr3_vgpr4
	v_cmpx_gt_u32_e64 s19, v0
	s_cbranch_execz .LBB389_3
; %bb.2:
	v_lshlrev_b32_e32 v1, 1, v0
	global_load_d16_b16 v1, v1, s[14:15]
.LBB389_3:
	s_or_b32 exec_lo, exec_lo, s3
	v_or_b32_e32 v5, 64, v0
	s_mov_b32 s3, exec_lo
	s_delay_alu instid0(VALU_DEP_1)
	v_cmpx_gt_u32_e64 s19, v5
	s_cbranch_execz .LBB389_5
; %bb.4:
	v_lshlrev_b32_e32 v5, 1, v0
	global_load_d16_hi_b16 v1, v5, s[14:15] offset:128
.LBB389_5:
	s_or_b32 exec_lo, exec_lo, s3
	v_or_b32_e32 v5, 0x80, v0
	s_mov_b32 s3, exec_lo
	s_delay_alu instid0(VALU_DEP_1)
	v_cmpx_gt_u32_e64 s19, v5
	s_cbranch_execz .LBB389_7
; %bb.6:
	v_lshlrev_b32_e32 v5, 1, v0
	global_load_d16_b16 v2, v5, s[14:15] offset:256
.LBB389_7:
	s_or_b32 exec_lo, exec_lo, s3
	v_or_b32_e32 v5, 0xc0, v0
	s_mov_b32 s3, exec_lo
	s_delay_alu instid0(VALU_DEP_1)
	v_cmpx_gt_u32_e64 s19, v5
	s_cbranch_execz .LBB389_9
; %bb.8:
	v_lshlrev_b32_e32 v5, 1, v0
	global_load_d16_hi_b16 v2, v5, s[14:15] offset:384
.LBB389_9:
	s_or_b32 exec_lo, exec_lo, s3
	v_or_b32_e32 v5, 0x100, v0
	s_mov_b32 s3, exec_lo
	s_delay_alu instid0(VALU_DEP_1)
	v_cmpx_gt_u32_e64 s19, v5
	s_cbranch_execz .LBB389_11
; %bb.10:
	v_lshlrev_b32_e32 v5, 1, v0
	global_load_d16_b16 v3, v5, s[14:15] offset:512
.LBB389_11:
	;; [unrolled: 20-line block ×3, first 2 shown]
	s_or_b32 exec_lo, exec_lo, s3
	v_lshlrev_b32_e32 v5, 1, v0
	s_mov_b32 s14, 0
	s_waitcnt vmcnt(0)
	ds_store_b16 v5, v1
	ds_store_b16_d16_hi v5, v1 offset:128
	ds_store_b16 v5, v2 offset:256
	ds_store_b16_d16_hi v5, v2 offset:384
	ds_store_b16 v5, v3 offset:512
	;; [unrolled: 2-line block ×3, first 2 shown]
	s_waitcnt lgkmcnt(0)
	s_barrier
.LBB389_16:
	v_lshlrev_b32_e32 v8, 1, v0
	s_and_b32 vcc_lo, exec_lo, s14
	s_cbranch_vccz .LBB389_18
; %bb.17:
	s_mov_b32 s3, 0
	s_delay_alu instid0(SALU_CYCLE_1) | instskip(NEXT) | instid1(SALU_CYCLE_1)
	s_lshl_b64 s[14:15], s[2:3], 1
	s_add_u32 s14, s17, s14
	s_addc_u32 s15, s18, s15
	s_clause 0x6
	global_load_u16 v1, v8, s[14:15]
	global_load_u16 v2, v8, s[14:15] offset:128
	global_load_u16 v3, v8, s[14:15] offset:256
	;; [unrolled: 1-line block ×6, first 2 shown]
	s_waitcnt vmcnt(6)
	ds_store_b16 v8, v1
	s_waitcnt vmcnt(5)
	ds_store_b16 v8, v2 offset:128
	s_waitcnt vmcnt(4)
	ds_store_b16 v8, v3 offset:256
	;; [unrolled: 2-line block ×6, first 2 shown]
	s_waitcnt lgkmcnt(0)
	s_barrier
.LBB389_18:
	v_mul_u32_u24_e32 v1, 7, v0
	buffer_gl0_inv
	s_cmp_eq_u64 s[4:5], 0
	v_lshlrev_b32_e32 v1, 1, v1
	ds_load_b96 v[5:7], v1
	ds_load_u16 v11, v1 offset:12
	s_waitcnt lgkmcnt(0)
	s_barrier
	buffer_gl0_inv
	v_lshrrev_b32_e32 v10, 16, v5
	v_lshrrev_b32_e32 v12, 16, v6
	;; [unrolled: 1-line block ×3, first 2 shown]
	s_cbranch_scc1 .LBB389_23
; %bb.19:
	s_mov_b32 s3, 0
	v_mov_b32_e32 v1, 0
	s_lshl_b64 s[14:15], s[2:3], 1
	s_delay_alu instid0(SALU_CYCLE_1)
	s_add_u32 s14, s17, s14
	s_addc_u32 s15, s18, s15
	s_cmp_eq_u64 s[4:5], s[12:13]
	global_load_u16 v15, v1, s[14:15] offset:-2
	s_cbranch_scc1 .LBB389_24
; %bb.20:
	v_add_nc_u16 v3, v13, v7
	v_add_nc_u16 v4, v7, v12
	;; [unrolled: 1-line block ×5, first 2 shown]
	s_waitcnt vmcnt(0)
	v_mov_b32_e32 v14, v15
	s_mov_b32 s3, exec_lo
	ds_store_b16 v8, v11
	s_waitcnt lgkmcnt(0)
	s_barrier
	buffer_gl0_inv
	v_cmpx_ne_u32_e32 0, v0
	s_cbranch_execz .LBB389_22
; %bb.21:
	v_add_nc_u32_e32 v9, -2, v8
	ds_load_u16 v14, v9
.LBB389_22:
	s_or_b32 exec_lo, exec_lo, s3
	v_add_nc_u16 v9, v11, v13
	v_lshlrev_b32_e32 v1, 16, v1
	v_perm_b32 v2, v2, v16, 0x5040100
	v_perm_b32 v3, v3, v4, 0x5040100
	s_cbranch_execz .LBB389_25
	s_branch .LBB389_28
.LBB389_23:
	s_mov_b32 s3, 0
                                        ; implicit-def: $vgpr9
                                        ; implicit-def: $vgpr14
                                        ; implicit-def: $vgpr1_vgpr2_vgpr3_vgpr4
	s_branch .LBB389_29
.LBB389_24:
                                        ; implicit-def: $vgpr9
                                        ; implicit-def: $vgpr14
                                        ; implicit-def: $vgpr1_vgpr2_vgpr3_vgpr4
.LBB389_25:
	v_mul_u32_u24_e32 v4, 7, v0
	s_mov_b32 s3, exec_lo
	ds_store_b16 v8, v11
	s_waitcnt vmcnt(0) lgkmcnt(0)
	s_barrier
	buffer_gl0_inv
	v_cmpx_ne_u32_e32 0, v0
	s_cbranch_execz .LBB389_27
; %bb.26:
	v_add_nc_u32_e32 v1, -2, v8
	ds_load_u16 v15, v1
.LBB389_27:
	s_or_b32 exec_lo, exec_lo, s3
	v_add_nc_u16 v3, v11, v13
	v_add_nc_u32_e32 v2, 6, v4
	s_mul_i32 s3, s4, 0xfffffe40
	v_add_nc_u16 v1, v13, v7
	s_add_i32 s3, s3, s10
	v_lshlrev_b32_e32 v16, 16, v13
	v_cmp_gt_u32_e32 vcc_lo, s3, v2
	v_add_nc_u16 v2, v12, v6
	v_lshlrev_b32_e32 v21, 16, v10
	v_add_nc_u16 v17, v7, v12
	v_dual_cndmask_b32 v9, v11, v3 :: v_dual_add_nc_u32 v20, 1, v4
	s_delay_alu instid0(VALU_DEP_4) | instskip(SKIP_3) | instid1(VALU_DEP_2)
	v_lshlrev_b32_e32 v2, 16, v2
	v_lshlrev_b32_e32 v1, 16, v1
	v_add_nc_u32_e32 v14, 5, v4
	v_add_nc_u32_e32 v3, 3, v4
	v_cmp_gt_u32_e32 vcc_lo, s3, v14
	s_delay_alu instid0(VALU_DEP_4) | instskip(NEXT) | instid1(VALU_DEP_3)
	v_dual_cndmask_b32 v1, v16, v1 :: v_dual_add_nc_u32 v16, 4, v4
	v_cmp_gt_u32_e32 vcc_lo, s3, v3
	v_add_nc_u16 v3, v6, v10
	s_delay_alu instid0(VALU_DEP_3) | instskip(SKIP_3) | instid1(VALU_DEP_2)
	v_bfi_b32 v18, 0xffff, v7, v1
	v_bfi_b32 v1, 0xffff, v17, v1
	v_lshlrev_b32_e32 v14, 16, v12
	v_add_nc_u16 v17, v10, v5
	v_cndmask_b32_e32 v2, v14, v2, vcc_lo
	v_add_nc_u32_e32 v14, 2, v4
	v_cmp_gt_u32_e32 vcc_lo, s3, v16
	s_delay_alu instid0(VALU_DEP_4) | instskip(NEXT) | instid1(VALU_DEP_4)
	v_lshlrev_b32_e32 v17, 16, v17
	v_bfi_b32 v19, 0xffff, v6, v2
	v_bfi_b32 v2, 0xffff, v3, v2
	v_cndmask_b32_e32 v3, v18, v1, vcc_lo
	v_cmp_gt_u32_e32 vcc_lo, s3, v14
	s_delay_alu instid0(VALU_DEP_3)
	v_cndmask_b32_e32 v2, v19, v2, vcc_lo
	v_cmp_gt_u32_e32 vcc_lo, s3, v20
	v_cndmask_b32_e32 v1, v21, v17, vcc_lo
	v_cmp_gt_u32_e32 vcc_lo, s3, v4
	s_waitcnt lgkmcnt(0)
	v_cndmask_b32_e32 v14, 0, v15, vcc_lo
.LBB389_28:
	s_mov_b32 s3, -1
	s_cbranch_execnz .LBB389_37
.LBB389_29:
	s_delay_alu instid0(VALU_DEP_1)
	v_add_nc_u16 v9, v11, v13
	v_add_nc_u16 v19, v13, v7
	v_add_nc_u16 v18, v7, v12
	v_add_nc_u16 v17, v12, v6
	s_waitcnt vmcnt(0)
	v_add_nc_u16 v15, v6, v10
	v_add_nc_u16 v16, v10, v5
	v_cmp_ne_u32_e32 vcc_lo, 0, v0
	s_cmp_lg_u64 s[0:1], 1
	s_cbranch_scc0 .LBB389_33
; %bb.30:
	v_perm_b32 v3, v19, v18, 0x5040100
	v_perm_b32 v2, v17, v15, 0x5040100
	;; [unrolled: 1-line block ×3, first 2 shown]
	s_mov_b32 s0, 0
	ds_store_b16 v8, v11
	s_waitcnt lgkmcnt(0)
	s_barrier
	buffer_gl0_inv
                                        ; implicit-def: $vgpr14
	s_and_saveexec_b32 s1, vcc_lo
	s_cbranch_execz .LBB389_32
; %bb.31:
	v_add_nc_u32_e32 v4, -2, v8
	s_or_b32 s3, s3, exec_lo
	ds_load_u16 v14, v4
.LBB389_32:
	s_or_b32 exec_lo, exec_lo, s1
	s_delay_alu instid0(SALU_CYCLE_1)
	s_and_b32 vcc_lo, exec_lo, s0
	s_cbranch_vccnz .LBB389_34
	s_branch .LBB389_37
.LBB389_33:
                                        ; implicit-def: $vgpr14
                                        ; implicit-def: $vgpr1_vgpr2_vgpr3_vgpr4
	s_cbranch_execz .LBB389_37
.LBB389_34:
	v_mad_u32_u24 v1, v0, 7, 5
	v_lshlrev_b32_e32 v3, 16, v19
	v_lshlrev_b32_e32 v12, 16, v12
	s_waitcnt lgkmcnt(0)
	v_lshlrev_b32_e32 v14, 16, v17
	v_lshlrev_b32_e32 v2, 16, v13
	v_cmp_gt_u32_e32 vcc_lo, s10, v1
	v_mad_u32_u24 v4, v0, 7, 4
	v_mad_u32_u24 v13, v0, 7, 3
	ds_store_b16 v8, v11
	s_waitcnt lgkmcnt(0)
	v_cndmask_b32_e32 v1, v2, v3, vcc_lo
	v_mad_u32_u24 v3, v0, 7, 6
	v_mul_u32_u24_e32 v2, 7, v0
	s_barrier
	buffer_gl0_inv
	v_bfi_b32 v7, 0xffff, v7, v1
	v_cmp_gt_u32_e32 vcc_lo, s10, v3
	v_bfi_b32 v1, 0xffff, v18, v1
	v_cmp_gt_u32_e64 s0, s10, v2
	v_cndmask_b32_e32 v9, v11, v9, vcc_lo
	v_cmp_gt_u32_e32 vcc_lo, s10, v4
	v_mad_u32_u24 v4, v0, 7, 1
	v_mad_u32_u24 v11, v0, 7, 2
	v_cndmask_b32_e32 v3, v7, v1, vcc_lo
	v_cmp_gt_u32_e32 vcc_lo, s10, v13
	v_lshlrev_b32_e32 v7, 16, v10
	v_lshlrev_b32_e32 v10, 16, v16
	v_cmp_gt_u32_e64 s1, s10, v11
	v_cndmask_b32_e32 v1, v12, v14, vcc_lo
	v_cmp_gt_u32_e32 vcc_lo, s10, v4
                                        ; implicit-def: $vgpr14
	s_delay_alu instid0(VALU_DEP_2) | instskip(SKIP_3) | instid1(VALU_DEP_3)
	v_bfi_b32 v6, 0xffff, v6, v1
	v_bfi_b32 v1, 0xffff, v15, v1
	v_cndmask_b32_e32 v4, v7, v10, vcc_lo
	v_cmp_ne_u32_e32 vcc_lo, 0, v0
	v_cndmask_b32_e64 v2, v6, v1, s1
	s_delay_alu instid0(VALU_DEP_3) | instskip(SKIP_1) | instid1(SALU_CYCLE_1)
	v_bfi_b32 v1, 0xffff, v5, v4
	s_and_b32 s1, vcc_lo, s0
	s_and_saveexec_b32 s0, s1
	s_cbranch_execz .LBB389_36
; %bb.35:
	v_add_nc_u32_e32 v4, -2, v8
	s_or_b32 s3, s3, exec_lo
	ds_load_u16 v14, v4
.LBB389_36:
	s_or_b32 exec_lo, exec_lo, s0
.LBB389_37:
	s_and_saveexec_b32 s0, s3
	s_cbranch_execz .LBB389_39
; %bb.38:
	s_waitcnt lgkmcnt(0)
	v_add_nc_u16 v4, v14, v5
	s_delay_alu instid0(VALU_DEP_1)
	v_bfi_b32 v1, 0xffff, v4, v1
.LBB389_39:
	s_or_b32 exec_lo, exec_lo, s0
	v_mul_u32_u24_e32 v6, 14, v0
	v_mul_i32_i24_e32 v7, -12, v0
	s_add_u32 s0, s8, s6
	s_addc_u32 s1, s9, s7
	s_and_b32 vcc_lo, exec_lo, s16
	s_waitcnt vmcnt(0) lgkmcnt(0)
	s_barrier
	buffer_gl0_inv
	s_cbranch_vccz .LBB389_53
; %bb.40:
	v_mad_u32_u24 v4, v0, 14, v7
	ds_store_b96 v6, v[1:3]
	ds_store_b16 v6, v9 offset:12
	s_waitcnt lgkmcnt(0)
	s_barrier
	buffer_gl0_inv
	ds_load_u16 v15, v4 offset:128
	ds_load_u16 v14, v4 offset:256
	;; [unrolled: 1-line block ×6, first 2 shown]
	s_mov_b32 s3, 0
	s_add_i32 s11, s11, s10
	s_lshl_b64 s[4:5], s[2:3], 1
	s_delay_alu instid0(SALU_CYCLE_1) | instskip(SKIP_2) | instid1(VALU_DEP_1)
	s_add_u32 s3, s0, s4
	s_addc_u32 s4, s1, s5
	v_add_co_u32 v4, s3, s3, v8
	v_add_co_ci_u32_e64 v5, null, s4, 0, s3
	s_mov_b32 s3, exec_lo
	v_cmpx_gt_u32_e64 s11, v0
	s_cbranch_execz .LBB389_42
; %bb.41:
	v_add_nc_u32_e32 v16, v6, v7
	ds_load_u16 v16, v16
	s_waitcnt lgkmcnt(0)
	global_store_b16 v[4:5], v16, off
.LBB389_42:
	s_or_b32 exec_lo, exec_lo, s3
	v_or_b32_e32 v16, 64, v0
	s_mov_b32 s3, exec_lo
	s_delay_alu instid0(VALU_DEP_1)
	v_cmpx_gt_u32_e64 s11, v16
	s_cbranch_execz .LBB389_44
; %bb.43:
	s_waitcnt lgkmcnt(5)
	global_store_b16 v[4:5], v15, off offset:128
.LBB389_44:
	s_or_b32 exec_lo, exec_lo, s3
	s_waitcnt lgkmcnt(5)
	v_or_b32_e32 v15, 0x80, v0
	s_mov_b32 s3, exec_lo
	s_delay_alu instid0(VALU_DEP_1)
	v_cmpx_gt_u32_e64 s11, v15
	s_cbranch_execz .LBB389_46
; %bb.45:
	s_waitcnt lgkmcnt(4)
	global_store_b16 v[4:5], v14, off offset:256
.LBB389_46:
	s_or_b32 exec_lo, exec_lo, s3
	s_waitcnt lgkmcnt(4)
	;; [unrolled: 11-line block ×5, first 2 shown]
	v_or_b32_e32 v11, 0x180, v0
	s_delay_alu instid0(VALU_DEP_1)
	v_cmp_gt_u32_e64 s4, s11, v11
	s_branch .LBB389_55
.LBB389_53:
	s_mov_b32 s4, 0
                                        ; implicit-def: $vgpr10
                                        ; implicit-def: $vgpr4_vgpr5
	s_cbranch_execz .LBB389_55
; %bb.54:
	v_mad_u32_u24 v0, v0, 14, v7
	ds_store_b96 v6, v[1:3]
	ds_store_b16 v6, v9 offset:12
	s_waitcnt lgkmcnt(0)
	s_waitcnt_vscnt null, 0x0
	s_barrier
	buffer_gl0_inv
	ds_load_u16 v1, v0
	ds_load_u16 v2, v0 offset:128
	ds_load_u16 v3, v0 offset:256
	;; [unrolled: 1-line block ×6, first 2 shown]
	s_mov_b32 s3, 0
	s_delay_alu instid0(SALU_CYCLE_1) | instskip(NEXT) | instid1(SALU_CYCLE_1)
	s_lshl_b64 s[2:3], s[2:3], 1
	s_add_u32 s0, s0, s2
	s_addc_u32 s1, s1, s3
	v_add_co_u32 v4, s2, s0, v8
	s_delay_alu instid0(VALU_DEP_1)
	v_add_co_ci_u32_e64 v5, null, s1, 0, s2
	s_or_b32 s4, s4, exec_lo
	s_waitcnt lgkmcnt(6)
	global_store_b16 v8, v1, s[0:1]
	s_waitcnt lgkmcnt(5)
	global_store_b16 v8, v2, s[0:1] offset:128
	s_waitcnt lgkmcnt(4)
	global_store_b16 v8, v3, s[0:1] offset:256
	;; [unrolled: 2-line block ×5, first 2 shown]
.LBB389_55:
	s_delay_alu instid0(VALU_DEP_1)
	s_and_saveexec_b32 s0, s4
	s_cbranch_execnz .LBB389_57
; %bb.56:
	s_nop 0
	s_sendmsg sendmsg(MSG_DEALLOC_VGPRS)
	s_endpgm
.LBB389_57:
	s_waitcnt lgkmcnt(0)
	global_store_b16 v[4:5], v10, off offset:768
	s_nop 0
	s_sendmsg sendmsg(MSG_DEALLOC_VGPRS)
	s_endpgm
	.section	.rodata,"a",@progbits
	.p2align	6, 0x0
	.amdhsa_kernel _ZN7rocprim17ROCPRIM_400000_NS6detail17trampoline_kernelINS0_14default_configENS1_35adjacent_difference_config_selectorILb0EsEEZNS1_24adjacent_difference_implIS3_Lb0ELb0EPsS7_N6thrust23THRUST_200600_302600_NS4plusIsEEEE10hipError_tPvRmT2_T3_mT4_P12ihipStream_tbEUlT_E_NS1_11comp_targetILNS1_3genE9ELNS1_11target_archE1100ELNS1_3gpuE3ELNS1_3repE0EEENS1_30default_config_static_selectorELNS0_4arch9wavefront6targetE0EEEvT1_
		.amdhsa_group_segment_fixed_size 896
		.amdhsa_private_segment_fixed_size 0
		.amdhsa_kernarg_size 56
		.amdhsa_user_sgpr_count 15
		.amdhsa_user_sgpr_dispatch_ptr 0
		.amdhsa_user_sgpr_queue_ptr 0
		.amdhsa_user_sgpr_kernarg_segment_ptr 1
		.amdhsa_user_sgpr_dispatch_id 0
		.amdhsa_user_sgpr_private_segment_size 0
		.amdhsa_wavefront_size32 1
		.amdhsa_uses_dynamic_stack 0
		.amdhsa_enable_private_segment 0
		.amdhsa_system_sgpr_workgroup_id_x 1
		.amdhsa_system_sgpr_workgroup_id_y 0
		.amdhsa_system_sgpr_workgroup_id_z 0
		.amdhsa_system_sgpr_workgroup_info 0
		.amdhsa_system_vgpr_workitem_id 0
		.amdhsa_next_free_vgpr 22
		.amdhsa_next_free_sgpr 21
		.amdhsa_reserve_vcc 1
		.amdhsa_float_round_mode_32 0
		.amdhsa_float_round_mode_16_64 0
		.amdhsa_float_denorm_mode_32 3
		.amdhsa_float_denorm_mode_16_64 3
		.amdhsa_dx10_clamp 1
		.amdhsa_ieee_mode 1
		.amdhsa_fp16_overflow 0
		.amdhsa_workgroup_processor_mode 1
		.amdhsa_memory_ordered 1
		.amdhsa_forward_progress 0
		.amdhsa_shared_vgpr_count 0
		.amdhsa_exception_fp_ieee_invalid_op 0
		.amdhsa_exception_fp_denorm_src 0
		.amdhsa_exception_fp_ieee_div_zero 0
		.amdhsa_exception_fp_ieee_overflow 0
		.amdhsa_exception_fp_ieee_underflow 0
		.amdhsa_exception_fp_ieee_inexact 0
		.amdhsa_exception_int_div_zero 0
	.end_amdhsa_kernel
	.section	.text._ZN7rocprim17ROCPRIM_400000_NS6detail17trampoline_kernelINS0_14default_configENS1_35adjacent_difference_config_selectorILb0EsEEZNS1_24adjacent_difference_implIS3_Lb0ELb0EPsS7_N6thrust23THRUST_200600_302600_NS4plusIsEEEE10hipError_tPvRmT2_T3_mT4_P12ihipStream_tbEUlT_E_NS1_11comp_targetILNS1_3genE9ELNS1_11target_archE1100ELNS1_3gpuE3ELNS1_3repE0EEENS1_30default_config_static_selectorELNS0_4arch9wavefront6targetE0EEEvT1_,"axG",@progbits,_ZN7rocprim17ROCPRIM_400000_NS6detail17trampoline_kernelINS0_14default_configENS1_35adjacent_difference_config_selectorILb0EsEEZNS1_24adjacent_difference_implIS3_Lb0ELb0EPsS7_N6thrust23THRUST_200600_302600_NS4plusIsEEEE10hipError_tPvRmT2_T3_mT4_P12ihipStream_tbEUlT_E_NS1_11comp_targetILNS1_3genE9ELNS1_11target_archE1100ELNS1_3gpuE3ELNS1_3repE0EEENS1_30default_config_static_selectorELNS0_4arch9wavefront6targetE0EEEvT1_,comdat
.Lfunc_end389:
	.size	_ZN7rocprim17ROCPRIM_400000_NS6detail17trampoline_kernelINS0_14default_configENS1_35adjacent_difference_config_selectorILb0EsEEZNS1_24adjacent_difference_implIS3_Lb0ELb0EPsS7_N6thrust23THRUST_200600_302600_NS4plusIsEEEE10hipError_tPvRmT2_T3_mT4_P12ihipStream_tbEUlT_E_NS1_11comp_targetILNS1_3genE9ELNS1_11target_archE1100ELNS1_3gpuE3ELNS1_3repE0EEENS1_30default_config_static_selectorELNS0_4arch9wavefront6targetE0EEEvT1_, .Lfunc_end389-_ZN7rocprim17ROCPRIM_400000_NS6detail17trampoline_kernelINS0_14default_configENS1_35adjacent_difference_config_selectorILb0EsEEZNS1_24adjacent_difference_implIS3_Lb0ELb0EPsS7_N6thrust23THRUST_200600_302600_NS4plusIsEEEE10hipError_tPvRmT2_T3_mT4_P12ihipStream_tbEUlT_E_NS1_11comp_targetILNS1_3genE9ELNS1_11target_archE1100ELNS1_3gpuE3ELNS1_3repE0EEENS1_30default_config_static_selectorELNS0_4arch9wavefront6targetE0EEEvT1_
                                        ; -- End function
	.section	.AMDGPU.csdata,"",@progbits
; Kernel info:
; codeLenInByte = 2820
; NumSgprs: 23
; NumVgprs: 22
; ScratchSize: 0
; MemoryBound: 0
; FloatMode: 240
; IeeeMode: 1
; LDSByteSize: 896 bytes/workgroup (compile time only)
; SGPRBlocks: 2
; VGPRBlocks: 2
; NumSGPRsForWavesPerEU: 23
; NumVGPRsForWavesPerEU: 22
; Occupancy: 16
; WaveLimiterHint : 1
; COMPUTE_PGM_RSRC2:SCRATCH_EN: 0
; COMPUTE_PGM_RSRC2:USER_SGPR: 15
; COMPUTE_PGM_RSRC2:TRAP_HANDLER: 0
; COMPUTE_PGM_RSRC2:TGID_X_EN: 1
; COMPUTE_PGM_RSRC2:TGID_Y_EN: 0
; COMPUTE_PGM_RSRC2:TGID_Z_EN: 0
; COMPUTE_PGM_RSRC2:TIDIG_COMP_CNT: 0
	.section	.text._ZN7rocprim17ROCPRIM_400000_NS6detail17trampoline_kernelINS0_14default_configENS1_35adjacent_difference_config_selectorILb0EsEEZNS1_24adjacent_difference_implIS3_Lb0ELb0EPsS7_N6thrust23THRUST_200600_302600_NS4plusIsEEEE10hipError_tPvRmT2_T3_mT4_P12ihipStream_tbEUlT_E_NS1_11comp_targetILNS1_3genE8ELNS1_11target_archE1030ELNS1_3gpuE2ELNS1_3repE0EEENS1_30default_config_static_selectorELNS0_4arch9wavefront6targetE0EEEvT1_,"axG",@progbits,_ZN7rocprim17ROCPRIM_400000_NS6detail17trampoline_kernelINS0_14default_configENS1_35adjacent_difference_config_selectorILb0EsEEZNS1_24adjacent_difference_implIS3_Lb0ELb0EPsS7_N6thrust23THRUST_200600_302600_NS4plusIsEEEE10hipError_tPvRmT2_T3_mT4_P12ihipStream_tbEUlT_E_NS1_11comp_targetILNS1_3genE8ELNS1_11target_archE1030ELNS1_3gpuE2ELNS1_3repE0EEENS1_30default_config_static_selectorELNS0_4arch9wavefront6targetE0EEEvT1_,comdat
	.protected	_ZN7rocprim17ROCPRIM_400000_NS6detail17trampoline_kernelINS0_14default_configENS1_35adjacent_difference_config_selectorILb0EsEEZNS1_24adjacent_difference_implIS3_Lb0ELb0EPsS7_N6thrust23THRUST_200600_302600_NS4plusIsEEEE10hipError_tPvRmT2_T3_mT4_P12ihipStream_tbEUlT_E_NS1_11comp_targetILNS1_3genE8ELNS1_11target_archE1030ELNS1_3gpuE2ELNS1_3repE0EEENS1_30default_config_static_selectorELNS0_4arch9wavefront6targetE0EEEvT1_ ; -- Begin function _ZN7rocprim17ROCPRIM_400000_NS6detail17trampoline_kernelINS0_14default_configENS1_35adjacent_difference_config_selectorILb0EsEEZNS1_24adjacent_difference_implIS3_Lb0ELb0EPsS7_N6thrust23THRUST_200600_302600_NS4plusIsEEEE10hipError_tPvRmT2_T3_mT4_P12ihipStream_tbEUlT_E_NS1_11comp_targetILNS1_3genE8ELNS1_11target_archE1030ELNS1_3gpuE2ELNS1_3repE0EEENS1_30default_config_static_selectorELNS0_4arch9wavefront6targetE0EEEvT1_
	.globl	_ZN7rocprim17ROCPRIM_400000_NS6detail17trampoline_kernelINS0_14default_configENS1_35adjacent_difference_config_selectorILb0EsEEZNS1_24adjacent_difference_implIS3_Lb0ELb0EPsS7_N6thrust23THRUST_200600_302600_NS4plusIsEEEE10hipError_tPvRmT2_T3_mT4_P12ihipStream_tbEUlT_E_NS1_11comp_targetILNS1_3genE8ELNS1_11target_archE1030ELNS1_3gpuE2ELNS1_3repE0EEENS1_30default_config_static_selectorELNS0_4arch9wavefront6targetE0EEEvT1_
	.p2align	8
	.type	_ZN7rocprim17ROCPRIM_400000_NS6detail17trampoline_kernelINS0_14default_configENS1_35adjacent_difference_config_selectorILb0EsEEZNS1_24adjacent_difference_implIS3_Lb0ELb0EPsS7_N6thrust23THRUST_200600_302600_NS4plusIsEEEE10hipError_tPvRmT2_T3_mT4_P12ihipStream_tbEUlT_E_NS1_11comp_targetILNS1_3genE8ELNS1_11target_archE1030ELNS1_3gpuE2ELNS1_3repE0EEENS1_30default_config_static_selectorELNS0_4arch9wavefront6targetE0EEEvT1_,@function
_ZN7rocprim17ROCPRIM_400000_NS6detail17trampoline_kernelINS0_14default_configENS1_35adjacent_difference_config_selectorILb0EsEEZNS1_24adjacent_difference_implIS3_Lb0ELb0EPsS7_N6thrust23THRUST_200600_302600_NS4plusIsEEEE10hipError_tPvRmT2_T3_mT4_P12ihipStream_tbEUlT_E_NS1_11comp_targetILNS1_3genE8ELNS1_11target_archE1030ELNS1_3gpuE2ELNS1_3repE0EEENS1_30default_config_static_selectorELNS0_4arch9wavefront6targetE0EEEvT1_: ; @_ZN7rocprim17ROCPRIM_400000_NS6detail17trampoline_kernelINS0_14default_configENS1_35adjacent_difference_config_selectorILb0EsEEZNS1_24adjacent_difference_implIS3_Lb0ELb0EPsS7_N6thrust23THRUST_200600_302600_NS4plusIsEEEE10hipError_tPvRmT2_T3_mT4_P12ihipStream_tbEUlT_E_NS1_11comp_targetILNS1_3genE8ELNS1_11target_archE1030ELNS1_3gpuE2ELNS1_3repE0EEENS1_30default_config_static_selectorELNS0_4arch9wavefront6targetE0EEEvT1_
; %bb.0:
	.section	.rodata,"a",@progbits
	.p2align	6, 0x0
	.amdhsa_kernel _ZN7rocprim17ROCPRIM_400000_NS6detail17trampoline_kernelINS0_14default_configENS1_35adjacent_difference_config_selectorILb0EsEEZNS1_24adjacent_difference_implIS3_Lb0ELb0EPsS7_N6thrust23THRUST_200600_302600_NS4plusIsEEEE10hipError_tPvRmT2_T3_mT4_P12ihipStream_tbEUlT_E_NS1_11comp_targetILNS1_3genE8ELNS1_11target_archE1030ELNS1_3gpuE2ELNS1_3repE0EEENS1_30default_config_static_selectorELNS0_4arch9wavefront6targetE0EEEvT1_
		.amdhsa_group_segment_fixed_size 0
		.amdhsa_private_segment_fixed_size 0
		.amdhsa_kernarg_size 56
		.amdhsa_user_sgpr_count 15
		.amdhsa_user_sgpr_dispatch_ptr 0
		.amdhsa_user_sgpr_queue_ptr 0
		.amdhsa_user_sgpr_kernarg_segment_ptr 1
		.amdhsa_user_sgpr_dispatch_id 0
		.amdhsa_user_sgpr_private_segment_size 0
		.amdhsa_wavefront_size32 1
		.amdhsa_uses_dynamic_stack 0
		.amdhsa_enable_private_segment 0
		.amdhsa_system_sgpr_workgroup_id_x 1
		.amdhsa_system_sgpr_workgroup_id_y 0
		.amdhsa_system_sgpr_workgroup_id_z 0
		.amdhsa_system_sgpr_workgroup_info 0
		.amdhsa_system_vgpr_workitem_id 0
		.amdhsa_next_free_vgpr 1
		.amdhsa_next_free_sgpr 1
		.amdhsa_reserve_vcc 0
		.amdhsa_float_round_mode_32 0
		.amdhsa_float_round_mode_16_64 0
		.amdhsa_float_denorm_mode_32 3
		.amdhsa_float_denorm_mode_16_64 3
		.amdhsa_dx10_clamp 1
		.amdhsa_ieee_mode 1
		.amdhsa_fp16_overflow 0
		.amdhsa_workgroup_processor_mode 1
		.amdhsa_memory_ordered 1
		.amdhsa_forward_progress 0
		.amdhsa_shared_vgpr_count 0
		.amdhsa_exception_fp_ieee_invalid_op 0
		.amdhsa_exception_fp_denorm_src 0
		.amdhsa_exception_fp_ieee_div_zero 0
		.amdhsa_exception_fp_ieee_overflow 0
		.amdhsa_exception_fp_ieee_underflow 0
		.amdhsa_exception_fp_ieee_inexact 0
		.amdhsa_exception_int_div_zero 0
	.end_amdhsa_kernel
	.section	.text._ZN7rocprim17ROCPRIM_400000_NS6detail17trampoline_kernelINS0_14default_configENS1_35adjacent_difference_config_selectorILb0EsEEZNS1_24adjacent_difference_implIS3_Lb0ELb0EPsS7_N6thrust23THRUST_200600_302600_NS4plusIsEEEE10hipError_tPvRmT2_T3_mT4_P12ihipStream_tbEUlT_E_NS1_11comp_targetILNS1_3genE8ELNS1_11target_archE1030ELNS1_3gpuE2ELNS1_3repE0EEENS1_30default_config_static_selectorELNS0_4arch9wavefront6targetE0EEEvT1_,"axG",@progbits,_ZN7rocprim17ROCPRIM_400000_NS6detail17trampoline_kernelINS0_14default_configENS1_35adjacent_difference_config_selectorILb0EsEEZNS1_24adjacent_difference_implIS3_Lb0ELb0EPsS7_N6thrust23THRUST_200600_302600_NS4plusIsEEEE10hipError_tPvRmT2_T3_mT4_P12ihipStream_tbEUlT_E_NS1_11comp_targetILNS1_3genE8ELNS1_11target_archE1030ELNS1_3gpuE2ELNS1_3repE0EEENS1_30default_config_static_selectorELNS0_4arch9wavefront6targetE0EEEvT1_,comdat
.Lfunc_end390:
	.size	_ZN7rocprim17ROCPRIM_400000_NS6detail17trampoline_kernelINS0_14default_configENS1_35adjacent_difference_config_selectorILb0EsEEZNS1_24adjacent_difference_implIS3_Lb0ELb0EPsS7_N6thrust23THRUST_200600_302600_NS4plusIsEEEE10hipError_tPvRmT2_T3_mT4_P12ihipStream_tbEUlT_E_NS1_11comp_targetILNS1_3genE8ELNS1_11target_archE1030ELNS1_3gpuE2ELNS1_3repE0EEENS1_30default_config_static_selectorELNS0_4arch9wavefront6targetE0EEEvT1_, .Lfunc_end390-_ZN7rocprim17ROCPRIM_400000_NS6detail17trampoline_kernelINS0_14default_configENS1_35adjacent_difference_config_selectorILb0EsEEZNS1_24adjacent_difference_implIS3_Lb0ELb0EPsS7_N6thrust23THRUST_200600_302600_NS4plusIsEEEE10hipError_tPvRmT2_T3_mT4_P12ihipStream_tbEUlT_E_NS1_11comp_targetILNS1_3genE8ELNS1_11target_archE1030ELNS1_3gpuE2ELNS1_3repE0EEENS1_30default_config_static_selectorELNS0_4arch9wavefront6targetE0EEEvT1_
                                        ; -- End function
	.section	.AMDGPU.csdata,"",@progbits
; Kernel info:
; codeLenInByte = 0
; NumSgprs: 0
; NumVgprs: 0
; ScratchSize: 0
; MemoryBound: 0
; FloatMode: 240
; IeeeMode: 1
; LDSByteSize: 0 bytes/workgroup (compile time only)
; SGPRBlocks: 0
; VGPRBlocks: 0
; NumSGPRsForWavesPerEU: 1
; NumVGPRsForWavesPerEU: 1
; Occupancy: 16
; WaveLimiterHint : 0
; COMPUTE_PGM_RSRC2:SCRATCH_EN: 0
; COMPUTE_PGM_RSRC2:USER_SGPR: 15
; COMPUTE_PGM_RSRC2:TRAP_HANDLER: 0
; COMPUTE_PGM_RSRC2:TGID_X_EN: 1
; COMPUTE_PGM_RSRC2:TGID_Y_EN: 0
; COMPUTE_PGM_RSRC2:TGID_Z_EN: 0
; COMPUTE_PGM_RSRC2:TIDIG_COMP_CNT: 0
	.section	.text._ZN7rocprim17ROCPRIM_400000_NS6detail17trampoline_kernelINS0_14default_configENS1_25transform_config_selectorIsLb0EEEZNS1_14transform_implILb0ES3_S5_NS0_18transform_iteratorINS0_17counting_iteratorImlEEZNS1_24adjacent_difference_implIS3_Lb1ELb0EPsSB_N6thrust23THRUST_200600_302600_NS4plusIsEEEE10hipError_tPvRmT2_T3_mT4_P12ihipStream_tbEUlmE_sEESB_NS0_8identityIvEEEESG_SJ_SK_mSL_SN_bEUlT_E_NS1_11comp_targetILNS1_3genE0ELNS1_11target_archE4294967295ELNS1_3gpuE0ELNS1_3repE0EEENS1_30default_config_static_selectorELNS0_4arch9wavefront6targetE0EEEvT1_,"axG",@progbits,_ZN7rocprim17ROCPRIM_400000_NS6detail17trampoline_kernelINS0_14default_configENS1_25transform_config_selectorIsLb0EEEZNS1_14transform_implILb0ES3_S5_NS0_18transform_iteratorINS0_17counting_iteratorImlEEZNS1_24adjacent_difference_implIS3_Lb1ELb0EPsSB_N6thrust23THRUST_200600_302600_NS4plusIsEEEE10hipError_tPvRmT2_T3_mT4_P12ihipStream_tbEUlmE_sEESB_NS0_8identityIvEEEESG_SJ_SK_mSL_SN_bEUlT_E_NS1_11comp_targetILNS1_3genE0ELNS1_11target_archE4294967295ELNS1_3gpuE0ELNS1_3repE0EEENS1_30default_config_static_selectorELNS0_4arch9wavefront6targetE0EEEvT1_,comdat
	.protected	_ZN7rocprim17ROCPRIM_400000_NS6detail17trampoline_kernelINS0_14default_configENS1_25transform_config_selectorIsLb0EEEZNS1_14transform_implILb0ES3_S5_NS0_18transform_iteratorINS0_17counting_iteratorImlEEZNS1_24adjacent_difference_implIS3_Lb1ELb0EPsSB_N6thrust23THRUST_200600_302600_NS4plusIsEEEE10hipError_tPvRmT2_T3_mT4_P12ihipStream_tbEUlmE_sEESB_NS0_8identityIvEEEESG_SJ_SK_mSL_SN_bEUlT_E_NS1_11comp_targetILNS1_3genE0ELNS1_11target_archE4294967295ELNS1_3gpuE0ELNS1_3repE0EEENS1_30default_config_static_selectorELNS0_4arch9wavefront6targetE0EEEvT1_ ; -- Begin function _ZN7rocprim17ROCPRIM_400000_NS6detail17trampoline_kernelINS0_14default_configENS1_25transform_config_selectorIsLb0EEEZNS1_14transform_implILb0ES3_S5_NS0_18transform_iteratorINS0_17counting_iteratorImlEEZNS1_24adjacent_difference_implIS3_Lb1ELb0EPsSB_N6thrust23THRUST_200600_302600_NS4plusIsEEEE10hipError_tPvRmT2_T3_mT4_P12ihipStream_tbEUlmE_sEESB_NS0_8identityIvEEEESG_SJ_SK_mSL_SN_bEUlT_E_NS1_11comp_targetILNS1_3genE0ELNS1_11target_archE4294967295ELNS1_3gpuE0ELNS1_3repE0EEENS1_30default_config_static_selectorELNS0_4arch9wavefront6targetE0EEEvT1_
	.globl	_ZN7rocprim17ROCPRIM_400000_NS6detail17trampoline_kernelINS0_14default_configENS1_25transform_config_selectorIsLb0EEEZNS1_14transform_implILb0ES3_S5_NS0_18transform_iteratorINS0_17counting_iteratorImlEEZNS1_24adjacent_difference_implIS3_Lb1ELb0EPsSB_N6thrust23THRUST_200600_302600_NS4plusIsEEEE10hipError_tPvRmT2_T3_mT4_P12ihipStream_tbEUlmE_sEESB_NS0_8identityIvEEEESG_SJ_SK_mSL_SN_bEUlT_E_NS1_11comp_targetILNS1_3genE0ELNS1_11target_archE4294967295ELNS1_3gpuE0ELNS1_3repE0EEENS1_30default_config_static_selectorELNS0_4arch9wavefront6targetE0EEEvT1_
	.p2align	8
	.type	_ZN7rocprim17ROCPRIM_400000_NS6detail17trampoline_kernelINS0_14default_configENS1_25transform_config_selectorIsLb0EEEZNS1_14transform_implILb0ES3_S5_NS0_18transform_iteratorINS0_17counting_iteratorImlEEZNS1_24adjacent_difference_implIS3_Lb1ELb0EPsSB_N6thrust23THRUST_200600_302600_NS4plusIsEEEE10hipError_tPvRmT2_T3_mT4_P12ihipStream_tbEUlmE_sEESB_NS0_8identityIvEEEESG_SJ_SK_mSL_SN_bEUlT_E_NS1_11comp_targetILNS1_3genE0ELNS1_11target_archE4294967295ELNS1_3gpuE0ELNS1_3repE0EEENS1_30default_config_static_selectorELNS0_4arch9wavefront6targetE0EEEvT1_,@function
_ZN7rocprim17ROCPRIM_400000_NS6detail17trampoline_kernelINS0_14default_configENS1_25transform_config_selectorIsLb0EEEZNS1_14transform_implILb0ES3_S5_NS0_18transform_iteratorINS0_17counting_iteratorImlEEZNS1_24adjacent_difference_implIS3_Lb1ELb0EPsSB_N6thrust23THRUST_200600_302600_NS4plusIsEEEE10hipError_tPvRmT2_T3_mT4_P12ihipStream_tbEUlmE_sEESB_NS0_8identityIvEEEESG_SJ_SK_mSL_SN_bEUlT_E_NS1_11comp_targetILNS1_3genE0ELNS1_11target_archE4294967295ELNS1_3gpuE0ELNS1_3repE0EEENS1_30default_config_static_selectorELNS0_4arch9wavefront6targetE0EEEvT1_: ; @_ZN7rocprim17ROCPRIM_400000_NS6detail17trampoline_kernelINS0_14default_configENS1_25transform_config_selectorIsLb0EEEZNS1_14transform_implILb0ES3_S5_NS0_18transform_iteratorINS0_17counting_iteratorImlEEZNS1_24adjacent_difference_implIS3_Lb1ELb0EPsSB_N6thrust23THRUST_200600_302600_NS4plusIsEEEE10hipError_tPvRmT2_T3_mT4_P12ihipStream_tbEUlmE_sEESB_NS0_8identityIvEEEESG_SJ_SK_mSL_SN_bEUlT_E_NS1_11comp_targetILNS1_3genE0ELNS1_11target_archE4294967295ELNS1_3gpuE0ELNS1_3repE0EEENS1_30default_config_static_selectorELNS0_4arch9wavefront6targetE0EEEvT1_
; %bb.0:
	.section	.rodata,"a",@progbits
	.p2align	6, 0x0
	.amdhsa_kernel _ZN7rocprim17ROCPRIM_400000_NS6detail17trampoline_kernelINS0_14default_configENS1_25transform_config_selectorIsLb0EEEZNS1_14transform_implILb0ES3_S5_NS0_18transform_iteratorINS0_17counting_iteratorImlEEZNS1_24adjacent_difference_implIS3_Lb1ELb0EPsSB_N6thrust23THRUST_200600_302600_NS4plusIsEEEE10hipError_tPvRmT2_T3_mT4_P12ihipStream_tbEUlmE_sEESB_NS0_8identityIvEEEESG_SJ_SK_mSL_SN_bEUlT_E_NS1_11comp_targetILNS1_3genE0ELNS1_11target_archE4294967295ELNS1_3gpuE0ELNS1_3repE0EEENS1_30default_config_static_selectorELNS0_4arch9wavefront6targetE0EEEvT1_
		.amdhsa_group_segment_fixed_size 0
		.amdhsa_private_segment_fixed_size 0
		.amdhsa_kernarg_size 56
		.amdhsa_user_sgpr_count 15
		.amdhsa_user_sgpr_dispatch_ptr 0
		.amdhsa_user_sgpr_queue_ptr 0
		.amdhsa_user_sgpr_kernarg_segment_ptr 1
		.amdhsa_user_sgpr_dispatch_id 0
		.amdhsa_user_sgpr_private_segment_size 0
		.amdhsa_wavefront_size32 1
		.amdhsa_uses_dynamic_stack 0
		.amdhsa_enable_private_segment 0
		.amdhsa_system_sgpr_workgroup_id_x 1
		.amdhsa_system_sgpr_workgroup_id_y 0
		.amdhsa_system_sgpr_workgroup_id_z 0
		.amdhsa_system_sgpr_workgroup_info 0
		.amdhsa_system_vgpr_workitem_id 0
		.amdhsa_next_free_vgpr 1
		.amdhsa_next_free_sgpr 1
		.amdhsa_reserve_vcc 0
		.amdhsa_float_round_mode_32 0
		.amdhsa_float_round_mode_16_64 0
		.amdhsa_float_denorm_mode_32 3
		.amdhsa_float_denorm_mode_16_64 3
		.amdhsa_dx10_clamp 1
		.amdhsa_ieee_mode 1
		.amdhsa_fp16_overflow 0
		.amdhsa_workgroup_processor_mode 1
		.amdhsa_memory_ordered 1
		.amdhsa_forward_progress 0
		.amdhsa_shared_vgpr_count 0
		.amdhsa_exception_fp_ieee_invalid_op 0
		.amdhsa_exception_fp_denorm_src 0
		.amdhsa_exception_fp_ieee_div_zero 0
		.amdhsa_exception_fp_ieee_overflow 0
		.amdhsa_exception_fp_ieee_underflow 0
		.amdhsa_exception_fp_ieee_inexact 0
		.amdhsa_exception_int_div_zero 0
	.end_amdhsa_kernel
	.section	.text._ZN7rocprim17ROCPRIM_400000_NS6detail17trampoline_kernelINS0_14default_configENS1_25transform_config_selectorIsLb0EEEZNS1_14transform_implILb0ES3_S5_NS0_18transform_iteratorINS0_17counting_iteratorImlEEZNS1_24adjacent_difference_implIS3_Lb1ELb0EPsSB_N6thrust23THRUST_200600_302600_NS4plusIsEEEE10hipError_tPvRmT2_T3_mT4_P12ihipStream_tbEUlmE_sEESB_NS0_8identityIvEEEESG_SJ_SK_mSL_SN_bEUlT_E_NS1_11comp_targetILNS1_3genE0ELNS1_11target_archE4294967295ELNS1_3gpuE0ELNS1_3repE0EEENS1_30default_config_static_selectorELNS0_4arch9wavefront6targetE0EEEvT1_,"axG",@progbits,_ZN7rocprim17ROCPRIM_400000_NS6detail17trampoline_kernelINS0_14default_configENS1_25transform_config_selectorIsLb0EEEZNS1_14transform_implILb0ES3_S5_NS0_18transform_iteratorINS0_17counting_iteratorImlEEZNS1_24adjacent_difference_implIS3_Lb1ELb0EPsSB_N6thrust23THRUST_200600_302600_NS4plusIsEEEE10hipError_tPvRmT2_T3_mT4_P12ihipStream_tbEUlmE_sEESB_NS0_8identityIvEEEESG_SJ_SK_mSL_SN_bEUlT_E_NS1_11comp_targetILNS1_3genE0ELNS1_11target_archE4294967295ELNS1_3gpuE0ELNS1_3repE0EEENS1_30default_config_static_selectorELNS0_4arch9wavefront6targetE0EEEvT1_,comdat
.Lfunc_end391:
	.size	_ZN7rocprim17ROCPRIM_400000_NS6detail17trampoline_kernelINS0_14default_configENS1_25transform_config_selectorIsLb0EEEZNS1_14transform_implILb0ES3_S5_NS0_18transform_iteratorINS0_17counting_iteratorImlEEZNS1_24adjacent_difference_implIS3_Lb1ELb0EPsSB_N6thrust23THRUST_200600_302600_NS4plusIsEEEE10hipError_tPvRmT2_T3_mT4_P12ihipStream_tbEUlmE_sEESB_NS0_8identityIvEEEESG_SJ_SK_mSL_SN_bEUlT_E_NS1_11comp_targetILNS1_3genE0ELNS1_11target_archE4294967295ELNS1_3gpuE0ELNS1_3repE0EEENS1_30default_config_static_selectorELNS0_4arch9wavefront6targetE0EEEvT1_, .Lfunc_end391-_ZN7rocprim17ROCPRIM_400000_NS6detail17trampoline_kernelINS0_14default_configENS1_25transform_config_selectorIsLb0EEEZNS1_14transform_implILb0ES3_S5_NS0_18transform_iteratorINS0_17counting_iteratorImlEEZNS1_24adjacent_difference_implIS3_Lb1ELb0EPsSB_N6thrust23THRUST_200600_302600_NS4plusIsEEEE10hipError_tPvRmT2_T3_mT4_P12ihipStream_tbEUlmE_sEESB_NS0_8identityIvEEEESG_SJ_SK_mSL_SN_bEUlT_E_NS1_11comp_targetILNS1_3genE0ELNS1_11target_archE4294967295ELNS1_3gpuE0ELNS1_3repE0EEENS1_30default_config_static_selectorELNS0_4arch9wavefront6targetE0EEEvT1_
                                        ; -- End function
	.section	.AMDGPU.csdata,"",@progbits
; Kernel info:
; codeLenInByte = 0
; NumSgprs: 0
; NumVgprs: 0
; ScratchSize: 0
; MemoryBound: 0
; FloatMode: 240
; IeeeMode: 1
; LDSByteSize: 0 bytes/workgroup (compile time only)
; SGPRBlocks: 0
; VGPRBlocks: 0
; NumSGPRsForWavesPerEU: 1
; NumVGPRsForWavesPerEU: 1
; Occupancy: 16
; WaveLimiterHint : 0
; COMPUTE_PGM_RSRC2:SCRATCH_EN: 0
; COMPUTE_PGM_RSRC2:USER_SGPR: 15
; COMPUTE_PGM_RSRC2:TRAP_HANDLER: 0
; COMPUTE_PGM_RSRC2:TGID_X_EN: 1
; COMPUTE_PGM_RSRC2:TGID_Y_EN: 0
; COMPUTE_PGM_RSRC2:TGID_Z_EN: 0
; COMPUTE_PGM_RSRC2:TIDIG_COMP_CNT: 0
	.section	.text._ZN7rocprim17ROCPRIM_400000_NS6detail17trampoline_kernelINS0_14default_configENS1_25transform_config_selectorIsLb0EEEZNS1_14transform_implILb0ES3_S5_NS0_18transform_iteratorINS0_17counting_iteratorImlEEZNS1_24adjacent_difference_implIS3_Lb1ELb0EPsSB_N6thrust23THRUST_200600_302600_NS4plusIsEEEE10hipError_tPvRmT2_T3_mT4_P12ihipStream_tbEUlmE_sEESB_NS0_8identityIvEEEESG_SJ_SK_mSL_SN_bEUlT_E_NS1_11comp_targetILNS1_3genE5ELNS1_11target_archE942ELNS1_3gpuE9ELNS1_3repE0EEENS1_30default_config_static_selectorELNS0_4arch9wavefront6targetE0EEEvT1_,"axG",@progbits,_ZN7rocprim17ROCPRIM_400000_NS6detail17trampoline_kernelINS0_14default_configENS1_25transform_config_selectorIsLb0EEEZNS1_14transform_implILb0ES3_S5_NS0_18transform_iteratorINS0_17counting_iteratorImlEEZNS1_24adjacent_difference_implIS3_Lb1ELb0EPsSB_N6thrust23THRUST_200600_302600_NS4plusIsEEEE10hipError_tPvRmT2_T3_mT4_P12ihipStream_tbEUlmE_sEESB_NS0_8identityIvEEEESG_SJ_SK_mSL_SN_bEUlT_E_NS1_11comp_targetILNS1_3genE5ELNS1_11target_archE942ELNS1_3gpuE9ELNS1_3repE0EEENS1_30default_config_static_selectorELNS0_4arch9wavefront6targetE0EEEvT1_,comdat
	.protected	_ZN7rocprim17ROCPRIM_400000_NS6detail17trampoline_kernelINS0_14default_configENS1_25transform_config_selectorIsLb0EEEZNS1_14transform_implILb0ES3_S5_NS0_18transform_iteratorINS0_17counting_iteratorImlEEZNS1_24adjacent_difference_implIS3_Lb1ELb0EPsSB_N6thrust23THRUST_200600_302600_NS4plusIsEEEE10hipError_tPvRmT2_T3_mT4_P12ihipStream_tbEUlmE_sEESB_NS0_8identityIvEEEESG_SJ_SK_mSL_SN_bEUlT_E_NS1_11comp_targetILNS1_3genE5ELNS1_11target_archE942ELNS1_3gpuE9ELNS1_3repE0EEENS1_30default_config_static_selectorELNS0_4arch9wavefront6targetE0EEEvT1_ ; -- Begin function _ZN7rocprim17ROCPRIM_400000_NS6detail17trampoline_kernelINS0_14default_configENS1_25transform_config_selectorIsLb0EEEZNS1_14transform_implILb0ES3_S5_NS0_18transform_iteratorINS0_17counting_iteratorImlEEZNS1_24adjacent_difference_implIS3_Lb1ELb0EPsSB_N6thrust23THRUST_200600_302600_NS4plusIsEEEE10hipError_tPvRmT2_T3_mT4_P12ihipStream_tbEUlmE_sEESB_NS0_8identityIvEEEESG_SJ_SK_mSL_SN_bEUlT_E_NS1_11comp_targetILNS1_3genE5ELNS1_11target_archE942ELNS1_3gpuE9ELNS1_3repE0EEENS1_30default_config_static_selectorELNS0_4arch9wavefront6targetE0EEEvT1_
	.globl	_ZN7rocprim17ROCPRIM_400000_NS6detail17trampoline_kernelINS0_14default_configENS1_25transform_config_selectorIsLb0EEEZNS1_14transform_implILb0ES3_S5_NS0_18transform_iteratorINS0_17counting_iteratorImlEEZNS1_24adjacent_difference_implIS3_Lb1ELb0EPsSB_N6thrust23THRUST_200600_302600_NS4plusIsEEEE10hipError_tPvRmT2_T3_mT4_P12ihipStream_tbEUlmE_sEESB_NS0_8identityIvEEEESG_SJ_SK_mSL_SN_bEUlT_E_NS1_11comp_targetILNS1_3genE5ELNS1_11target_archE942ELNS1_3gpuE9ELNS1_3repE0EEENS1_30default_config_static_selectorELNS0_4arch9wavefront6targetE0EEEvT1_
	.p2align	8
	.type	_ZN7rocprim17ROCPRIM_400000_NS6detail17trampoline_kernelINS0_14default_configENS1_25transform_config_selectorIsLb0EEEZNS1_14transform_implILb0ES3_S5_NS0_18transform_iteratorINS0_17counting_iteratorImlEEZNS1_24adjacent_difference_implIS3_Lb1ELb0EPsSB_N6thrust23THRUST_200600_302600_NS4plusIsEEEE10hipError_tPvRmT2_T3_mT4_P12ihipStream_tbEUlmE_sEESB_NS0_8identityIvEEEESG_SJ_SK_mSL_SN_bEUlT_E_NS1_11comp_targetILNS1_3genE5ELNS1_11target_archE942ELNS1_3gpuE9ELNS1_3repE0EEENS1_30default_config_static_selectorELNS0_4arch9wavefront6targetE0EEEvT1_,@function
_ZN7rocprim17ROCPRIM_400000_NS6detail17trampoline_kernelINS0_14default_configENS1_25transform_config_selectorIsLb0EEEZNS1_14transform_implILb0ES3_S5_NS0_18transform_iteratorINS0_17counting_iteratorImlEEZNS1_24adjacent_difference_implIS3_Lb1ELb0EPsSB_N6thrust23THRUST_200600_302600_NS4plusIsEEEE10hipError_tPvRmT2_T3_mT4_P12ihipStream_tbEUlmE_sEESB_NS0_8identityIvEEEESG_SJ_SK_mSL_SN_bEUlT_E_NS1_11comp_targetILNS1_3genE5ELNS1_11target_archE942ELNS1_3gpuE9ELNS1_3repE0EEENS1_30default_config_static_selectorELNS0_4arch9wavefront6targetE0EEEvT1_: ; @_ZN7rocprim17ROCPRIM_400000_NS6detail17trampoline_kernelINS0_14default_configENS1_25transform_config_selectorIsLb0EEEZNS1_14transform_implILb0ES3_S5_NS0_18transform_iteratorINS0_17counting_iteratorImlEEZNS1_24adjacent_difference_implIS3_Lb1ELb0EPsSB_N6thrust23THRUST_200600_302600_NS4plusIsEEEE10hipError_tPvRmT2_T3_mT4_P12ihipStream_tbEUlmE_sEESB_NS0_8identityIvEEEESG_SJ_SK_mSL_SN_bEUlT_E_NS1_11comp_targetILNS1_3genE5ELNS1_11target_archE942ELNS1_3gpuE9ELNS1_3repE0EEENS1_30default_config_static_selectorELNS0_4arch9wavefront6targetE0EEEvT1_
; %bb.0:
	.section	.rodata,"a",@progbits
	.p2align	6, 0x0
	.amdhsa_kernel _ZN7rocprim17ROCPRIM_400000_NS6detail17trampoline_kernelINS0_14default_configENS1_25transform_config_selectorIsLb0EEEZNS1_14transform_implILb0ES3_S5_NS0_18transform_iteratorINS0_17counting_iteratorImlEEZNS1_24adjacent_difference_implIS3_Lb1ELb0EPsSB_N6thrust23THRUST_200600_302600_NS4plusIsEEEE10hipError_tPvRmT2_T3_mT4_P12ihipStream_tbEUlmE_sEESB_NS0_8identityIvEEEESG_SJ_SK_mSL_SN_bEUlT_E_NS1_11comp_targetILNS1_3genE5ELNS1_11target_archE942ELNS1_3gpuE9ELNS1_3repE0EEENS1_30default_config_static_selectorELNS0_4arch9wavefront6targetE0EEEvT1_
		.amdhsa_group_segment_fixed_size 0
		.amdhsa_private_segment_fixed_size 0
		.amdhsa_kernarg_size 56
		.amdhsa_user_sgpr_count 15
		.amdhsa_user_sgpr_dispatch_ptr 0
		.amdhsa_user_sgpr_queue_ptr 0
		.amdhsa_user_sgpr_kernarg_segment_ptr 1
		.amdhsa_user_sgpr_dispatch_id 0
		.amdhsa_user_sgpr_private_segment_size 0
		.amdhsa_wavefront_size32 1
		.amdhsa_uses_dynamic_stack 0
		.amdhsa_enable_private_segment 0
		.amdhsa_system_sgpr_workgroup_id_x 1
		.amdhsa_system_sgpr_workgroup_id_y 0
		.amdhsa_system_sgpr_workgroup_id_z 0
		.amdhsa_system_sgpr_workgroup_info 0
		.amdhsa_system_vgpr_workitem_id 0
		.amdhsa_next_free_vgpr 1
		.amdhsa_next_free_sgpr 1
		.amdhsa_reserve_vcc 0
		.amdhsa_float_round_mode_32 0
		.amdhsa_float_round_mode_16_64 0
		.amdhsa_float_denorm_mode_32 3
		.amdhsa_float_denorm_mode_16_64 3
		.amdhsa_dx10_clamp 1
		.amdhsa_ieee_mode 1
		.amdhsa_fp16_overflow 0
		.amdhsa_workgroup_processor_mode 1
		.amdhsa_memory_ordered 1
		.amdhsa_forward_progress 0
		.amdhsa_shared_vgpr_count 0
		.amdhsa_exception_fp_ieee_invalid_op 0
		.amdhsa_exception_fp_denorm_src 0
		.amdhsa_exception_fp_ieee_div_zero 0
		.amdhsa_exception_fp_ieee_overflow 0
		.amdhsa_exception_fp_ieee_underflow 0
		.amdhsa_exception_fp_ieee_inexact 0
		.amdhsa_exception_int_div_zero 0
	.end_amdhsa_kernel
	.section	.text._ZN7rocprim17ROCPRIM_400000_NS6detail17trampoline_kernelINS0_14default_configENS1_25transform_config_selectorIsLb0EEEZNS1_14transform_implILb0ES3_S5_NS0_18transform_iteratorINS0_17counting_iteratorImlEEZNS1_24adjacent_difference_implIS3_Lb1ELb0EPsSB_N6thrust23THRUST_200600_302600_NS4plusIsEEEE10hipError_tPvRmT2_T3_mT4_P12ihipStream_tbEUlmE_sEESB_NS0_8identityIvEEEESG_SJ_SK_mSL_SN_bEUlT_E_NS1_11comp_targetILNS1_3genE5ELNS1_11target_archE942ELNS1_3gpuE9ELNS1_3repE0EEENS1_30default_config_static_selectorELNS0_4arch9wavefront6targetE0EEEvT1_,"axG",@progbits,_ZN7rocprim17ROCPRIM_400000_NS6detail17trampoline_kernelINS0_14default_configENS1_25transform_config_selectorIsLb0EEEZNS1_14transform_implILb0ES3_S5_NS0_18transform_iteratorINS0_17counting_iteratorImlEEZNS1_24adjacent_difference_implIS3_Lb1ELb0EPsSB_N6thrust23THRUST_200600_302600_NS4plusIsEEEE10hipError_tPvRmT2_T3_mT4_P12ihipStream_tbEUlmE_sEESB_NS0_8identityIvEEEESG_SJ_SK_mSL_SN_bEUlT_E_NS1_11comp_targetILNS1_3genE5ELNS1_11target_archE942ELNS1_3gpuE9ELNS1_3repE0EEENS1_30default_config_static_selectorELNS0_4arch9wavefront6targetE0EEEvT1_,comdat
.Lfunc_end392:
	.size	_ZN7rocprim17ROCPRIM_400000_NS6detail17trampoline_kernelINS0_14default_configENS1_25transform_config_selectorIsLb0EEEZNS1_14transform_implILb0ES3_S5_NS0_18transform_iteratorINS0_17counting_iteratorImlEEZNS1_24adjacent_difference_implIS3_Lb1ELb0EPsSB_N6thrust23THRUST_200600_302600_NS4plusIsEEEE10hipError_tPvRmT2_T3_mT4_P12ihipStream_tbEUlmE_sEESB_NS0_8identityIvEEEESG_SJ_SK_mSL_SN_bEUlT_E_NS1_11comp_targetILNS1_3genE5ELNS1_11target_archE942ELNS1_3gpuE9ELNS1_3repE0EEENS1_30default_config_static_selectorELNS0_4arch9wavefront6targetE0EEEvT1_, .Lfunc_end392-_ZN7rocprim17ROCPRIM_400000_NS6detail17trampoline_kernelINS0_14default_configENS1_25transform_config_selectorIsLb0EEEZNS1_14transform_implILb0ES3_S5_NS0_18transform_iteratorINS0_17counting_iteratorImlEEZNS1_24adjacent_difference_implIS3_Lb1ELb0EPsSB_N6thrust23THRUST_200600_302600_NS4plusIsEEEE10hipError_tPvRmT2_T3_mT4_P12ihipStream_tbEUlmE_sEESB_NS0_8identityIvEEEESG_SJ_SK_mSL_SN_bEUlT_E_NS1_11comp_targetILNS1_3genE5ELNS1_11target_archE942ELNS1_3gpuE9ELNS1_3repE0EEENS1_30default_config_static_selectorELNS0_4arch9wavefront6targetE0EEEvT1_
                                        ; -- End function
	.section	.AMDGPU.csdata,"",@progbits
; Kernel info:
; codeLenInByte = 0
; NumSgprs: 0
; NumVgprs: 0
; ScratchSize: 0
; MemoryBound: 0
; FloatMode: 240
; IeeeMode: 1
; LDSByteSize: 0 bytes/workgroup (compile time only)
; SGPRBlocks: 0
; VGPRBlocks: 0
; NumSGPRsForWavesPerEU: 1
; NumVGPRsForWavesPerEU: 1
; Occupancy: 16
; WaveLimiterHint : 0
; COMPUTE_PGM_RSRC2:SCRATCH_EN: 0
; COMPUTE_PGM_RSRC2:USER_SGPR: 15
; COMPUTE_PGM_RSRC2:TRAP_HANDLER: 0
; COMPUTE_PGM_RSRC2:TGID_X_EN: 1
; COMPUTE_PGM_RSRC2:TGID_Y_EN: 0
; COMPUTE_PGM_RSRC2:TGID_Z_EN: 0
; COMPUTE_PGM_RSRC2:TIDIG_COMP_CNT: 0
	.section	.text._ZN7rocprim17ROCPRIM_400000_NS6detail17trampoline_kernelINS0_14default_configENS1_25transform_config_selectorIsLb0EEEZNS1_14transform_implILb0ES3_S5_NS0_18transform_iteratorINS0_17counting_iteratorImlEEZNS1_24adjacent_difference_implIS3_Lb1ELb0EPsSB_N6thrust23THRUST_200600_302600_NS4plusIsEEEE10hipError_tPvRmT2_T3_mT4_P12ihipStream_tbEUlmE_sEESB_NS0_8identityIvEEEESG_SJ_SK_mSL_SN_bEUlT_E_NS1_11comp_targetILNS1_3genE4ELNS1_11target_archE910ELNS1_3gpuE8ELNS1_3repE0EEENS1_30default_config_static_selectorELNS0_4arch9wavefront6targetE0EEEvT1_,"axG",@progbits,_ZN7rocprim17ROCPRIM_400000_NS6detail17trampoline_kernelINS0_14default_configENS1_25transform_config_selectorIsLb0EEEZNS1_14transform_implILb0ES3_S5_NS0_18transform_iteratorINS0_17counting_iteratorImlEEZNS1_24adjacent_difference_implIS3_Lb1ELb0EPsSB_N6thrust23THRUST_200600_302600_NS4plusIsEEEE10hipError_tPvRmT2_T3_mT4_P12ihipStream_tbEUlmE_sEESB_NS0_8identityIvEEEESG_SJ_SK_mSL_SN_bEUlT_E_NS1_11comp_targetILNS1_3genE4ELNS1_11target_archE910ELNS1_3gpuE8ELNS1_3repE0EEENS1_30default_config_static_selectorELNS0_4arch9wavefront6targetE0EEEvT1_,comdat
	.protected	_ZN7rocprim17ROCPRIM_400000_NS6detail17trampoline_kernelINS0_14default_configENS1_25transform_config_selectorIsLb0EEEZNS1_14transform_implILb0ES3_S5_NS0_18transform_iteratorINS0_17counting_iteratorImlEEZNS1_24adjacent_difference_implIS3_Lb1ELb0EPsSB_N6thrust23THRUST_200600_302600_NS4plusIsEEEE10hipError_tPvRmT2_T3_mT4_P12ihipStream_tbEUlmE_sEESB_NS0_8identityIvEEEESG_SJ_SK_mSL_SN_bEUlT_E_NS1_11comp_targetILNS1_3genE4ELNS1_11target_archE910ELNS1_3gpuE8ELNS1_3repE0EEENS1_30default_config_static_selectorELNS0_4arch9wavefront6targetE0EEEvT1_ ; -- Begin function _ZN7rocprim17ROCPRIM_400000_NS6detail17trampoline_kernelINS0_14default_configENS1_25transform_config_selectorIsLb0EEEZNS1_14transform_implILb0ES3_S5_NS0_18transform_iteratorINS0_17counting_iteratorImlEEZNS1_24adjacent_difference_implIS3_Lb1ELb0EPsSB_N6thrust23THRUST_200600_302600_NS4plusIsEEEE10hipError_tPvRmT2_T3_mT4_P12ihipStream_tbEUlmE_sEESB_NS0_8identityIvEEEESG_SJ_SK_mSL_SN_bEUlT_E_NS1_11comp_targetILNS1_3genE4ELNS1_11target_archE910ELNS1_3gpuE8ELNS1_3repE0EEENS1_30default_config_static_selectorELNS0_4arch9wavefront6targetE0EEEvT1_
	.globl	_ZN7rocprim17ROCPRIM_400000_NS6detail17trampoline_kernelINS0_14default_configENS1_25transform_config_selectorIsLb0EEEZNS1_14transform_implILb0ES3_S5_NS0_18transform_iteratorINS0_17counting_iteratorImlEEZNS1_24adjacent_difference_implIS3_Lb1ELb0EPsSB_N6thrust23THRUST_200600_302600_NS4plusIsEEEE10hipError_tPvRmT2_T3_mT4_P12ihipStream_tbEUlmE_sEESB_NS0_8identityIvEEEESG_SJ_SK_mSL_SN_bEUlT_E_NS1_11comp_targetILNS1_3genE4ELNS1_11target_archE910ELNS1_3gpuE8ELNS1_3repE0EEENS1_30default_config_static_selectorELNS0_4arch9wavefront6targetE0EEEvT1_
	.p2align	8
	.type	_ZN7rocprim17ROCPRIM_400000_NS6detail17trampoline_kernelINS0_14default_configENS1_25transform_config_selectorIsLb0EEEZNS1_14transform_implILb0ES3_S5_NS0_18transform_iteratorINS0_17counting_iteratorImlEEZNS1_24adjacent_difference_implIS3_Lb1ELb0EPsSB_N6thrust23THRUST_200600_302600_NS4plusIsEEEE10hipError_tPvRmT2_T3_mT4_P12ihipStream_tbEUlmE_sEESB_NS0_8identityIvEEEESG_SJ_SK_mSL_SN_bEUlT_E_NS1_11comp_targetILNS1_3genE4ELNS1_11target_archE910ELNS1_3gpuE8ELNS1_3repE0EEENS1_30default_config_static_selectorELNS0_4arch9wavefront6targetE0EEEvT1_,@function
_ZN7rocprim17ROCPRIM_400000_NS6detail17trampoline_kernelINS0_14default_configENS1_25transform_config_selectorIsLb0EEEZNS1_14transform_implILb0ES3_S5_NS0_18transform_iteratorINS0_17counting_iteratorImlEEZNS1_24adjacent_difference_implIS3_Lb1ELb0EPsSB_N6thrust23THRUST_200600_302600_NS4plusIsEEEE10hipError_tPvRmT2_T3_mT4_P12ihipStream_tbEUlmE_sEESB_NS0_8identityIvEEEESG_SJ_SK_mSL_SN_bEUlT_E_NS1_11comp_targetILNS1_3genE4ELNS1_11target_archE910ELNS1_3gpuE8ELNS1_3repE0EEENS1_30default_config_static_selectorELNS0_4arch9wavefront6targetE0EEEvT1_: ; @_ZN7rocprim17ROCPRIM_400000_NS6detail17trampoline_kernelINS0_14default_configENS1_25transform_config_selectorIsLb0EEEZNS1_14transform_implILb0ES3_S5_NS0_18transform_iteratorINS0_17counting_iteratorImlEEZNS1_24adjacent_difference_implIS3_Lb1ELb0EPsSB_N6thrust23THRUST_200600_302600_NS4plusIsEEEE10hipError_tPvRmT2_T3_mT4_P12ihipStream_tbEUlmE_sEESB_NS0_8identityIvEEEESG_SJ_SK_mSL_SN_bEUlT_E_NS1_11comp_targetILNS1_3genE4ELNS1_11target_archE910ELNS1_3gpuE8ELNS1_3repE0EEENS1_30default_config_static_selectorELNS0_4arch9wavefront6targetE0EEEvT1_
; %bb.0:
	.section	.rodata,"a",@progbits
	.p2align	6, 0x0
	.amdhsa_kernel _ZN7rocprim17ROCPRIM_400000_NS6detail17trampoline_kernelINS0_14default_configENS1_25transform_config_selectorIsLb0EEEZNS1_14transform_implILb0ES3_S5_NS0_18transform_iteratorINS0_17counting_iteratorImlEEZNS1_24adjacent_difference_implIS3_Lb1ELb0EPsSB_N6thrust23THRUST_200600_302600_NS4plusIsEEEE10hipError_tPvRmT2_T3_mT4_P12ihipStream_tbEUlmE_sEESB_NS0_8identityIvEEEESG_SJ_SK_mSL_SN_bEUlT_E_NS1_11comp_targetILNS1_3genE4ELNS1_11target_archE910ELNS1_3gpuE8ELNS1_3repE0EEENS1_30default_config_static_selectorELNS0_4arch9wavefront6targetE0EEEvT1_
		.amdhsa_group_segment_fixed_size 0
		.amdhsa_private_segment_fixed_size 0
		.amdhsa_kernarg_size 56
		.amdhsa_user_sgpr_count 15
		.amdhsa_user_sgpr_dispatch_ptr 0
		.amdhsa_user_sgpr_queue_ptr 0
		.amdhsa_user_sgpr_kernarg_segment_ptr 1
		.amdhsa_user_sgpr_dispatch_id 0
		.amdhsa_user_sgpr_private_segment_size 0
		.amdhsa_wavefront_size32 1
		.amdhsa_uses_dynamic_stack 0
		.amdhsa_enable_private_segment 0
		.amdhsa_system_sgpr_workgroup_id_x 1
		.amdhsa_system_sgpr_workgroup_id_y 0
		.amdhsa_system_sgpr_workgroup_id_z 0
		.amdhsa_system_sgpr_workgroup_info 0
		.amdhsa_system_vgpr_workitem_id 0
		.amdhsa_next_free_vgpr 1
		.amdhsa_next_free_sgpr 1
		.amdhsa_reserve_vcc 0
		.amdhsa_float_round_mode_32 0
		.amdhsa_float_round_mode_16_64 0
		.amdhsa_float_denorm_mode_32 3
		.amdhsa_float_denorm_mode_16_64 3
		.amdhsa_dx10_clamp 1
		.amdhsa_ieee_mode 1
		.amdhsa_fp16_overflow 0
		.amdhsa_workgroup_processor_mode 1
		.amdhsa_memory_ordered 1
		.amdhsa_forward_progress 0
		.amdhsa_shared_vgpr_count 0
		.amdhsa_exception_fp_ieee_invalid_op 0
		.amdhsa_exception_fp_denorm_src 0
		.amdhsa_exception_fp_ieee_div_zero 0
		.amdhsa_exception_fp_ieee_overflow 0
		.amdhsa_exception_fp_ieee_underflow 0
		.amdhsa_exception_fp_ieee_inexact 0
		.amdhsa_exception_int_div_zero 0
	.end_amdhsa_kernel
	.section	.text._ZN7rocprim17ROCPRIM_400000_NS6detail17trampoline_kernelINS0_14default_configENS1_25transform_config_selectorIsLb0EEEZNS1_14transform_implILb0ES3_S5_NS0_18transform_iteratorINS0_17counting_iteratorImlEEZNS1_24adjacent_difference_implIS3_Lb1ELb0EPsSB_N6thrust23THRUST_200600_302600_NS4plusIsEEEE10hipError_tPvRmT2_T3_mT4_P12ihipStream_tbEUlmE_sEESB_NS0_8identityIvEEEESG_SJ_SK_mSL_SN_bEUlT_E_NS1_11comp_targetILNS1_3genE4ELNS1_11target_archE910ELNS1_3gpuE8ELNS1_3repE0EEENS1_30default_config_static_selectorELNS0_4arch9wavefront6targetE0EEEvT1_,"axG",@progbits,_ZN7rocprim17ROCPRIM_400000_NS6detail17trampoline_kernelINS0_14default_configENS1_25transform_config_selectorIsLb0EEEZNS1_14transform_implILb0ES3_S5_NS0_18transform_iteratorINS0_17counting_iteratorImlEEZNS1_24adjacent_difference_implIS3_Lb1ELb0EPsSB_N6thrust23THRUST_200600_302600_NS4plusIsEEEE10hipError_tPvRmT2_T3_mT4_P12ihipStream_tbEUlmE_sEESB_NS0_8identityIvEEEESG_SJ_SK_mSL_SN_bEUlT_E_NS1_11comp_targetILNS1_3genE4ELNS1_11target_archE910ELNS1_3gpuE8ELNS1_3repE0EEENS1_30default_config_static_selectorELNS0_4arch9wavefront6targetE0EEEvT1_,comdat
.Lfunc_end393:
	.size	_ZN7rocprim17ROCPRIM_400000_NS6detail17trampoline_kernelINS0_14default_configENS1_25transform_config_selectorIsLb0EEEZNS1_14transform_implILb0ES3_S5_NS0_18transform_iteratorINS0_17counting_iteratorImlEEZNS1_24adjacent_difference_implIS3_Lb1ELb0EPsSB_N6thrust23THRUST_200600_302600_NS4plusIsEEEE10hipError_tPvRmT2_T3_mT4_P12ihipStream_tbEUlmE_sEESB_NS0_8identityIvEEEESG_SJ_SK_mSL_SN_bEUlT_E_NS1_11comp_targetILNS1_3genE4ELNS1_11target_archE910ELNS1_3gpuE8ELNS1_3repE0EEENS1_30default_config_static_selectorELNS0_4arch9wavefront6targetE0EEEvT1_, .Lfunc_end393-_ZN7rocprim17ROCPRIM_400000_NS6detail17trampoline_kernelINS0_14default_configENS1_25transform_config_selectorIsLb0EEEZNS1_14transform_implILb0ES3_S5_NS0_18transform_iteratorINS0_17counting_iteratorImlEEZNS1_24adjacent_difference_implIS3_Lb1ELb0EPsSB_N6thrust23THRUST_200600_302600_NS4plusIsEEEE10hipError_tPvRmT2_T3_mT4_P12ihipStream_tbEUlmE_sEESB_NS0_8identityIvEEEESG_SJ_SK_mSL_SN_bEUlT_E_NS1_11comp_targetILNS1_3genE4ELNS1_11target_archE910ELNS1_3gpuE8ELNS1_3repE0EEENS1_30default_config_static_selectorELNS0_4arch9wavefront6targetE0EEEvT1_
                                        ; -- End function
	.section	.AMDGPU.csdata,"",@progbits
; Kernel info:
; codeLenInByte = 0
; NumSgprs: 0
; NumVgprs: 0
; ScratchSize: 0
; MemoryBound: 0
; FloatMode: 240
; IeeeMode: 1
; LDSByteSize: 0 bytes/workgroup (compile time only)
; SGPRBlocks: 0
; VGPRBlocks: 0
; NumSGPRsForWavesPerEU: 1
; NumVGPRsForWavesPerEU: 1
; Occupancy: 16
; WaveLimiterHint : 0
; COMPUTE_PGM_RSRC2:SCRATCH_EN: 0
; COMPUTE_PGM_RSRC2:USER_SGPR: 15
; COMPUTE_PGM_RSRC2:TRAP_HANDLER: 0
; COMPUTE_PGM_RSRC2:TGID_X_EN: 1
; COMPUTE_PGM_RSRC2:TGID_Y_EN: 0
; COMPUTE_PGM_RSRC2:TGID_Z_EN: 0
; COMPUTE_PGM_RSRC2:TIDIG_COMP_CNT: 0
	.section	.text._ZN7rocprim17ROCPRIM_400000_NS6detail17trampoline_kernelINS0_14default_configENS1_25transform_config_selectorIsLb0EEEZNS1_14transform_implILb0ES3_S5_NS0_18transform_iteratorINS0_17counting_iteratorImlEEZNS1_24adjacent_difference_implIS3_Lb1ELb0EPsSB_N6thrust23THRUST_200600_302600_NS4plusIsEEEE10hipError_tPvRmT2_T3_mT4_P12ihipStream_tbEUlmE_sEESB_NS0_8identityIvEEEESG_SJ_SK_mSL_SN_bEUlT_E_NS1_11comp_targetILNS1_3genE3ELNS1_11target_archE908ELNS1_3gpuE7ELNS1_3repE0EEENS1_30default_config_static_selectorELNS0_4arch9wavefront6targetE0EEEvT1_,"axG",@progbits,_ZN7rocprim17ROCPRIM_400000_NS6detail17trampoline_kernelINS0_14default_configENS1_25transform_config_selectorIsLb0EEEZNS1_14transform_implILb0ES3_S5_NS0_18transform_iteratorINS0_17counting_iteratorImlEEZNS1_24adjacent_difference_implIS3_Lb1ELb0EPsSB_N6thrust23THRUST_200600_302600_NS4plusIsEEEE10hipError_tPvRmT2_T3_mT4_P12ihipStream_tbEUlmE_sEESB_NS0_8identityIvEEEESG_SJ_SK_mSL_SN_bEUlT_E_NS1_11comp_targetILNS1_3genE3ELNS1_11target_archE908ELNS1_3gpuE7ELNS1_3repE0EEENS1_30default_config_static_selectorELNS0_4arch9wavefront6targetE0EEEvT1_,comdat
	.protected	_ZN7rocprim17ROCPRIM_400000_NS6detail17trampoline_kernelINS0_14default_configENS1_25transform_config_selectorIsLb0EEEZNS1_14transform_implILb0ES3_S5_NS0_18transform_iteratorINS0_17counting_iteratorImlEEZNS1_24adjacent_difference_implIS3_Lb1ELb0EPsSB_N6thrust23THRUST_200600_302600_NS4plusIsEEEE10hipError_tPvRmT2_T3_mT4_P12ihipStream_tbEUlmE_sEESB_NS0_8identityIvEEEESG_SJ_SK_mSL_SN_bEUlT_E_NS1_11comp_targetILNS1_3genE3ELNS1_11target_archE908ELNS1_3gpuE7ELNS1_3repE0EEENS1_30default_config_static_selectorELNS0_4arch9wavefront6targetE0EEEvT1_ ; -- Begin function _ZN7rocprim17ROCPRIM_400000_NS6detail17trampoline_kernelINS0_14default_configENS1_25transform_config_selectorIsLb0EEEZNS1_14transform_implILb0ES3_S5_NS0_18transform_iteratorINS0_17counting_iteratorImlEEZNS1_24adjacent_difference_implIS3_Lb1ELb0EPsSB_N6thrust23THRUST_200600_302600_NS4plusIsEEEE10hipError_tPvRmT2_T3_mT4_P12ihipStream_tbEUlmE_sEESB_NS0_8identityIvEEEESG_SJ_SK_mSL_SN_bEUlT_E_NS1_11comp_targetILNS1_3genE3ELNS1_11target_archE908ELNS1_3gpuE7ELNS1_3repE0EEENS1_30default_config_static_selectorELNS0_4arch9wavefront6targetE0EEEvT1_
	.globl	_ZN7rocprim17ROCPRIM_400000_NS6detail17trampoline_kernelINS0_14default_configENS1_25transform_config_selectorIsLb0EEEZNS1_14transform_implILb0ES3_S5_NS0_18transform_iteratorINS0_17counting_iteratorImlEEZNS1_24adjacent_difference_implIS3_Lb1ELb0EPsSB_N6thrust23THRUST_200600_302600_NS4plusIsEEEE10hipError_tPvRmT2_T3_mT4_P12ihipStream_tbEUlmE_sEESB_NS0_8identityIvEEEESG_SJ_SK_mSL_SN_bEUlT_E_NS1_11comp_targetILNS1_3genE3ELNS1_11target_archE908ELNS1_3gpuE7ELNS1_3repE0EEENS1_30default_config_static_selectorELNS0_4arch9wavefront6targetE0EEEvT1_
	.p2align	8
	.type	_ZN7rocprim17ROCPRIM_400000_NS6detail17trampoline_kernelINS0_14default_configENS1_25transform_config_selectorIsLb0EEEZNS1_14transform_implILb0ES3_S5_NS0_18transform_iteratorINS0_17counting_iteratorImlEEZNS1_24adjacent_difference_implIS3_Lb1ELb0EPsSB_N6thrust23THRUST_200600_302600_NS4plusIsEEEE10hipError_tPvRmT2_T3_mT4_P12ihipStream_tbEUlmE_sEESB_NS0_8identityIvEEEESG_SJ_SK_mSL_SN_bEUlT_E_NS1_11comp_targetILNS1_3genE3ELNS1_11target_archE908ELNS1_3gpuE7ELNS1_3repE0EEENS1_30default_config_static_selectorELNS0_4arch9wavefront6targetE0EEEvT1_,@function
_ZN7rocprim17ROCPRIM_400000_NS6detail17trampoline_kernelINS0_14default_configENS1_25transform_config_selectorIsLb0EEEZNS1_14transform_implILb0ES3_S5_NS0_18transform_iteratorINS0_17counting_iteratorImlEEZNS1_24adjacent_difference_implIS3_Lb1ELb0EPsSB_N6thrust23THRUST_200600_302600_NS4plusIsEEEE10hipError_tPvRmT2_T3_mT4_P12ihipStream_tbEUlmE_sEESB_NS0_8identityIvEEEESG_SJ_SK_mSL_SN_bEUlT_E_NS1_11comp_targetILNS1_3genE3ELNS1_11target_archE908ELNS1_3gpuE7ELNS1_3repE0EEENS1_30default_config_static_selectorELNS0_4arch9wavefront6targetE0EEEvT1_: ; @_ZN7rocprim17ROCPRIM_400000_NS6detail17trampoline_kernelINS0_14default_configENS1_25transform_config_selectorIsLb0EEEZNS1_14transform_implILb0ES3_S5_NS0_18transform_iteratorINS0_17counting_iteratorImlEEZNS1_24adjacent_difference_implIS3_Lb1ELb0EPsSB_N6thrust23THRUST_200600_302600_NS4plusIsEEEE10hipError_tPvRmT2_T3_mT4_P12ihipStream_tbEUlmE_sEESB_NS0_8identityIvEEEESG_SJ_SK_mSL_SN_bEUlT_E_NS1_11comp_targetILNS1_3genE3ELNS1_11target_archE908ELNS1_3gpuE7ELNS1_3repE0EEENS1_30default_config_static_selectorELNS0_4arch9wavefront6targetE0EEEvT1_
; %bb.0:
	.section	.rodata,"a",@progbits
	.p2align	6, 0x0
	.amdhsa_kernel _ZN7rocprim17ROCPRIM_400000_NS6detail17trampoline_kernelINS0_14default_configENS1_25transform_config_selectorIsLb0EEEZNS1_14transform_implILb0ES3_S5_NS0_18transform_iteratorINS0_17counting_iteratorImlEEZNS1_24adjacent_difference_implIS3_Lb1ELb0EPsSB_N6thrust23THRUST_200600_302600_NS4plusIsEEEE10hipError_tPvRmT2_T3_mT4_P12ihipStream_tbEUlmE_sEESB_NS0_8identityIvEEEESG_SJ_SK_mSL_SN_bEUlT_E_NS1_11comp_targetILNS1_3genE3ELNS1_11target_archE908ELNS1_3gpuE7ELNS1_3repE0EEENS1_30default_config_static_selectorELNS0_4arch9wavefront6targetE0EEEvT1_
		.amdhsa_group_segment_fixed_size 0
		.amdhsa_private_segment_fixed_size 0
		.amdhsa_kernarg_size 56
		.amdhsa_user_sgpr_count 15
		.amdhsa_user_sgpr_dispatch_ptr 0
		.amdhsa_user_sgpr_queue_ptr 0
		.amdhsa_user_sgpr_kernarg_segment_ptr 1
		.amdhsa_user_sgpr_dispatch_id 0
		.amdhsa_user_sgpr_private_segment_size 0
		.amdhsa_wavefront_size32 1
		.amdhsa_uses_dynamic_stack 0
		.amdhsa_enable_private_segment 0
		.amdhsa_system_sgpr_workgroup_id_x 1
		.amdhsa_system_sgpr_workgroup_id_y 0
		.amdhsa_system_sgpr_workgroup_id_z 0
		.amdhsa_system_sgpr_workgroup_info 0
		.amdhsa_system_vgpr_workitem_id 0
		.amdhsa_next_free_vgpr 1
		.amdhsa_next_free_sgpr 1
		.amdhsa_reserve_vcc 0
		.amdhsa_float_round_mode_32 0
		.amdhsa_float_round_mode_16_64 0
		.amdhsa_float_denorm_mode_32 3
		.amdhsa_float_denorm_mode_16_64 3
		.amdhsa_dx10_clamp 1
		.amdhsa_ieee_mode 1
		.amdhsa_fp16_overflow 0
		.amdhsa_workgroup_processor_mode 1
		.amdhsa_memory_ordered 1
		.amdhsa_forward_progress 0
		.amdhsa_shared_vgpr_count 0
		.amdhsa_exception_fp_ieee_invalid_op 0
		.amdhsa_exception_fp_denorm_src 0
		.amdhsa_exception_fp_ieee_div_zero 0
		.amdhsa_exception_fp_ieee_overflow 0
		.amdhsa_exception_fp_ieee_underflow 0
		.amdhsa_exception_fp_ieee_inexact 0
		.amdhsa_exception_int_div_zero 0
	.end_amdhsa_kernel
	.section	.text._ZN7rocprim17ROCPRIM_400000_NS6detail17trampoline_kernelINS0_14default_configENS1_25transform_config_selectorIsLb0EEEZNS1_14transform_implILb0ES3_S5_NS0_18transform_iteratorINS0_17counting_iteratorImlEEZNS1_24adjacent_difference_implIS3_Lb1ELb0EPsSB_N6thrust23THRUST_200600_302600_NS4plusIsEEEE10hipError_tPvRmT2_T3_mT4_P12ihipStream_tbEUlmE_sEESB_NS0_8identityIvEEEESG_SJ_SK_mSL_SN_bEUlT_E_NS1_11comp_targetILNS1_3genE3ELNS1_11target_archE908ELNS1_3gpuE7ELNS1_3repE0EEENS1_30default_config_static_selectorELNS0_4arch9wavefront6targetE0EEEvT1_,"axG",@progbits,_ZN7rocprim17ROCPRIM_400000_NS6detail17trampoline_kernelINS0_14default_configENS1_25transform_config_selectorIsLb0EEEZNS1_14transform_implILb0ES3_S5_NS0_18transform_iteratorINS0_17counting_iteratorImlEEZNS1_24adjacent_difference_implIS3_Lb1ELb0EPsSB_N6thrust23THRUST_200600_302600_NS4plusIsEEEE10hipError_tPvRmT2_T3_mT4_P12ihipStream_tbEUlmE_sEESB_NS0_8identityIvEEEESG_SJ_SK_mSL_SN_bEUlT_E_NS1_11comp_targetILNS1_3genE3ELNS1_11target_archE908ELNS1_3gpuE7ELNS1_3repE0EEENS1_30default_config_static_selectorELNS0_4arch9wavefront6targetE0EEEvT1_,comdat
.Lfunc_end394:
	.size	_ZN7rocprim17ROCPRIM_400000_NS6detail17trampoline_kernelINS0_14default_configENS1_25transform_config_selectorIsLb0EEEZNS1_14transform_implILb0ES3_S5_NS0_18transform_iteratorINS0_17counting_iteratorImlEEZNS1_24adjacent_difference_implIS3_Lb1ELb0EPsSB_N6thrust23THRUST_200600_302600_NS4plusIsEEEE10hipError_tPvRmT2_T3_mT4_P12ihipStream_tbEUlmE_sEESB_NS0_8identityIvEEEESG_SJ_SK_mSL_SN_bEUlT_E_NS1_11comp_targetILNS1_3genE3ELNS1_11target_archE908ELNS1_3gpuE7ELNS1_3repE0EEENS1_30default_config_static_selectorELNS0_4arch9wavefront6targetE0EEEvT1_, .Lfunc_end394-_ZN7rocprim17ROCPRIM_400000_NS6detail17trampoline_kernelINS0_14default_configENS1_25transform_config_selectorIsLb0EEEZNS1_14transform_implILb0ES3_S5_NS0_18transform_iteratorINS0_17counting_iteratorImlEEZNS1_24adjacent_difference_implIS3_Lb1ELb0EPsSB_N6thrust23THRUST_200600_302600_NS4plusIsEEEE10hipError_tPvRmT2_T3_mT4_P12ihipStream_tbEUlmE_sEESB_NS0_8identityIvEEEESG_SJ_SK_mSL_SN_bEUlT_E_NS1_11comp_targetILNS1_3genE3ELNS1_11target_archE908ELNS1_3gpuE7ELNS1_3repE0EEENS1_30default_config_static_selectorELNS0_4arch9wavefront6targetE0EEEvT1_
                                        ; -- End function
	.section	.AMDGPU.csdata,"",@progbits
; Kernel info:
; codeLenInByte = 0
; NumSgprs: 0
; NumVgprs: 0
; ScratchSize: 0
; MemoryBound: 0
; FloatMode: 240
; IeeeMode: 1
; LDSByteSize: 0 bytes/workgroup (compile time only)
; SGPRBlocks: 0
; VGPRBlocks: 0
; NumSGPRsForWavesPerEU: 1
; NumVGPRsForWavesPerEU: 1
; Occupancy: 16
; WaveLimiterHint : 0
; COMPUTE_PGM_RSRC2:SCRATCH_EN: 0
; COMPUTE_PGM_RSRC2:USER_SGPR: 15
; COMPUTE_PGM_RSRC2:TRAP_HANDLER: 0
; COMPUTE_PGM_RSRC2:TGID_X_EN: 1
; COMPUTE_PGM_RSRC2:TGID_Y_EN: 0
; COMPUTE_PGM_RSRC2:TGID_Z_EN: 0
; COMPUTE_PGM_RSRC2:TIDIG_COMP_CNT: 0
	.section	.text._ZN7rocprim17ROCPRIM_400000_NS6detail17trampoline_kernelINS0_14default_configENS1_25transform_config_selectorIsLb0EEEZNS1_14transform_implILb0ES3_S5_NS0_18transform_iteratorINS0_17counting_iteratorImlEEZNS1_24adjacent_difference_implIS3_Lb1ELb0EPsSB_N6thrust23THRUST_200600_302600_NS4plusIsEEEE10hipError_tPvRmT2_T3_mT4_P12ihipStream_tbEUlmE_sEESB_NS0_8identityIvEEEESG_SJ_SK_mSL_SN_bEUlT_E_NS1_11comp_targetILNS1_3genE2ELNS1_11target_archE906ELNS1_3gpuE6ELNS1_3repE0EEENS1_30default_config_static_selectorELNS0_4arch9wavefront6targetE0EEEvT1_,"axG",@progbits,_ZN7rocprim17ROCPRIM_400000_NS6detail17trampoline_kernelINS0_14default_configENS1_25transform_config_selectorIsLb0EEEZNS1_14transform_implILb0ES3_S5_NS0_18transform_iteratorINS0_17counting_iteratorImlEEZNS1_24adjacent_difference_implIS3_Lb1ELb0EPsSB_N6thrust23THRUST_200600_302600_NS4plusIsEEEE10hipError_tPvRmT2_T3_mT4_P12ihipStream_tbEUlmE_sEESB_NS0_8identityIvEEEESG_SJ_SK_mSL_SN_bEUlT_E_NS1_11comp_targetILNS1_3genE2ELNS1_11target_archE906ELNS1_3gpuE6ELNS1_3repE0EEENS1_30default_config_static_selectorELNS0_4arch9wavefront6targetE0EEEvT1_,comdat
	.protected	_ZN7rocprim17ROCPRIM_400000_NS6detail17trampoline_kernelINS0_14default_configENS1_25transform_config_selectorIsLb0EEEZNS1_14transform_implILb0ES3_S5_NS0_18transform_iteratorINS0_17counting_iteratorImlEEZNS1_24adjacent_difference_implIS3_Lb1ELb0EPsSB_N6thrust23THRUST_200600_302600_NS4plusIsEEEE10hipError_tPvRmT2_T3_mT4_P12ihipStream_tbEUlmE_sEESB_NS0_8identityIvEEEESG_SJ_SK_mSL_SN_bEUlT_E_NS1_11comp_targetILNS1_3genE2ELNS1_11target_archE906ELNS1_3gpuE6ELNS1_3repE0EEENS1_30default_config_static_selectorELNS0_4arch9wavefront6targetE0EEEvT1_ ; -- Begin function _ZN7rocprim17ROCPRIM_400000_NS6detail17trampoline_kernelINS0_14default_configENS1_25transform_config_selectorIsLb0EEEZNS1_14transform_implILb0ES3_S5_NS0_18transform_iteratorINS0_17counting_iteratorImlEEZNS1_24adjacent_difference_implIS3_Lb1ELb0EPsSB_N6thrust23THRUST_200600_302600_NS4plusIsEEEE10hipError_tPvRmT2_T3_mT4_P12ihipStream_tbEUlmE_sEESB_NS0_8identityIvEEEESG_SJ_SK_mSL_SN_bEUlT_E_NS1_11comp_targetILNS1_3genE2ELNS1_11target_archE906ELNS1_3gpuE6ELNS1_3repE0EEENS1_30default_config_static_selectorELNS0_4arch9wavefront6targetE0EEEvT1_
	.globl	_ZN7rocprim17ROCPRIM_400000_NS6detail17trampoline_kernelINS0_14default_configENS1_25transform_config_selectorIsLb0EEEZNS1_14transform_implILb0ES3_S5_NS0_18transform_iteratorINS0_17counting_iteratorImlEEZNS1_24adjacent_difference_implIS3_Lb1ELb0EPsSB_N6thrust23THRUST_200600_302600_NS4plusIsEEEE10hipError_tPvRmT2_T3_mT4_P12ihipStream_tbEUlmE_sEESB_NS0_8identityIvEEEESG_SJ_SK_mSL_SN_bEUlT_E_NS1_11comp_targetILNS1_3genE2ELNS1_11target_archE906ELNS1_3gpuE6ELNS1_3repE0EEENS1_30default_config_static_selectorELNS0_4arch9wavefront6targetE0EEEvT1_
	.p2align	8
	.type	_ZN7rocprim17ROCPRIM_400000_NS6detail17trampoline_kernelINS0_14default_configENS1_25transform_config_selectorIsLb0EEEZNS1_14transform_implILb0ES3_S5_NS0_18transform_iteratorINS0_17counting_iteratorImlEEZNS1_24adjacent_difference_implIS3_Lb1ELb0EPsSB_N6thrust23THRUST_200600_302600_NS4plusIsEEEE10hipError_tPvRmT2_T3_mT4_P12ihipStream_tbEUlmE_sEESB_NS0_8identityIvEEEESG_SJ_SK_mSL_SN_bEUlT_E_NS1_11comp_targetILNS1_3genE2ELNS1_11target_archE906ELNS1_3gpuE6ELNS1_3repE0EEENS1_30default_config_static_selectorELNS0_4arch9wavefront6targetE0EEEvT1_,@function
_ZN7rocprim17ROCPRIM_400000_NS6detail17trampoline_kernelINS0_14default_configENS1_25transform_config_selectorIsLb0EEEZNS1_14transform_implILb0ES3_S5_NS0_18transform_iteratorINS0_17counting_iteratorImlEEZNS1_24adjacent_difference_implIS3_Lb1ELb0EPsSB_N6thrust23THRUST_200600_302600_NS4plusIsEEEE10hipError_tPvRmT2_T3_mT4_P12ihipStream_tbEUlmE_sEESB_NS0_8identityIvEEEESG_SJ_SK_mSL_SN_bEUlT_E_NS1_11comp_targetILNS1_3genE2ELNS1_11target_archE906ELNS1_3gpuE6ELNS1_3repE0EEENS1_30default_config_static_selectorELNS0_4arch9wavefront6targetE0EEEvT1_: ; @_ZN7rocprim17ROCPRIM_400000_NS6detail17trampoline_kernelINS0_14default_configENS1_25transform_config_selectorIsLb0EEEZNS1_14transform_implILb0ES3_S5_NS0_18transform_iteratorINS0_17counting_iteratorImlEEZNS1_24adjacent_difference_implIS3_Lb1ELb0EPsSB_N6thrust23THRUST_200600_302600_NS4plusIsEEEE10hipError_tPvRmT2_T3_mT4_P12ihipStream_tbEUlmE_sEESB_NS0_8identityIvEEEESG_SJ_SK_mSL_SN_bEUlT_E_NS1_11comp_targetILNS1_3genE2ELNS1_11target_archE906ELNS1_3gpuE6ELNS1_3repE0EEENS1_30default_config_static_selectorELNS0_4arch9wavefront6targetE0EEEvT1_
; %bb.0:
	.section	.rodata,"a",@progbits
	.p2align	6, 0x0
	.amdhsa_kernel _ZN7rocprim17ROCPRIM_400000_NS6detail17trampoline_kernelINS0_14default_configENS1_25transform_config_selectorIsLb0EEEZNS1_14transform_implILb0ES3_S5_NS0_18transform_iteratorINS0_17counting_iteratorImlEEZNS1_24adjacent_difference_implIS3_Lb1ELb0EPsSB_N6thrust23THRUST_200600_302600_NS4plusIsEEEE10hipError_tPvRmT2_T3_mT4_P12ihipStream_tbEUlmE_sEESB_NS0_8identityIvEEEESG_SJ_SK_mSL_SN_bEUlT_E_NS1_11comp_targetILNS1_3genE2ELNS1_11target_archE906ELNS1_3gpuE6ELNS1_3repE0EEENS1_30default_config_static_selectorELNS0_4arch9wavefront6targetE0EEEvT1_
		.amdhsa_group_segment_fixed_size 0
		.amdhsa_private_segment_fixed_size 0
		.amdhsa_kernarg_size 56
		.amdhsa_user_sgpr_count 15
		.amdhsa_user_sgpr_dispatch_ptr 0
		.amdhsa_user_sgpr_queue_ptr 0
		.amdhsa_user_sgpr_kernarg_segment_ptr 1
		.amdhsa_user_sgpr_dispatch_id 0
		.amdhsa_user_sgpr_private_segment_size 0
		.amdhsa_wavefront_size32 1
		.amdhsa_uses_dynamic_stack 0
		.amdhsa_enable_private_segment 0
		.amdhsa_system_sgpr_workgroup_id_x 1
		.amdhsa_system_sgpr_workgroup_id_y 0
		.amdhsa_system_sgpr_workgroup_id_z 0
		.amdhsa_system_sgpr_workgroup_info 0
		.amdhsa_system_vgpr_workitem_id 0
		.amdhsa_next_free_vgpr 1
		.amdhsa_next_free_sgpr 1
		.amdhsa_reserve_vcc 0
		.amdhsa_float_round_mode_32 0
		.amdhsa_float_round_mode_16_64 0
		.amdhsa_float_denorm_mode_32 3
		.amdhsa_float_denorm_mode_16_64 3
		.amdhsa_dx10_clamp 1
		.amdhsa_ieee_mode 1
		.amdhsa_fp16_overflow 0
		.amdhsa_workgroup_processor_mode 1
		.amdhsa_memory_ordered 1
		.amdhsa_forward_progress 0
		.amdhsa_shared_vgpr_count 0
		.amdhsa_exception_fp_ieee_invalid_op 0
		.amdhsa_exception_fp_denorm_src 0
		.amdhsa_exception_fp_ieee_div_zero 0
		.amdhsa_exception_fp_ieee_overflow 0
		.amdhsa_exception_fp_ieee_underflow 0
		.amdhsa_exception_fp_ieee_inexact 0
		.amdhsa_exception_int_div_zero 0
	.end_amdhsa_kernel
	.section	.text._ZN7rocprim17ROCPRIM_400000_NS6detail17trampoline_kernelINS0_14default_configENS1_25transform_config_selectorIsLb0EEEZNS1_14transform_implILb0ES3_S5_NS0_18transform_iteratorINS0_17counting_iteratorImlEEZNS1_24adjacent_difference_implIS3_Lb1ELb0EPsSB_N6thrust23THRUST_200600_302600_NS4plusIsEEEE10hipError_tPvRmT2_T3_mT4_P12ihipStream_tbEUlmE_sEESB_NS0_8identityIvEEEESG_SJ_SK_mSL_SN_bEUlT_E_NS1_11comp_targetILNS1_3genE2ELNS1_11target_archE906ELNS1_3gpuE6ELNS1_3repE0EEENS1_30default_config_static_selectorELNS0_4arch9wavefront6targetE0EEEvT1_,"axG",@progbits,_ZN7rocprim17ROCPRIM_400000_NS6detail17trampoline_kernelINS0_14default_configENS1_25transform_config_selectorIsLb0EEEZNS1_14transform_implILb0ES3_S5_NS0_18transform_iteratorINS0_17counting_iteratorImlEEZNS1_24adjacent_difference_implIS3_Lb1ELb0EPsSB_N6thrust23THRUST_200600_302600_NS4plusIsEEEE10hipError_tPvRmT2_T3_mT4_P12ihipStream_tbEUlmE_sEESB_NS0_8identityIvEEEESG_SJ_SK_mSL_SN_bEUlT_E_NS1_11comp_targetILNS1_3genE2ELNS1_11target_archE906ELNS1_3gpuE6ELNS1_3repE0EEENS1_30default_config_static_selectorELNS0_4arch9wavefront6targetE0EEEvT1_,comdat
.Lfunc_end395:
	.size	_ZN7rocprim17ROCPRIM_400000_NS6detail17trampoline_kernelINS0_14default_configENS1_25transform_config_selectorIsLb0EEEZNS1_14transform_implILb0ES3_S5_NS0_18transform_iteratorINS0_17counting_iteratorImlEEZNS1_24adjacent_difference_implIS3_Lb1ELb0EPsSB_N6thrust23THRUST_200600_302600_NS4plusIsEEEE10hipError_tPvRmT2_T3_mT4_P12ihipStream_tbEUlmE_sEESB_NS0_8identityIvEEEESG_SJ_SK_mSL_SN_bEUlT_E_NS1_11comp_targetILNS1_3genE2ELNS1_11target_archE906ELNS1_3gpuE6ELNS1_3repE0EEENS1_30default_config_static_selectorELNS0_4arch9wavefront6targetE0EEEvT1_, .Lfunc_end395-_ZN7rocprim17ROCPRIM_400000_NS6detail17trampoline_kernelINS0_14default_configENS1_25transform_config_selectorIsLb0EEEZNS1_14transform_implILb0ES3_S5_NS0_18transform_iteratorINS0_17counting_iteratorImlEEZNS1_24adjacent_difference_implIS3_Lb1ELb0EPsSB_N6thrust23THRUST_200600_302600_NS4plusIsEEEE10hipError_tPvRmT2_T3_mT4_P12ihipStream_tbEUlmE_sEESB_NS0_8identityIvEEEESG_SJ_SK_mSL_SN_bEUlT_E_NS1_11comp_targetILNS1_3genE2ELNS1_11target_archE906ELNS1_3gpuE6ELNS1_3repE0EEENS1_30default_config_static_selectorELNS0_4arch9wavefront6targetE0EEEvT1_
                                        ; -- End function
	.section	.AMDGPU.csdata,"",@progbits
; Kernel info:
; codeLenInByte = 0
; NumSgprs: 0
; NumVgprs: 0
; ScratchSize: 0
; MemoryBound: 0
; FloatMode: 240
; IeeeMode: 1
; LDSByteSize: 0 bytes/workgroup (compile time only)
; SGPRBlocks: 0
; VGPRBlocks: 0
; NumSGPRsForWavesPerEU: 1
; NumVGPRsForWavesPerEU: 1
; Occupancy: 16
; WaveLimiterHint : 0
; COMPUTE_PGM_RSRC2:SCRATCH_EN: 0
; COMPUTE_PGM_RSRC2:USER_SGPR: 15
; COMPUTE_PGM_RSRC2:TRAP_HANDLER: 0
; COMPUTE_PGM_RSRC2:TGID_X_EN: 1
; COMPUTE_PGM_RSRC2:TGID_Y_EN: 0
; COMPUTE_PGM_RSRC2:TGID_Z_EN: 0
; COMPUTE_PGM_RSRC2:TIDIG_COMP_CNT: 0
	.section	.text._ZN7rocprim17ROCPRIM_400000_NS6detail17trampoline_kernelINS0_14default_configENS1_25transform_config_selectorIsLb0EEEZNS1_14transform_implILb0ES3_S5_NS0_18transform_iteratorINS0_17counting_iteratorImlEEZNS1_24adjacent_difference_implIS3_Lb1ELb0EPsSB_N6thrust23THRUST_200600_302600_NS4plusIsEEEE10hipError_tPvRmT2_T3_mT4_P12ihipStream_tbEUlmE_sEESB_NS0_8identityIvEEEESG_SJ_SK_mSL_SN_bEUlT_E_NS1_11comp_targetILNS1_3genE10ELNS1_11target_archE1201ELNS1_3gpuE5ELNS1_3repE0EEENS1_30default_config_static_selectorELNS0_4arch9wavefront6targetE0EEEvT1_,"axG",@progbits,_ZN7rocprim17ROCPRIM_400000_NS6detail17trampoline_kernelINS0_14default_configENS1_25transform_config_selectorIsLb0EEEZNS1_14transform_implILb0ES3_S5_NS0_18transform_iteratorINS0_17counting_iteratorImlEEZNS1_24adjacent_difference_implIS3_Lb1ELb0EPsSB_N6thrust23THRUST_200600_302600_NS4plusIsEEEE10hipError_tPvRmT2_T3_mT4_P12ihipStream_tbEUlmE_sEESB_NS0_8identityIvEEEESG_SJ_SK_mSL_SN_bEUlT_E_NS1_11comp_targetILNS1_3genE10ELNS1_11target_archE1201ELNS1_3gpuE5ELNS1_3repE0EEENS1_30default_config_static_selectorELNS0_4arch9wavefront6targetE0EEEvT1_,comdat
	.protected	_ZN7rocprim17ROCPRIM_400000_NS6detail17trampoline_kernelINS0_14default_configENS1_25transform_config_selectorIsLb0EEEZNS1_14transform_implILb0ES3_S5_NS0_18transform_iteratorINS0_17counting_iteratorImlEEZNS1_24adjacent_difference_implIS3_Lb1ELb0EPsSB_N6thrust23THRUST_200600_302600_NS4plusIsEEEE10hipError_tPvRmT2_T3_mT4_P12ihipStream_tbEUlmE_sEESB_NS0_8identityIvEEEESG_SJ_SK_mSL_SN_bEUlT_E_NS1_11comp_targetILNS1_3genE10ELNS1_11target_archE1201ELNS1_3gpuE5ELNS1_3repE0EEENS1_30default_config_static_selectorELNS0_4arch9wavefront6targetE0EEEvT1_ ; -- Begin function _ZN7rocprim17ROCPRIM_400000_NS6detail17trampoline_kernelINS0_14default_configENS1_25transform_config_selectorIsLb0EEEZNS1_14transform_implILb0ES3_S5_NS0_18transform_iteratorINS0_17counting_iteratorImlEEZNS1_24adjacent_difference_implIS3_Lb1ELb0EPsSB_N6thrust23THRUST_200600_302600_NS4plusIsEEEE10hipError_tPvRmT2_T3_mT4_P12ihipStream_tbEUlmE_sEESB_NS0_8identityIvEEEESG_SJ_SK_mSL_SN_bEUlT_E_NS1_11comp_targetILNS1_3genE10ELNS1_11target_archE1201ELNS1_3gpuE5ELNS1_3repE0EEENS1_30default_config_static_selectorELNS0_4arch9wavefront6targetE0EEEvT1_
	.globl	_ZN7rocprim17ROCPRIM_400000_NS6detail17trampoline_kernelINS0_14default_configENS1_25transform_config_selectorIsLb0EEEZNS1_14transform_implILb0ES3_S5_NS0_18transform_iteratorINS0_17counting_iteratorImlEEZNS1_24adjacent_difference_implIS3_Lb1ELb0EPsSB_N6thrust23THRUST_200600_302600_NS4plusIsEEEE10hipError_tPvRmT2_T3_mT4_P12ihipStream_tbEUlmE_sEESB_NS0_8identityIvEEEESG_SJ_SK_mSL_SN_bEUlT_E_NS1_11comp_targetILNS1_3genE10ELNS1_11target_archE1201ELNS1_3gpuE5ELNS1_3repE0EEENS1_30default_config_static_selectorELNS0_4arch9wavefront6targetE0EEEvT1_
	.p2align	8
	.type	_ZN7rocprim17ROCPRIM_400000_NS6detail17trampoline_kernelINS0_14default_configENS1_25transform_config_selectorIsLb0EEEZNS1_14transform_implILb0ES3_S5_NS0_18transform_iteratorINS0_17counting_iteratorImlEEZNS1_24adjacent_difference_implIS3_Lb1ELb0EPsSB_N6thrust23THRUST_200600_302600_NS4plusIsEEEE10hipError_tPvRmT2_T3_mT4_P12ihipStream_tbEUlmE_sEESB_NS0_8identityIvEEEESG_SJ_SK_mSL_SN_bEUlT_E_NS1_11comp_targetILNS1_3genE10ELNS1_11target_archE1201ELNS1_3gpuE5ELNS1_3repE0EEENS1_30default_config_static_selectorELNS0_4arch9wavefront6targetE0EEEvT1_,@function
_ZN7rocprim17ROCPRIM_400000_NS6detail17trampoline_kernelINS0_14default_configENS1_25transform_config_selectorIsLb0EEEZNS1_14transform_implILb0ES3_S5_NS0_18transform_iteratorINS0_17counting_iteratorImlEEZNS1_24adjacent_difference_implIS3_Lb1ELb0EPsSB_N6thrust23THRUST_200600_302600_NS4plusIsEEEE10hipError_tPvRmT2_T3_mT4_P12ihipStream_tbEUlmE_sEESB_NS0_8identityIvEEEESG_SJ_SK_mSL_SN_bEUlT_E_NS1_11comp_targetILNS1_3genE10ELNS1_11target_archE1201ELNS1_3gpuE5ELNS1_3repE0EEENS1_30default_config_static_selectorELNS0_4arch9wavefront6targetE0EEEvT1_: ; @_ZN7rocprim17ROCPRIM_400000_NS6detail17trampoline_kernelINS0_14default_configENS1_25transform_config_selectorIsLb0EEEZNS1_14transform_implILb0ES3_S5_NS0_18transform_iteratorINS0_17counting_iteratorImlEEZNS1_24adjacent_difference_implIS3_Lb1ELb0EPsSB_N6thrust23THRUST_200600_302600_NS4plusIsEEEE10hipError_tPvRmT2_T3_mT4_P12ihipStream_tbEUlmE_sEESB_NS0_8identityIvEEEESG_SJ_SK_mSL_SN_bEUlT_E_NS1_11comp_targetILNS1_3genE10ELNS1_11target_archE1201ELNS1_3gpuE5ELNS1_3repE0EEENS1_30default_config_static_selectorELNS0_4arch9wavefront6targetE0EEEvT1_
; %bb.0:
	.section	.rodata,"a",@progbits
	.p2align	6, 0x0
	.amdhsa_kernel _ZN7rocprim17ROCPRIM_400000_NS6detail17trampoline_kernelINS0_14default_configENS1_25transform_config_selectorIsLb0EEEZNS1_14transform_implILb0ES3_S5_NS0_18transform_iteratorINS0_17counting_iteratorImlEEZNS1_24adjacent_difference_implIS3_Lb1ELb0EPsSB_N6thrust23THRUST_200600_302600_NS4plusIsEEEE10hipError_tPvRmT2_T3_mT4_P12ihipStream_tbEUlmE_sEESB_NS0_8identityIvEEEESG_SJ_SK_mSL_SN_bEUlT_E_NS1_11comp_targetILNS1_3genE10ELNS1_11target_archE1201ELNS1_3gpuE5ELNS1_3repE0EEENS1_30default_config_static_selectorELNS0_4arch9wavefront6targetE0EEEvT1_
		.amdhsa_group_segment_fixed_size 0
		.amdhsa_private_segment_fixed_size 0
		.amdhsa_kernarg_size 56
		.amdhsa_user_sgpr_count 15
		.amdhsa_user_sgpr_dispatch_ptr 0
		.amdhsa_user_sgpr_queue_ptr 0
		.amdhsa_user_sgpr_kernarg_segment_ptr 1
		.amdhsa_user_sgpr_dispatch_id 0
		.amdhsa_user_sgpr_private_segment_size 0
		.amdhsa_wavefront_size32 1
		.amdhsa_uses_dynamic_stack 0
		.amdhsa_enable_private_segment 0
		.amdhsa_system_sgpr_workgroup_id_x 1
		.amdhsa_system_sgpr_workgroup_id_y 0
		.amdhsa_system_sgpr_workgroup_id_z 0
		.amdhsa_system_sgpr_workgroup_info 0
		.amdhsa_system_vgpr_workitem_id 0
		.amdhsa_next_free_vgpr 1
		.amdhsa_next_free_sgpr 1
		.amdhsa_reserve_vcc 0
		.amdhsa_float_round_mode_32 0
		.amdhsa_float_round_mode_16_64 0
		.amdhsa_float_denorm_mode_32 3
		.amdhsa_float_denorm_mode_16_64 3
		.amdhsa_dx10_clamp 1
		.amdhsa_ieee_mode 1
		.amdhsa_fp16_overflow 0
		.amdhsa_workgroup_processor_mode 1
		.amdhsa_memory_ordered 1
		.amdhsa_forward_progress 0
		.amdhsa_shared_vgpr_count 0
		.amdhsa_exception_fp_ieee_invalid_op 0
		.amdhsa_exception_fp_denorm_src 0
		.amdhsa_exception_fp_ieee_div_zero 0
		.amdhsa_exception_fp_ieee_overflow 0
		.amdhsa_exception_fp_ieee_underflow 0
		.amdhsa_exception_fp_ieee_inexact 0
		.amdhsa_exception_int_div_zero 0
	.end_amdhsa_kernel
	.section	.text._ZN7rocprim17ROCPRIM_400000_NS6detail17trampoline_kernelINS0_14default_configENS1_25transform_config_selectorIsLb0EEEZNS1_14transform_implILb0ES3_S5_NS0_18transform_iteratorINS0_17counting_iteratorImlEEZNS1_24adjacent_difference_implIS3_Lb1ELb0EPsSB_N6thrust23THRUST_200600_302600_NS4plusIsEEEE10hipError_tPvRmT2_T3_mT4_P12ihipStream_tbEUlmE_sEESB_NS0_8identityIvEEEESG_SJ_SK_mSL_SN_bEUlT_E_NS1_11comp_targetILNS1_3genE10ELNS1_11target_archE1201ELNS1_3gpuE5ELNS1_3repE0EEENS1_30default_config_static_selectorELNS0_4arch9wavefront6targetE0EEEvT1_,"axG",@progbits,_ZN7rocprim17ROCPRIM_400000_NS6detail17trampoline_kernelINS0_14default_configENS1_25transform_config_selectorIsLb0EEEZNS1_14transform_implILb0ES3_S5_NS0_18transform_iteratorINS0_17counting_iteratorImlEEZNS1_24adjacent_difference_implIS3_Lb1ELb0EPsSB_N6thrust23THRUST_200600_302600_NS4plusIsEEEE10hipError_tPvRmT2_T3_mT4_P12ihipStream_tbEUlmE_sEESB_NS0_8identityIvEEEESG_SJ_SK_mSL_SN_bEUlT_E_NS1_11comp_targetILNS1_3genE10ELNS1_11target_archE1201ELNS1_3gpuE5ELNS1_3repE0EEENS1_30default_config_static_selectorELNS0_4arch9wavefront6targetE0EEEvT1_,comdat
.Lfunc_end396:
	.size	_ZN7rocprim17ROCPRIM_400000_NS6detail17trampoline_kernelINS0_14default_configENS1_25transform_config_selectorIsLb0EEEZNS1_14transform_implILb0ES3_S5_NS0_18transform_iteratorINS0_17counting_iteratorImlEEZNS1_24adjacent_difference_implIS3_Lb1ELb0EPsSB_N6thrust23THRUST_200600_302600_NS4plusIsEEEE10hipError_tPvRmT2_T3_mT4_P12ihipStream_tbEUlmE_sEESB_NS0_8identityIvEEEESG_SJ_SK_mSL_SN_bEUlT_E_NS1_11comp_targetILNS1_3genE10ELNS1_11target_archE1201ELNS1_3gpuE5ELNS1_3repE0EEENS1_30default_config_static_selectorELNS0_4arch9wavefront6targetE0EEEvT1_, .Lfunc_end396-_ZN7rocprim17ROCPRIM_400000_NS6detail17trampoline_kernelINS0_14default_configENS1_25transform_config_selectorIsLb0EEEZNS1_14transform_implILb0ES3_S5_NS0_18transform_iteratorINS0_17counting_iteratorImlEEZNS1_24adjacent_difference_implIS3_Lb1ELb0EPsSB_N6thrust23THRUST_200600_302600_NS4plusIsEEEE10hipError_tPvRmT2_T3_mT4_P12ihipStream_tbEUlmE_sEESB_NS0_8identityIvEEEESG_SJ_SK_mSL_SN_bEUlT_E_NS1_11comp_targetILNS1_3genE10ELNS1_11target_archE1201ELNS1_3gpuE5ELNS1_3repE0EEENS1_30default_config_static_selectorELNS0_4arch9wavefront6targetE0EEEvT1_
                                        ; -- End function
	.section	.AMDGPU.csdata,"",@progbits
; Kernel info:
; codeLenInByte = 0
; NumSgprs: 0
; NumVgprs: 0
; ScratchSize: 0
; MemoryBound: 0
; FloatMode: 240
; IeeeMode: 1
; LDSByteSize: 0 bytes/workgroup (compile time only)
; SGPRBlocks: 0
; VGPRBlocks: 0
; NumSGPRsForWavesPerEU: 1
; NumVGPRsForWavesPerEU: 1
; Occupancy: 16
; WaveLimiterHint : 0
; COMPUTE_PGM_RSRC2:SCRATCH_EN: 0
; COMPUTE_PGM_RSRC2:USER_SGPR: 15
; COMPUTE_PGM_RSRC2:TRAP_HANDLER: 0
; COMPUTE_PGM_RSRC2:TGID_X_EN: 1
; COMPUTE_PGM_RSRC2:TGID_Y_EN: 0
; COMPUTE_PGM_RSRC2:TGID_Z_EN: 0
; COMPUTE_PGM_RSRC2:TIDIG_COMP_CNT: 0
	.section	.text._ZN7rocprim17ROCPRIM_400000_NS6detail17trampoline_kernelINS0_14default_configENS1_25transform_config_selectorIsLb0EEEZNS1_14transform_implILb0ES3_S5_NS0_18transform_iteratorINS0_17counting_iteratorImlEEZNS1_24adjacent_difference_implIS3_Lb1ELb0EPsSB_N6thrust23THRUST_200600_302600_NS4plusIsEEEE10hipError_tPvRmT2_T3_mT4_P12ihipStream_tbEUlmE_sEESB_NS0_8identityIvEEEESG_SJ_SK_mSL_SN_bEUlT_E_NS1_11comp_targetILNS1_3genE10ELNS1_11target_archE1200ELNS1_3gpuE4ELNS1_3repE0EEENS1_30default_config_static_selectorELNS0_4arch9wavefront6targetE0EEEvT1_,"axG",@progbits,_ZN7rocprim17ROCPRIM_400000_NS6detail17trampoline_kernelINS0_14default_configENS1_25transform_config_selectorIsLb0EEEZNS1_14transform_implILb0ES3_S5_NS0_18transform_iteratorINS0_17counting_iteratorImlEEZNS1_24adjacent_difference_implIS3_Lb1ELb0EPsSB_N6thrust23THRUST_200600_302600_NS4plusIsEEEE10hipError_tPvRmT2_T3_mT4_P12ihipStream_tbEUlmE_sEESB_NS0_8identityIvEEEESG_SJ_SK_mSL_SN_bEUlT_E_NS1_11comp_targetILNS1_3genE10ELNS1_11target_archE1200ELNS1_3gpuE4ELNS1_3repE0EEENS1_30default_config_static_selectorELNS0_4arch9wavefront6targetE0EEEvT1_,comdat
	.protected	_ZN7rocprim17ROCPRIM_400000_NS6detail17trampoline_kernelINS0_14default_configENS1_25transform_config_selectorIsLb0EEEZNS1_14transform_implILb0ES3_S5_NS0_18transform_iteratorINS0_17counting_iteratorImlEEZNS1_24adjacent_difference_implIS3_Lb1ELb0EPsSB_N6thrust23THRUST_200600_302600_NS4plusIsEEEE10hipError_tPvRmT2_T3_mT4_P12ihipStream_tbEUlmE_sEESB_NS0_8identityIvEEEESG_SJ_SK_mSL_SN_bEUlT_E_NS1_11comp_targetILNS1_3genE10ELNS1_11target_archE1200ELNS1_3gpuE4ELNS1_3repE0EEENS1_30default_config_static_selectorELNS0_4arch9wavefront6targetE0EEEvT1_ ; -- Begin function _ZN7rocprim17ROCPRIM_400000_NS6detail17trampoline_kernelINS0_14default_configENS1_25transform_config_selectorIsLb0EEEZNS1_14transform_implILb0ES3_S5_NS0_18transform_iteratorINS0_17counting_iteratorImlEEZNS1_24adjacent_difference_implIS3_Lb1ELb0EPsSB_N6thrust23THRUST_200600_302600_NS4plusIsEEEE10hipError_tPvRmT2_T3_mT4_P12ihipStream_tbEUlmE_sEESB_NS0_8identityIvEEEESG_SJ_SK_mSL_SN_bEUlT_E_NS1_11comp_targetILNS1_3genE10ELNS1_11target_archE1200ELNS1_3gpuE4ELNS1_3repE0EEENS1_30default_config_static_selectorELNS0_4arch9wavefront6targetE0EEEvT1_
	.globl	_ZN7rocprim17ROCPRIM_400000_NS6detail17trampoline_kernelINS0_14default_configENS1_25transform_config_selectorIsLb0EEEZNS1_14transform_implILb0ES3_S5_NS0_18transform_iteratorINS0_17counting_iteratorImlEEZNS1_24adjacent_difference_implIS3_Lb1ELb0EPsSB_N6thrust23THRUST_200600_302600_NS4plusIsEEEE10hipError_tPvRmT2_T3_mT4_P12ihipStream_tbEUlmE_sEESB_NS0_8identityIvEEEESG_SJ_SK_mSL_SN_bEUlT_E_NS1_11comp_targetILNS1_3genE10ELNS1_11target_archE1200ELNS1_3gpuE4ELNS1_3repE0EEENS1_30default_config_static_selectorELNS0_4arch9wavefront6targetE0EEEvT1_
	.p2align	8
	.type	_ZN7rocprim17ROCPRIM_400000_NS6detail17trampoline_kernelINS0_14default_configENS1_25transform_config_selectorIsLb0EEEZNS1_14transform_implILb0ES3_S5_NS0_18transform_iteratorINS0_17counting_iteratorImlEEZNS1_24adjacent_difference_implIS3_Lb1ELb0EPsSB_N6thrust23THRUST_200600_302600_NS4plusIsEEEE10hipError_tPvRmT2_T3_mT4_P12ihipStream_tbEUlmE_sEESB_NS0_8identityIvEEEESG_SJ_SK_mSL_SN_bEUlT_E_NS1_11comp_targetILNS1_3genE10ELNS1_11target_archE1200ELNS1_3gpuE4ELNS1_3repE0EEENS1_30default_config_static_selectorELNS0_4arch9wavefront6targetE0EEEvT1_,@function
_ZN7rocprim17ROCPRIM_400000_NS6detail17trampoline_kernelINS0_14default_configENS1_25transform_config_selectorIsLb0EEEZNS1_14transform_implILb0ES3_S5_NS0_18transform_iteratorINS0_17counting_iteratorImlEEZNS1_24adjacent_difference_implIS3_Lb1ELb0EPsSB_N6thrust23THRUST_200600_302600_NS4plusIsEEEE10hipError_tPvRmT2_T3_mT4_P12ihipStream_tbEUlmE_sEESB_NS0_8identityIvEEEESG_SJ_SK_mSL_SN_bEUlT_E_NS1_11comp_targetILNS1_3genE10ELNS1_11target_archE1200ELNS1_3gpuE4ELNS1_3repE0EEENS1_30default_config_static_selectorELNS0_4arch9wavefront6targetE0EEEvT1_: ; @_ZN7rocprim17ROCPRIM_400000_NS6detail17trampoline_kernelINS0_14default_configENS1_25transform_config_selectorIsLb0EEEZNS1_14transform_implILb0ES3_S5_NS0_18transform_iteratorINS0_17counting_iteratorImlEEZNS1_24adjacent_difference_implIS3_Lb1ELb0EPsSB_N6thrust23THRUST_200600_302600_NS4plusIsEEEE10hipError_tPvRmT2_T3_mT4_P12ihipStream_tbEUlmE_sEESB_NS0_8identityIvEEEESG_SJ_SK_mSL_SN_bEUlT_E_NS1_11comp_targetILNS1_3genE10ELNS1_11target_archE1200ELNS1_3gpuE4ELNS1_3repE0EEENS1_30default_config_static_selectorELNS0_4arch9wavefront6targetE0EEEvT1_
; %bb.0:
	.section	.rodata,"a",@progbits
	.p2align	6, 0x0
	.amdhsa_kernel _ZN7rocprim17ROCPRIM_400000_NS6detail17trampoline_kernelINS0_14default_configENS1_25transform_config_selectorIsLb0EEEZNS1_14transform_implILb0ES3_S5_NS0_18transform_iteratorINS0_17counting_iteratorImlEEZNS1_24adjacent_difference_implIS3_Lb1ELb0EPsSB_N6thrust23THRUST_200600_302600_NS4plusIsEEEE10hipError_tPvRmT2_T3_mT4_P12ihipStream_tbEUlmE_sEESB_NS0_8identityIvEEEESG_SJ_SK_mSL_SN_bEUlT_E_NS1_11comp_targetILNS1_3genE10ELNS1_11target_archE1200ELNS1_3gpuE4ELNS1_3repE0EEENS1_30default_config_static_selectorELNS0_4arch9wavefront6targetE0EEEvT1_
		.amdhsa_group_segment_fixed_size 0
		.amdhsa_private_segment_fixed_size 0
		.amdhsa_kernarg_size 56
		.amdhsa_user_sgpr_count 15
		.amdhsa_user_sgpr_dispatch_ptr 0
		.amdhsa_user_sgpr_queue_ptr 0
		.amdhsa_user_sgpr_kernarg_segment_ptr 1
		.amdhsa_user_sgpr_dispatch_id 0
		.amdhsa_user_sgpr_private_segment_size 0
		.amdhsa_wavefront_size32 1
		.amdhsa_uses_dynamic_stack 0
		.amdhsa_enable_private_segment 0
		.amdhsa_system_sgpr_workgroup_id_x 1
		.amdhsa_system_sgpr_workgroup_id_y 0
		.amdhsa_system_sgpr_workgroup_id_z 0
		.amdhsa_system_sgpr_workgroup_info 0
		.amdhsa_system_vgpr_workitem_id 0
		.amdhsa_next_free_vgpr 1
		.amdhsa_next_free_sgpr 1
		.amdhsa_reserve_vcc 0
		.amdhsa_float_round_mode_32 0
		.amdhsa_float_round_mode_16_64 0
		.amdhsa_float_denorm_mode_32 3
		.amdhsa_float_denorm_mode_16_64 3
		.amdhsa_dx10_clamp 1
		.amdhsa_ieee_mode 1
		.amdhsa_fp16_overflow 0
		.amdhsa_workgroup_processor_mode 1
		.amdhsa_memory_ordered 1
		.amdhsa_forward_progress 0
		.amdhsa_shared_vgpr_count 0
		.amdhsa_exception_fp_ieee_invalid_op 0
		.amdhsa_exception_fp_denorm_src 0
		.amdhsa_exception_fp_ieee_div_zero 0
		.amdhsa_exception_fp_ieee_overflow 0
		.amdhsa_exception_fp_ieee_underflow 0
		.amdhsa_exception_fp_ieee_inexact 0
		.amdhsa_exception_int_div_zero 0
	.end_amdhsa_kernel
	.section	.text._ZN7rocprim17ROCPRIM_400000_NS6detail17trampoline_kernelINS0_14default_configENS1_25transform_config_selectorIsLb0EEEZNS1_14transform_implILb0ES3_S5_NS0_18transform_iteratorINS0_17counting_iteratorImlEEZNS1_24adjacent_difference_implIS3_Lb1ELb0EPsSB_N6thrust23THRUST_200600_302600_NS4plusIsEEEE10hipError_tPvRmT2_T3_mT4_P12ihipStream_tbEUlmE_sEESB_NS0_8identityIvEEEESG_SJ_SK_mSL_SN_bEUlT_E_NS1_11comp_targetILNS1_3genE10ELNS1_11target_archE1200ELNS1_3gpuE4ELNS1_3repE0EEENS1_30default_config_static_selectorELNS0_4arch9wavefront6targetE0EEEvT1_,"axG",@progbits,_ZN7rocprim17ROCPRIM_400000_NS6detail17trampoline_kernelINS0_14default_configENS1_25transform_config_selectorIsLb0EEEZNS1_14transform_implILb0ES3_S5_NS0_18transform_iteratorINS0_17counting_iteratorImlEEZNS1_24adjacent_difference_implIS3_Lb1ELb0EPsSB_N6thrust23THRUST_200600_302600_NS4plusIsEEEE10hipError_tPvRmT2_T3_mT4_P12ihipStream_tbEUlmE_sEESB_NS0_8identityIvEEEESG_SJ_SK_mSL_SN_bEUlT_E_NS1_11comp_targetILNS1_3genE10ELNS1_11target_archE1200ELNS1_3gpuE4ELNS1_3repE0EEENS1_30default_config_static_selectorELNS0_4arch9wavefront6targetE0EEEvT1_,comdat
.Lfunc_end397:
	.size	_ZN7rocprim17ROCPRIM_400000_NS6detail17trampoline_kernelINS0_14default_configENS1_25transform_config_selectorIsLb0EEEZNS1_14transform_implILb0ES3_S5_NS0_18transform_iteratorINS0_17counting_iteratorImlEEZNS1_24adjacent_difference_implIS3_Lb1ELb0EPsSB_N6thrust23THRUST_200600_302600_NS4plusIsEEEE10hipError_tPvRmT2_T3_mT4_P12ihipStream_tbEUlmE_sEESB_NS0_8identityIvEEEESG_SJ_SK_mSL_SN_bEUlT_E_NS1_11comp_targetILNS1_3genE10ELNS1_11target_archE1200ELNS1_3gpuE4ELNS1_3repE0EEENS1_30default_config_static_selectorELNS0_4arch9wavefront6targetE0EEEvT1_, .Lfunc_end397-_ZN7rocprim17ROCPRIM_400000_NS6detail17trampoline_kernelINS0_14default_configENS1_25transform_config_selectorIsLb0EEEZNS1_14transform_implILb0ES3_S5_NS0_18transform_iteratorINS0_17counting_iteratorImlEEZNS1_24adjacent_difference_implIS3_Lb1ELb0EPsSB_N6thrust23THRUST_200600_302600_NS4plusIsEEEE10hipError_tPvRmT2_T3_mT4_P12ihipStream_tbEUlmE_sEESB_NS0_8identityIvEEEESG_SJ_SK_mSL_SN_bEUlT_E_NS1_11comp_targetILNS1_3genE10ELNS1_11target_archE1200ELNS1_3gpuE4ELNS1_3repE0EEENS1_30default_config_static_selectorELNS0_4arch9wavefront6targetE0EEEvT1_
                                        ; -- End function
	.section	.AMDGPU.csdata,"",@progbits
; Kernel info:
; codeLenInByte = 0
; NumSgprs: 0
; NumVgprs: 0
; ScratchSize: 0
; MemoryBound: 0
; FloatMode: 240
; IeeeMode: 1
; LDSByteSize: 0 bytes/workgroup (compile time only)
; SGPRBlocks: 0
; VGPRBlocks: 0
; NumSGPRsForWavesPerEU: 1
; NumVGPRsForWavesPerEU: 1
; Occupancy: 16
; WaveLimiterHint : 0
; COMPUTE_PGM_RSRC2:SCRATCH_EN: 0
; COMPUTE_PGM_RSRC2:USER_SGPR: 15
; COMPUTE_PGM_RSRC2:TRAP_HANDLER: 0
; COMPUTE_PGM_RSRC2:TGID_X_EN: 1
; COMPUTE_PGM_RSRC2:TGID_Y_EN: 0
; COMPUTE_PGM_RSRC2:TGID_Z_EN: 0
; COMPUTE_PGM_RSRC2:TIDIG_COMP_CNT: 0
	.section	.text._ZN7rocprim17ROCPRIM_400000_NS6detail17trampoline_kernelINS0_14default_configENS1_25transform_config_selectorIsLb0EEEZNS1_14transform_implILb0ES3_S5_NS0_18transform_iteratorINS0_17counting_iteratorImlEEZNS1_24adjacent_difference_implIS3_Lb1ELb0EPsSB_N6thrust23THRUST_200600_302600_NS4plusIsEEEE10hipError_tPvRmT2_T3_mT4_P12ihipStream_tbEUlmE_sEESB_NS0_8identityIvEEEESG_SJ_SK_mSL_SN_bEUlT_E_NS1_11comp_targetILNS1_3genE9ELNS1_11target_archE1100ELNS1_3gpuE3ELNS1_3repE0EEENS1_30default_config_static_selectorELNS0_4arch9wavefront6targetE0EEEvT1_,"axG",@progbits,_ZN7rocprim17ROCPRIM_400000_NS6detail17trampoline_kernelINS0_14default_configENS1_25transform_config_selectorIsLb0EEEZNS1_14transform_implILb0ES3_S5_NS0_18transform_iteratorINS0_17counting_iteratorImlEEZNS1_24adjacent_difference_implIS3_Lb1ELb0EPsSB_N6thrust23THRUST_200600_302600_NS4plusIsEEEE10hipError_tPvRmT2_T3_mT4_P12ihipStream_tbEUlmE_sEESB_NS0_8identityIvEEEESG_SJ_SK_mSL_SN_bEUlT_E_NS1_11comp_targetILNS1_3genE9ELNS1_11target_archE1100ELNS1_3gpuE3ELNS1_3repE0EEENS1_30default_config_static_selectorELNS0_4arch9wavefront6targetE0EEEvT1_,comdat
	.protected	_ZN7rocprim17ROCPRIM_400000_NS6detail17trampoline_kernelINS0_14default_configENS1_25transform_config_selectorIsLb0EEEZNS1_14transform_implILb0ES3_S5_NS0_18transform_iteratorINS0_17counting_iteratorImlEEZNS1_24adjacent_difference_implIS3_Lb1ELb0EPsSB_N6thrust23THRUST_200600_302600_NS4plusIsEEEE10hipError_tPvRmT2_T3_mT4_P12ihipStream_tbEUlmE_sEESB_NS0_8identityIvEEEESG_SJ_SK_mSL_SN_bEUlT_E_NS1_11comp_targetILNS1_3genE9ELNS1_11target_archE1100ELNS1_3gpuE3ELNS1_3repE0EEENS1_30default_config_static_selectorELNS0_4arch9wavefront6targetE0EEEvT1_ ; -- Begin function _ZN7rocprim17ROCPRIM_400000_NS6detail17trampoline_kernelINS0_14default_configENS1_25transform_config_selectorIsLb0EEEZNS1_14transform_implILb0ES3_S5_NS0_18transform_iteratorINS0_17counting_iteratorImlEEZNS1_24adjacent_difference_implIS3_Lb1ELb0EPsSB_N6thrust23THRUST_200600_302600_NS4plusIsEEEE10hipError_tPvRmT2_T3_mT4_P12ihipStream_tbEUlmE_sEESB_NS0_8identityIvEEEESG_SJ_SK_mSL_SN_bEUlT_E_NS1_11comp_targetILNS1_3genE9ELNS1_11target_archE1100ELNS1_3gpuE3ELNS1_3repE0EEENS1_30default_config_static_selectorELNS0_4arch9wavefront6targetE0EEEvT1_
	.globl	_ZN7rocprim17ROCPRIM_400000_NS6detail17trampoline_kernelINS0_14default_configENS1_25transform_config_selectorIsLb0EEEZNS1_14transform_implILb0ES3_S5_NS0_18transform_iteratorINS0_17counting_iteratorImlEEZNS1_24adjacent_difference_implIS3_Lb1ELb0EPsSB_N6thrust23THRUST_200600_302600_NS4plusIsEEEE10hipError_tPvRmT2_T3_mT4_P12ihipStream_tbEUlmE_sEESB_NS0_8identityIvEEEESG_SJ_SK_mSL_SN_bEUlT_E_NS1_11comp_targetILNS1_3genE9ELNS1_11target_archE1100ELNS1_3gpuE3ELNS1_3repE0EEENS1_30default_config_static_selectorELNS0_4arch9wavefront6targetE0EEEvT1_
	.p2align	8
	.type	_ZN7rocprim17ROCPRIM_400000_NS6detail17trampoline_kernelINS0_14default_configENS1_25transform_config_selectorIsLb0EEEZNS1_14transform_implILb0ES3_S5_NS0_18transform_iteratorINS0_17counting_iteratorImlEEZNS1_24adjacent_difference_implIS3_Lb1ELb0EPsSB_N6thrust23THRUST_200600_302600_NS4plusIsEEEE10hipError_tPvRmT2_T3_mT4_P12ihipStream_tbEUlmE_sEESB_NS0_8identityIvEEEESG_SJ_SK_mSL_SN_bEUlT_E_NS1_11comp_targetILNS1_3genE9ELNS1_11target_archE1100ELNS1_3gpuE3ELNS1_3repE0EEENS1_30default_config_static_selectorELNS0_4arch9wavefront6targetE0EEEvT1_,@function
_ZN7rocprim17ROCPRIM_400000_NS6detail17trampoline_kernelINS0_14default_configENS1_25transform_config_selectorIsLb0EEEZNS1_14transform_implILb0ES3_S5_NS0_18transform_iteratorINS0_17counting_iteratorImlEEZNS1_24adjacent_difference_implIS3_Lb1ELb0EPsSB_N6thrust23THRUST_200600_302600_NS4plusIsEEEE10hipError_tPvRmT2_T3_mT4_P12ihipStream_tbEUlmE_sEESB_NS0_8identityIvEEEESG_SJ_SK_mSL_SN_bEUlT_E_NS1_11comp_targetILNS1_3genE9ELNS1_11target_archE1100ELNS1_3gpuE3ELNS1_3repE0EEENS1_30default_config_static_selectorELNS0_4arch9wavefront6targetE0EEEvT1_: ; @_ZN7rocprim17ROCPRIM_400000_NS6detail17trampoline_kernelINS0_14default_configENS1_25transform_config_selectorIsLb0EEEZNS1_14transform_implILb0ES3_S5_NS0_18transform_iteratorINS0_17counting_iteratorImlEEZNS1_24adjacent_difference_implIS3_Lb1ELb0EPsSB_N6thrust23THRUST_200600_302600_NS4plusIsEEEE10hipError_tPvRmT2_T3_mT4_P12ihipStream_tbEUlmE_sEESB_NS0_8identityIvEEEESG_SJ_SK_mSL_SN_bEUlT_E_NS1_11comp_targetILNS1_3genE9ELNS1_11target_archE1100ELNS1_3gpuE3ELNS1_3repE0EEENS1_30default_config_static_selectorELNS0_4arch9wavefront6targetE0EEEvT1_
; %bb.0:
	s_clause 0x4
	s_load_b128 s[8:11], s[0:1], 0x18
	s_load_b64 s[16:17], s[0:1], 0x28
	s_load_b32 s13, s[0:1], 0x38
	s_load_b128 s[4:7], s[0:1], 0x0
	s_load_b32 s12, s[0:1], 0x10
	v_lshlrev_b32_e32 v3, 1, v0
	s_mov_b32 s3, 0
	s_waitcnt lgkmcnt(0)
	s_lshl_b64 s[0:1], s[8:9], 1
	s_delay_alu instid0(SALU_CYCLE_1)
	s_add_u32 s11, s16, s0
	s_addc_u32 s14, s17, s1
	s_lshl_b32 s2, s15, 11
	s_add_i32 s13, s13, -1
	s_add_u32 s0, s4, s2
	s_addc_u32 s4, s5, 0
	s_add_u32 s1, s0, s8
	s_addc_u32 s5, s4, s9
	s_cmp_lg_u32 s15, s13
	s_mov_b32 s13, -1
	s_cbranch_scc0 .LBB398_2
; %bb.1:
	v_add_co_u32 v4, s0, s1, v0
	s_delay_alu instid0(VALU_DEP_1) | instskip(SKIP_1) | instid1(VALU_DEP_2)
	v_add_co_ci_u32_e64 v6, null, s5, 0, s0
	s_mov_b32 s13, 0
	v_mad_u64_u32 v[1:2], null, v4, s12, 0
	s_lshl_b64 s[8:9], s[12:13], 11
	s_mov_b32 s4, -1
	s_delay_alu instid0(VALU_DEP_1) | instskip(NEXT) | instid1(VALU_DEP_1)
	v_mad_u64_u32 v[4:5], null, v6, s12, v[2:3]
	v_mov_b32_e32 v2, v4
	s_delay_alu instid0(VALU_DEP_1) | instskip(NEXT) | instid1(VALU_DEP_1)
	v_lshlrev_b64 v[1:2], 1, v[1:2]
	v_add_co_u32 v1, vcc_lo, s6, v1
	s_delay_alu instid0(VALU_DEP_2) | instskip(NEXT) | instid1(VALU_DEP_2)
	v_add_co_ci_u32_e32 v2, vcc_lo, s7, v2, vcc_lo
	v_add_co_u32 v4, vcc_lo, v1, s8
	s_delay_alu instid0(VALU_DEP_2)
	v_add_co_ci_u32_e32 v5, vcc_lo, s9, v2, vcc_lo
	s_lshl_b64 s[8:9], s[2:3], 1
	s_clause 0x1
	global_load_u16 v6, v[1:2], off
	global_load_u16 v4, v[4:5], off
	s_add_u32 s8, s11, s8
	s_addc_u32 s9, s14, s9
	v_add_co_u32 v1, s0, s8, v3
	s_delay_alu instid0(VALU_DEP_1)
	v_add_co_ci_u32_e64 v2, null, s9, 0, s0
	s_waitcnt vmcnt(1)
	global_store_b16 v3, v6, s[8:9]
	s_cbranch_execz .LBB398_3
	s_branch .LBB398_12
.LBB398_2:
	s_mov_b32 s4, s3
                                        ; implicit-def: $vgpr4
                                        ; implicit-def: $vgpr1_vgpr2
	s_and_not1_b32 vcc_lo, exec_lo, s13
	s_cbranch_vccnz .LBB398_12
.LBB398_3:
	s_sub_i32 s8, s10, s2
                                        ; implicit-def: $vgpr5
	s_delay_alu instid0(SALU_CYCLE_1)
	v_cmp_gt_u32_e32 vcc_lo, s8, v0
	s_and_saveexec_b32 s9, vcc_lo
	s_cbranch_execz .LBB398_5
; %bb.4:
	s_waitcnt vmcnt(0)
	v_add_co_u32 v4, s0, s1, v0
	s_delay_alu instid0(VALU_DEP_1) | instskip(NEXT) | instid1(VALU_DEP_2)
	v_add_co_ci_u32_e64 v6, null, s5, 0, s0
	v_mad_u64_u32 v[1:2], null, v4, s12, 0
	s_delay_alu instid0(VALU_DEP_1) | instskip(NEXT) | instid1(VALU_DEP_1)
	v_mad_u64_u32 v[4:5], null, v6, s12, v[2:3]
	v_mov_b32_e32 v2, v4
	s_delay_alu instid0(VALU_DEP_1) | instskip(NEXT) | instid1(VALU_DEP_1)
	v_lshlrev_b64 v[1:2], 1, v[1:2]
	v_add_co_u32 v1, s0, s6, v1
	s_delay_alu instid0(VALU_DEP_1)
	v_add_co_ci_u32_e64 v2, s0, s7, v2, s0
	global_load_d16_b16 v5, v[1:2], off
.LBB398_5:
	s_or_b32 exec_lo, exec_lo, s9
	v_or_b32_e32 v0, 0x400, v0
	s_delay_alu instid0(VALU_DEP_1) | instskip(NEXT) | instid1(VALU_DEP_1)
	v_cmp_gt_u32_e64 s0, s8, v0
	s_and_saveexec_b32 s8, s0
	s_cbranch_execz .LBB398_7
; %bb.6:
	v_add_co_u32 v2, s1, s1, v0
	s_waitcnt vmcnt(0)
	v_add_co_ci_u32_e64 v4, null, s5, 0, s1
	s_delay_alu instid0(VALU_DEP_2) | instskip(NEXT) | instid1(VALU_DEP_1)
	v_mad_u64_u32 v[0:1], null, v2, s12, 0
	v_mad_u64_u32 v[6:7], null, v4, s12, v[1:2]
	s_delay_alu instid0(VALU_DEP_1) | instskip(NEXT) | instid1(VALU_DEP_1)
	v_mov_b32_e32 v1, v6
	v_lshlrev_b64 v[0:1], 1, v[0:1]
	s_delay_alu instid0(VALU_DEP_1) | instskip(NEXT) | instid1(VALU_DEP_1)
	v_add_co_u32 v0, s1, s6, v0
	v_add_co_ci_u32_e64 v1, s1, s7, v1, s1
	global_load_d16_hi_b16 v5, v[0:1], off
.LBB398_7:
	s_or_b32 exec_lo, exec_lo, s8
	s_lshl_b64 s[2:3], s[2:3], 1
	s_delay_alu instid0(SALU_CYCLE_1) | instskip(SKIP_2) | instid1(VALU_DEP_1)
	s_add_u32 s1, s11, s2
	s_addc_u32 s2, s14, s3
	v_add_co_u32 v1, s1, s1, v3
	v_add_co_ci_u32_e64 v2, null, s2, 0, s1
	s_and_saveexec_b32 s1, vcc_lo
	s_cbranch_execz .LBB398_9
; %bb.8:
	s_waitcnt vmcnt(0)
	global_store_b16 v[1:2], v5, off
.LBB398_9:
	s_or_b32 exec_lo, exec_lo, s1
                                        ; implicit-def: $vgpr4
	s_and_saveexec_b32 s1, s0
	s_cbranch_execz .LBB398_11
; %bb.10:
	s_waitcnt vmcnt(0)
	v_lshrrev_b32_e32 v4, 16, v5
	s_or_b32 s4, s4, exec_lo
.LBB398_11:
	s_or_b32 exec_lo, exec_lo, s1
.LBB398_12:
	s_and_saveexec_b32 s0, s4
	s_cbranch_execnz .LBB398_14
; %bb.13:
	s_nop 0
	s_sendmsg sendmsg(MSG_DEALLOC_VGPRS)
	s_endpgm
.LBB398_14:
	s_waitcnt vmcnt(0)
	global_store_b16 v[1:2], v4, off offset:2048
	s_nop 0
	s_sendmsg sendmsg(MSG_DEALLOC_VGPRS)
	s_endpgm
	.section	.rodata,"a",@progbits
	.p2align	6, 0x0
	.amdhsa_kernel _ZN7rocprim17ROCPRIM_400000_NS6detail17trampoline_kernelINS0_14default_configENS1_25transform_config_selectorIsLb0EEEZNS1_14transform_implILb0ES3_S5_NS0_18transform_iteratorINS0_17counting_iteratorImlEEZNS1_24adjacent_difference_implIS3_Lb1ELb0EPsSB_N6thrust23THRUST_200600_302600_NS4plusIsEEEE10hipError_tPvRmT2_T3_mT4_P12ihipStream_tbEUlmE_sEESB_NS0_8identityIvEEEESG_SJ_SK_mSL_SN_bEUlT_E_NS1_11comp_targetILNS1_3genE9ELNS1_11target_archE1100ELNS1_3gpuE3ELNS1_3repE0EEENS1_30default_config_static_selectorELNS0_4arch9wavefront6targetE0EEEvT1_
		.amdhsa_group_segment_fixed_size 0
		.amdhsa_private_segment_fixed_size 0
		.amdhsa_kernarg_size 312
		.amdhsa_user_sgpr_count 15
		.amdhsa_user_sgpr_dispatch_ptr 0
		.amdhsa_user_sgpr_queue_ptr 0
		.amdhsa_user_sgpr_kernarg_segment_ptr 1
		.amdhsa_user_sgpr_dispatch_id 0
		.amdhsa_user_sgpr_private_segment_size 0
		.amdhsa_wavefront_size32 1
		.amdhsa_uses_dynamic_stack 0
		.amdhsa_enable_private_segment 0
		.amdhsa_system_sgpr_workgroup_id_x 1
		.amdhsa_system_sgpr_workgroup_id_y 0
		.amdhsa_system_sgpr_workgroup_id_z 0
		.amdhsa_system_sgpr_workgroup_info 0
		.amdhsa_system_vgpr_workitem_id 0
		.amdhsa_next_free_vgpr 8
		.amdhsa_next_free_sgpr 18
		.amdhsa_reserve_vcc 1
		.amdhsa_float_round_mode_32 0
		.amdhsa_float_round_mode_16_64 0
		.amdhsa_float_denorm_mode_32 3
		.amdhsa_float_denorm_mode_16_64 3
		.amdhsa_dx10_clamp 1
		.amdhsa_ieee_mode 1
		.amdhsa_fp16_overflow 0
		.amdhsa_workgroup_processor_mode 1
		.amdhsa_memory_ordered 1
		.amdhsa_forward_progress 0
		.amdhsa_shared_vgpr_count 0
		.amdhsa_exception_fp_ieee_invalid_op 0
		.amdhsa_exception_fp_denorm_src 0
		.amdhsa_exception_fp_ieee_div_zero 0
		.amdhsa_exception_fp_ieee_overflow 0
		.amdhsa_exception_fp_ieee_underflow 0
		.amdhsa_exception_fp_ieee_inexact 0
		.amdhsa_exception_int_div_zero 0
	.end_amdhsa_kernel
	.section	.text._ZN7rocprim17ROCPRIM_400000_NS6detail17trampoline_kernelINS0_14default_configENS1_25transform_config_selectorIsLb0EEEZNS1_14transform_implILb0ES3_S5_NS0_18transform_iteratorINS0_17counting_iteratorImlEEZNS1_24adjacent_difference_implIS3_Lb1ELb0EPsSB_N6thrust23THRUST_200600_302600_NS4plusIsEEEE10hipError_tPvRmT2_T3_mT4_P12ihipStream_tbEUlmE_sEESB_NS0_8identityIvEEEESG_SJ_SK_mSL_SN_bEUlT_E_NS1_11comp_targetILNS1_3genE9ELNS1_11target_archE1100ELNS1_3gpuE3ELNS1_3repE0EEENS1_30default_config_static_selectorELNS0_4arch9wavefront6targetE0EEEvT1_,"axG",@progbits,_ZN7rocprim17ROCPRIM_400000_NS6detail17trampoline_kernelINS0_14default_configENS1_25transform_config_selectorIsLb0EEEZNS1_14transform_implILb0ES3_S5_NS0_18transform_iteratorINS0_17counting_iteratorImlEEZNS1_24adjacent_difference_implIS3_Lb1ELb0EPsSB_N6thrust23THRUST_200600_302600_NS4plusIsEEEE10hipError_tPvRmT2_T3_mT4_P12ihipStream_tbEUlmE_sEESB_NS0_8identityIvEEEESG_SJ_SK_mSL_SN_bEUlT_E_NS1_11comp_targetILNS1_3genE9ELNS1_11target_archE1100ELNS1_3gpuE3ELNS1_3repE0EEENS1_30default_config_static_selectorELNS0_4arch9wavefront6targetE0EEEvT1_,comdat
.Lfunc_end398:
	.size	_ZN7rocprim17ROCPRIM_400000_NS6detail17trampoline_kernelINS0_14default_configENS1_25transform_config_selectorIsLb0EEEZNS1_14transform_implILb0ES3_S5_NS0_18transform_iteratorINS0_17counting_iteratorImlEEZNS1_24adjacent_difference_implIS3_Lb1ELb0EPsSB_N6thrust23THRUST_200600_302600_NS4plusIsEEEE10hipError_tPvRmT2_T3_mT4_P12ihipStream_tbEUlmE_sEESB_NS0_8identityIvEEEESG_SJ_SK_mSL_SN_bEUlT_E_NS1_11comp_targetILNS1_3genE9ELNS1_11target_archE1100ELNS1_3gpuE3ELNS1_3repE0EEENS1_30default_config_static_selectorELNS0_4arch9wavefront6targetE0EEEvT1_, .Lfunc_end398-_ZN7rocprim17ROCPRIM_400000_NS6detail17trampoline_kernelINS0_14default_configENS1_25transform_config_selectorIsLb0EEEZNS1_14transform_implILb0ES3_S5_NS0_18transform_iteratorINS0_17counting_iteratorImlEEZNS1_24adjacent_difference_implIS3_Lb1ELb0EPsSB_N6thrust23THRUST_200600_302600_NS4plusIsEEEE10hipError_tPvRmT2_T3_mT4_P12ihipStream_tbEUlmE_sEESB_NS0_8identityIvEEEESG_SJ_SK_mSL_SN_bEUlT_E_NS1_11comp_targetILNS1_3genE9ELNS1_11target_archE1100ELNS1_3gpuE3ELNS1_3repE0EEENS1_30default_config_static_selectorELNS0_4arch9wavefront6targetE0EEEvT1_
                                        ; -- End function
	.section	.AMDGPU.csdata,"",@progbits
; Kernel info:
; codeLenInByte = 644
; NumSgprs: 20
; NumVgprs: 8
; ScratchSize: 0
; MemoryBound: 0
; FloatMode: 240
; IeeeMode: 1
; LDSByteSize: 0 bytes/workgroup (compile time only)
; SGPRBlocks: 2
; VGPRBlocks: 0
; NumSGPRsForWavesPerEU: 20
; NumVGPRsForWavesPerEU: 8
; Occupancy: 16
; WaveLimiterHint : 0
; COMPUTE_PGM_RSRC2:SCRATCH_EN: 0
; COMPUTE_PGM_RSRC2:USER_SGPR: 15
; COMPUTE_PGM_RSRC2:TRAP_HANDLER: 0
; COMPUTE_PGM_RSRC2:TGID_X_EN: 1
; COMPUTE_PGM_RSRC2:TGID_Y_EN: 0
; COMPUTE_PGM_RSRC2:TGID_Z_EN: 0
; COMPUTE_PGM_RSRC2:TIDIG_COMP_CNT: 0
	.section	.text._ZN7rocprim17ROCPRIM_400000_NS6detail17trampoline_kernelINS0_14default_configENS1_25transform_config_selectorIsLb0EEEZNS1_14transform_implILb0ES3_S5_NS0_18transform_iteratorINS0_17counting_iteratorImlEEZNS1_24adjacent_difference_implIS3_Lb1ELb0EPsSB_N6thrust23THRUST_200600_302600_NS4plusIsEEEE10hipError_tPvRmT2_T3_mT4_P12ihipStream_tbEUlmE_sEESB_NS0_8identityIvEEEESG_SJ_SK_mSL_SN_bEUlT_E_NS1_11comp_targetILNS1_3genE8ELNS1_11target_archE1030ELNS1_3gpuE2ELNS1_3repE0EEENS1_30default_config_static_selectorELNS0_4arch9wavefront6targetE0EEEvT1_,"axG",@progbits,_ZN7rocprim17ROCPRIM_400000_NS6detail17trampoline_kernelINS0_14default_configENS1_25transform_config_selectorIsLb0EEEZNS1_14transform_implILb0ES3_S5_NS0_18transform_iteratorINS0_17counting_iteratorImlEEZNS1_24adjacent_difference_implIS3_Lb1ELb0EPsSB_N6thrust23THRUST_200600_302600_NS4plusIsEEEE10hipError_tPvRmT2_T3_mT4_P12ihipStream_tbEUlmE_sEESB_NS0_8identityIvEEEESG_SJ_SK_mSL_SN_bEUlT_E_NS1_11comp_targetILNS1_3genE8ELNS1_11target_archE1030ELNS1_3gpuE2ELNS1_3repE0EEENS1_30default_config_static_selectorELNS0_4arch9wavefront6targetE0EEEvT1_,comdat
	.protected	_ZN7rocprim17ROCPRIM_400000_NS6detail17trampoline_kernelINS0_14default_configENS1_25transform_config_selectorIsLb0EEEZNS1_14transform_implILb0ES3_S5_NS0_18transform_iteratorINS0_17counting_iteratorImlEEZNS1_24adjacent_difference_implIS3_Lb1ELb0EPsSB_N6thrust23THRUST_200600_302600_NS4plusIsEEEE10hipError_tPvRmT2_T3_mT4_P12ihipStream_tbEUlmE_sEESB_NS0_8identityIvEEEESG_SJ_SK_mSL_SN_bEUlT_E_NS1_11comp_targetILNS1_3genE8ELNS1_11target_archE1030ELNS1_3gpuE2ELNS1_3repE0EEENS1_30default_config_static_selectorELNS0_4arch9wavefront6targetE0EEEvT1_ ; -- Begin function _ZN7rocprim17ROCPRIM_400000_NS6detail17trampoline_kernelINS0_14default_configENS1_25transform_config_selectorIsLb0EEEZNS1_14transform_implILb0ES3_S5_NS0_18transform_iteratorINS0_17counting_iteratorImlEEZNS1_24adjacent_difference_implIS3_Lb1ELb0EPsSB_N6thrust23THRUST_200600_302600_NS4plusIsEEEE10hipError_tPvRmT2_T3_mT4_P12ihipStream_tbEUlmE_sEESB_NS0_8identityIvEEEESG_SJ_SK_mSL_SN_bEUlT_E_NS1_11comp_targetILNS1_3genE8ELNS1_11target_archE1030ELNS1_3gpuE2ELNS1_3repE0EEENS1_30default_config_static_selectorELNS0_4arch9wavefront6targetE0EEEvT1_
	.globl	_ZN7rocprim17ROCPRIM_400000_NS6detail17trampoline_kernelINS0_14default_configENS1_25transform_config_selectorIsLb0EEEZNS1_14transform_implILb0ES3_S5_NS0_18transform_iteratorINS0_17counting_iteratorImlEEZNS1_24adjacent_difference_implIS3_Lb1ELb0EPsSB_N6thrust23THRUST_200600_302600_NS4plusIsEEEE10hipError_tPvRmT2_T3_mT4_P12ihipStream_tbEUlmE_sEESB_NS0_8identityIvEEEESG_SJ_SK_mSL_SN_bEUlT_E_NS1_11comp_targetILNS1_3genE8ELNS1_11target_archE1030ELNS1_3gpuE2ELNS1_3repE0EEENS1_30default_config_static_selectorELNS0_4arch9wavefront6targetE0EEEvT1_
	.p2align	8
	.type	_ZN7rocprim17ROCPRIM_400000_NS6detail17trampoline_kernelINS0_14default_configENS1_25transform_config_selectorIsLb0EEEZNS1_14transform_implILb0ES3_S5_NS0_18transform_iteratorINS0_17counting_iteratorImlEEZNS1_24adjacent_difference_implIS3_Lb1ELb0EPsSB_N6thrust23THRUST_200600_302600_NS4plusIsEEEE10hipError_tPvRmT2_T3_mT4_P12ihipStream_tbEUlmE_sEESB_NS0_8identityIvEEEESG_SJ_SK_mSL_SN_bEUlT_E_NS1_11comp_targetILNS1_3genE8ELNS1_11target_archE1030ELNS1_3gpuE2ELNS1_3repE0EEENS1_30default_config_static_selectorELNS0_4arch9wavefront6targetE0EEEvT1_,@function
_ZN7rocprim17ROCPRIM_400000_NS6detail17trampoline_kernelINS0_14default_configENS1_25transform_config_selectorIsLb0EEEZNS1_14transform_implILb0ES3_S5_NS0_18transform_iteratorINS0_17counting_iteratorImlEEZNS1_24adjacent_difference_implIS3_Lb1ELb0EPsSB_N6thrust23THRUST_200600_302600_NS4plusIsEEEE10hipError_tPvRmT2_T3_mT4_P12ihipStream_tbEUlmE_sEESB_NS0_8identityIvEEEESG_SJ_SK_mSL_SN_bEUlT_E_NS1_11comp_targetILNS1_3genE8ELNS1_11target_archE1030ELNS1_3gpuE2ELNS1_3repE0EEENS1_30default_config_static_selectorELNS0_4arch9wavefront6targetE0EEEvT1_: ; @_ZN7rocprim17ROCPRIM_400000_NS6detail17trampoline_kernelINS0_14default_configENS1_25transform_config_selectorIsLb0EEEZNS1_14transform_implILb0ES3_S5_NS0_18transform_iteratorINS0_17counting_iteratorImlEEZNS1_24adjacent_difference_implIS3_Lb1ELb0EPsSB_N6thrust23THRUST_200600_302600_NS4plusIsEEEE10hipError_tPvRmT2_T3_mT4_P12ihipStream_tbEUlmE_sEESB_NS0_8identityIvEEEESG_SJ_SK_mSL_SN_bEUlT_E_NS1_11comp_targetILNS1_3genE8ELNS1_11target_archE1030ELNS1_3gpuE2ELNS1_3repE0EEENS1_30default_config_static_selectorELNS0_4arch9wavefront6targetE0EEEvT1_
; %bb.0:
	.section	.rodata,"a",@progbits
	.p2align	6, 0x0
	.amdhsa_kernel _ZN7rocprim17ROCPRIM_400000_NS6detail17trampoline_kernelINS0_14default_configENS1_25transform_config_selectorIsLb0EEEZNS1_14transform_implILb0ES3_S5_NS0_18transform_iteratorINS0_17counting_iteratorImlEEZNS1_24adjacent_difference_implIS3_Lb1ELb0EPsSB_N6thrust23THRUST_200600_302600_NS4plusIsEEEE10hipError_tPvRmT2_T3_mT4_P12ihipStream_tbEUlmE_sEESB_NS0_8identityIvEEEESG_SJ_SK_mSL_SN_bEUlT_E_NS1_11comp_targetILNS1_3genE8ELNS1_11target_archE1030ELNS1_3gpuE2ELNS1_3repE0EEENS1_30default_config_static_selectorELNS0_4arch9wavefront6targetE0EEEvT1_
		.amdhsa_group_segment_fixed_size 0
		.amdhsa_private_segment_fixed_size 0
		.amdhsa_kernarg_size 56
		.amdhsa_user_sgpr_count 15
		.amdhsa_user_sgpr_dispatch_ptr 0
		.amdhsa_user_sgpr_queue_ptr 0
		.amdhsa_user_sgpr_kernarg_segment_ptr 1
		.amdhsa_user_sgpr_dispatch_id 0
		.amdhsa_user_sgpr_private_segment_size 0
		.amdhsa_wavefront_size32 1
		.amdhsa_uses_dynamic_stack 0
		.amdhsa_enable_private_segment 0
		.amdhsa_system_sgpr_workgroup_id_x 1
		.amdhsa_system_sgpr_workgroup_id_y 0
		.amdhsa_system_sgpr_workgroup_id_z 0
		.amdhsa_system_sgpr_workgroup_info 0
		.amdhsa_system_vgpr_workitem_id 0
		.amdhsa_next_free_vgpr 1
		.amdhsa_next_free_sgpr 1
		.amdhsa_reserve_vcc 0
		.amdhsa_float_round_mode_32 0
		.amdhsa_float_round_mode_16_64 0
		.amdhsa_float_denorm_mode_32 3
		.amdhsa_float_denorm_mode_16_64 3
		.amdhsa_dx10_clamp 1
		.amdhsa_ieee_mode 1
		.amdhsa_fp16_overflow 0
		.amdhsa_workgroup_processor_mode 1
		.amdhsa_memory_ordered 1
		.amdhsa_forward_progress 0
		.amdhsa_shared_vgpr_count 0
		.amdhsa_exception_fp_ieee_invalid_op 0
		.amdhsa_exception_fp_denorm_src 0
		.amdhsa_exception_fp_ieee_div_zero 0
		.amdhsa_exception_fp_ieee_overflow 0
		.amdhsa_exception_fp_ieee_underflow 0
		.amdhsa_exception_fp_ieee_inexact 0
		.amdhsa_exception_int_div_zero 0
	.end_amdhsa_kernel
	.section	.text._ZN7rocprim17ROCPRIM_400000_NS6detail17trampoline_kernelINS0_14default_configENS1_25transform_config_selectorIsLb0EEEZNS1_14transform_implILb0ES3_S5_NS0_18transform_iteratorINS0_17counting_iteratorImlEEZNS1_24adjacent_difference_implIS3_Lb1ELb0EPsSB_N6thrust23THRUST_200600_302600_NS4plusIsEEEE10hipError_tPvRmT2_T3_mT4_P12ihipStream_tbEUlmE_sEESB_NS0_8identityIvEEEESG_SJ_SK_mSL_SN_bEUlT_E_NS1_11comp_targetILNS1_3genE8ELNS1_11target_archE1030ELNS1_3gpuE2ELNS1_3repE0EEENS1_30default_config_static_selectorELNS0_4arch9wavefront6targetE0EEEvT1_,"axG",@progbits,_ZN7rocprim17ROCPRIM_400000_NS6detail17trampoline_kernelINS0_14default_configENS1_25transform_config_selectorIsLb0EEEZNS1_14transform_implILb0ES3_S5_NS0_18transform_iteratorINS0_17counting_iteratorImlEEZNS1_24adjacent_difference_implIS3_Lb1ELb0EPsSB_N6thrust23THRUST_200600_302600_NS4plusIsEEEE10hipError_tPvRmT2_T3_mT4_P12ihipStream_tbEUlmE_sEESB_NS0_8identityIvEEEESG_SJ_SK_mSL_SN_bEUlT_E_NS1_11comp_targetILNS1_3genE8ELNS1_11target_archE1030ELNS1_3gpuE2ELNS1_3repE0EEENS1_30default_config_static_selectorELNS0_4arch9wavefront6targetE0EEEvT1_,comdat
.Lfunc_end399:
	.size	_ZN7rocprim17ROCPRIM_400000_NS6detail17trampoline_kernelINS0_14default_configENS1_25transform_config_selectorIsLb0EEEZNS1_14transform_implILb0ES3_S5_NS0_18transform_iteratorINS0_17counting_iteratorImlEEZNS1_24adjacent_difference_implIS3_Lb1ELb0EPsSB_N6thrust23THRUST_200600_302600_NS4plusIsEEEE10hipError_tPvRmT2_T3_mT4_P12ihipStream_tbEUlmE_sEESB_NS0_8identityIvEEEESG_SJ_SK_mSL_SN_bEUlT_E_NS1_11comp_targetILNS1_3genE8ELNS1_11target_archE1030ELNS1_3gpuE2ELNS1_3repE0EEENS1_30default_config_static_selectorELNS0_4arch9wavefront6targetE0EEEvT1_, .Lfunc_end399-_ZN7rocprim17ROCPRIM_400000_NS6detail17trampoline_kernelINS0_14default_configENS1_25transform_config_selectorIsLb0EEEZNS1_14transform_implILb0ES3_S5_NS0_18transform_iteratorINS0_17counting_iteratorImlEEZNS1_24adjacent_difference_implIS3_Lb1ELb0EPsSB_N6thrust23THRUST_200600_302600_NS4plusIsEEEE10hipError_tPvRmT2_T3_mT4_P12ihipStream_tbEUlmE_sEESB_NS0_8identityIvEEEESG_SJ_SK_mSL_SN_bEUlT_E_NS1_11comp_targetILNS1_3genE8ELNS1_11target_archE1030ELNS1_3gpuE2ELNS1_3repE0EEENS1_30default_config_static_selectorELNS0_4arch9wavefront6targetE0EEEvT1_
                                        ; -- End function
	.section	.AMDGPU.csdata,"",@progbits
; Kernel info:
; codeLenInByte = 0
; NumSgprs: 0
; NumVgprs: 0
; ScratchSize: 0
; MemoryBound: 0
; FloatMode: 240
; IeeeMode: 1
; LDSByteSize: 0 bytes/workgroup (compile time only)
; SGPRBlocks: 0
; VGPRBlocks: 0
; NumSGPRsForWavesPerEU: 1
; NumVGPRsForWavesPerEU: 1
; Occupancy: 16
; WaveLimiterHint : 0
; COMPUTE_PGM_RSRC2:SCRATCH_EN: 0
; COMPUTE_PGM_RSRC2:USER_SGPR: 15
; COMPUTE_PGM_RSRC2:TRAP_HANDLER: 0
; COMPUTE_PGM_RSRC2:TGID_X_EN: 1
; COMPUTE_PGM_RSRC2:TGID_Y_EN: 0
; COMPUTE_PGM_RSRC2:TGID_Z_EN: 0
; COMPUTE_PGM_RSRC2:TIDIG_COMP_CNT: 0
	.section	.text._ZN7rocprim17ROCPRIM_400000_NS6detail17trampoline_kernelINS0_14default_configENS1_35adjacent_difference_config_selectorILb1EsEEZNS1_24adjacent_difference_implIS3_Lb1ELb0EPsS7_N6thrust23THRUST_200600_302600_NS4plusIsEEEE10hipError_tPvRmT2_T3_mT4_P12ihipStream_tbEUlT_E_NS1_11comp_targetILNS1_3genE0ELNS1_11target_archE4294967295ELNS1_3gpuE0ELNS1_3repE0EEENS1_30default_config_static_selectorELNS0_4arch9wavefront6targetE0EEEvT1_,"axG",@progbits,_ZN7rocprim17ROCPRIM_400000_NS6detail17trampoline_kernelINS0_14default_configENS1_35adjacent_difference_config_selectorILb1EsEEZNS1_24adjacent_difference_implIS3_Lb1ELb0EPsS7_N6thrust23THRUST_200600_302600_NS4plusIsEEEE10hipError_tPvRmT2_T3_mT4_P12ihipStream_tbEUlT_E_NS1_11comp_targetILNS1_3genE0ELNS1_11target_archE4294967295ELNS1_3gpuE0ELNS1_3repE0EEENS1_30default_config_static_selectorELNS0_4arch9wavefront6targetE0EEEvT1_,comdat
	.protected	_ZN7rocprim17ROCPRIM_400000_NS6detail17trampoline_kernelINS0_14default_configENS1_35adjacent_difference_config_selectorILb1EsEEZNS1_24adjacent_difference_implIS3_Lb1ELb0EPsS7_N6thrust23THRUST_200600_302600_NS4plusIsEEEE10hipError_tPvRmT2_T3_mT4_P12ihipStream_tbEUlT_E_NS1_11comp_targetILNS1_3genE0ELNS1_11target_archE4294967295ELNS1_3gpuE0ELNS1_3repE0EEENS1_30default_config_static_selectorELNS0_4arch9wavefront6targetE0EEEvT1_ ; -- Begin function _ZN7rocprim17ROCPRIM_400000_NS6detail17trampoline_kernelINS0_14default_configENS1_35adjacent_difference_config_selectorILb1EsEEZNS1_24adjacent_difference_implIS3_Lb1ELb0EPsS7_N6thrust23THRUST_200600_302600_NS4plusIsEEEE10hipError_tPvRmT2_T3_mT4_P12ihipStream_tbEUlT_E_NS1_11comp_targetILNS1_3genE0ELNS1_11target_archE4294967295ELNS1_3gpuE0ELNS1_3repE0EEENS1_30default_config_static_selectorELNS0_4arch9wavefront6targetE0EEEvT1_
	.globl	_ZN7rocprim17ROCPRIM_400000_NS6detail17trampoline_kernelINS0_14default_configENS1_35adjacent_difference_config_selectorILb1EsEEZNS1_24adjacent_difference_implIS3_Lb1ELb0EPsS7_N6thrust23THRUST_200600_302600_NS4plusIsEEEE10hipError_tPvRmT2_T3_mT4_P12ihipStream_tbEUlT_E_NS1_11comp_targetILNS1_3genE0ELNS1_11target_archE4294967295ELNS1_3gpuE0ELNS1_3repE0EEENS1_30default_config_static_selectorELNS0_4arch9wavefront6targetE0EEEvT1_
	.p2align	8
	.type	_ZN7rocprim17ROCPRIM_400000_NS6detail17trampoline_kernelINS0_14default_configENS1_35adjacent_difference_config_selectorILb1EsEEZNS1_24adjacent_difference_implIS3_Lb1ELb0EPsS7_N6thrust23THRUST_200600_302600_NS4plusIsEEEE10hipError_tPvRmT2_T3_mT4_P12ihipStream_tbEUlT_E_NS1_11comp_targetILNS1_3genE0ELNS1_11target_archE4294967295ELNS1_3gpuE0ELNS1_3repE0EEENS1_30default_config_static_selectorELNS0_4arch9wavefront6targetE0EEEvT1_,@function
_ZN7rocprim17ROCPRIM_400000_NS6detail17trampoline_kernelINS0_14default_configENS1_35adjacent_difference_config_selectorILb1EsEEZNS1_24adjacent_difference_implIS3_Lb1ELb0EPsS7_N6thrust23THRUST_200600_302600_NS4plusIsEEEE10hipError_tPvRmT2_T3_mT4_P12ihipStream_tbEUlT_E_NS1_11comp_targetILNS1_3genE0ELNS1_11target_archE4294967295ELNS1_3gpuE0ELNS1_3repE0EEENS1_30default_config_static_selectorELNS0_4arch9wavefront6targetE0EEEvT1_: ; @_ZN7rocprim17ROCPRIM_400000_NS6detail17trampoline_kernelINS0_14default_configENS1_35adjacent_difference_config_selectorILb1EsEEZNS1_24adjacent_difference_implIS3_Lb1ELb0EPsS7_N6thrust23THRUST_200600_302600_NS4plusIsEEEE10hipError_tPvRmT2_T3_mT4_P12ihipStream_tbEUlT_E_NS1_11comp_targetILNS1_3genE0ELNS1_11target_archE4294967295ELNS1_3gpuE0ELNS1_3repE0EEENS1_30default_config_static_selectorELNS0_4arch9wavefront6targetE0EEEvT1_
; %bb.0:
	.section	.rodata,"a",@progbits
	.p2align	6, 0x0
	.amdhsa_kernel _ZN7rocprim17ROCPRIM_400000_NS6detail17trampoline_kernelINS0_14default_configENS1_35adjacent_difference_config_selectorILb1EsEEZNS1_24adjacent_difference_implIS3_Lb1ELb0EPsS7_N6thrust23THRUST_200600_302600_NS4plusIsEEEE10hipError_tPvRmT2_T3_mT4_P12ihipStream_tbEUlT_E_NS1_11comp_targetILNS1_3genE0ELNS1_11target_archE4294967295ELNS1_3gpuE0ELNS1_3repE0EEENS1_30default_config_static_selectorELNS0_4arch9wavefront6targetE0EEEvT1_
		.amdhsa_group_segment_fixed_size 0
		.amdhsa_private_segment_fixed_size 0
		.amdhsa_kernarg_size 56
		.amdhsa_user_sgpr_count 15
		.amdhsa_user_sgpr_dispatch_ptr 0
		.amdhsa_user_sgpr_queue_ptr 0
		.amdhsa_user_sgpr_kernarg_segment_ptr 1
		.amdhsa_user_sgpr_dispatch_id 0
		.amdhsa_user_sgpr_private_segment_size 0
		.amdhsa_wavefront_size32 1
		.amdhsa_uses_dynamic_stack 0
		.amdhsa_enable_private_segment 0
		.amdhsa_system_sgpr_workgroup_id_x 1
		.amdhsa_system_sgpr_workgroup_id_y 0
		.amdhsa_system_sgpr_workgroup_id_z 0
		.amdhsa_system_sgpr_workgroup_info 0
		.amdhsa_system_vgpr_workitem_id 0
		.amdhsa_next_free_vgpr 1
		.amdhsa_next_free_sgpr 1
		.amdhsa_reserve_vcc 0
		.amdhsa_float_round_mode_32 0
		.amdhsa_float_round_mode_16_64 0
		.amdhsa_float_denorm_mode_32 3
		.amdhsa_float_denorm_mode_16_64 3
		.amdhsa_dx10_clamp 1
		.amdhsa_ieee_mode 1
		.amdhsa_fp16_overflow 0
		.amdhsa_workgroup_processor_mode 1
		.amdhsa_memory_ordered 1
		.amdhsa_forward_progress 0
		.amdhsa_shared_vgpr_count 0
		.amdhsa_exception_fp_ieee_invalid_op 0
		.amdhsa_exception_fp_denorm_src 0
		.amdhsa_exception_fp_ieee_div_zero 0
		.amdhsa_exception_fp_ieee_overflow 0
		.amdhsa_exception_fp_ieee_underflow 0
		.amdhsa_exception_fp_ieee_inexact 0
		.amdhsa_exception_int_div_zero 0
	.end_amdhsa_kernel
	.section	.text._ZN7rocprim17ROCPRIM_400000_NS6detail17trampoline_kernelINS0_14default_configENS1_35adjacent_difference_config_selectorILb1EsEEZNS1_24adjacent_difference_implIS3_Lb1ELb0EPsS7_N6thrust23THRUST_200600_302600_NS4plusIsEEEE10hipError_tPvRmT2_T3_mT4_P12ihipStream_tbEUlT_E_NS1_11comp_targetILNS1_3genE0ELNS1_11target_archE4294967295ELNS1_3gpuE0ELNS1_3repE0EEENS1_30default_config_static_selectorELNS0_4arch9wavefront6targetE0EEEvT1_,"axG",@progbits,_ZN7rocprim17ROCPRIM_400000_NS6detail17trampoline_kernelINS0_14default_configENS1_35adjacent_difference_config_selectorILb1EsEEZNS1_24adjacent_difference_implIS3_Lb1ELb0EPsS7_N6thrust23THRUST_200600_302600_NS4plusIsEEEE10hipError_tPvRmT2_T3_mT4_P12ihipStream_tbEUlT_E_NS1_11comp_targetILNS1_3genE0ELNS1_11target_archE4294967295ELNS1_3gpuE0ELNS1_3repE0EEENS1_30default_config_static_selectorELNS0_4arch9wavefront6targetE0EEEvT1_,comdat
.Lfunc_end400:
	.size	_ZN7rocprim17ROCPRIM_400000_NS6detail17trampoline_kernelINS0_14default_configENS1_35adjacent_difference_config_selectorILb1EsEEZNS1_24adjacent_difference_implIS3_Lb1ELb0EPsS7_N6thrust23THRUST_200600_302600_NS4plusIsEEEE10hipError_tPvRmT2_T3_mT4_P12ihipStream_tbEUlT_E_NS1_11comp_targetILNS1_3genE0ELNS1_11target_archE4294967295ELNS1_3gpuE0ELNS1_3repE0EEENS1_30default_config_static_selectorELNS0_4arch9wavefront6targetE0EEEvT1_, .Lfunc_end400-_ZN7rocprim17ROCPRIM_400000_NS6detail17trampoline_kernelINS0_14default_configENS1_35adjacent_difference_config_selectorILb1EsEEZNS1_24adjacent_difference_implIS3_Lb1ELb0EPsS7_N6thrust23THRUST_200600_302600_NS4plusIsEEEE10hipError_tPvRmT2_T3_mT4_P12ihipStream_tbEUlT_E_NS1_11comp_targetILNS1_3genE0ELNS1_11target_archE4294967295ELNS1_3gpuE0ELNS1_3repE0EEENS1_30default_config_static_selectorELNS0_4arch9wavefront6targetE0EEEvT1_
                                        ; -- End function
	.section	.AMDGPU.csdata,"",@progbits
; Kernel info:
; codeLenInByte = 0
; NumSgprs: 0
; NumVgprs: 0
; ScratchSize: 0
; MemoryBound: 0
; FloatMode: 240
; IeeeMode: 1
; LDSByteSize: 0 bytes/workgroup (compile time only)
; SGPRBlocks: 0
; VGPRBlocks: 0
; NumSGPRsForWavesPerEU: 1
; NumVGPRsForWavesPerEU: 1
; Occupancy: 16
; WaveLimiterHint : 0
; COMPUTE_PGM_RSRC2:SCRATCH_EN: 0
; COMPUTE_PGM_RSRC2:USER_SGPR: 15
; COMPUTE_PGM_RSRC2:TRAP_HANDLER: 0
; COMPUTE_PGM_RSRC2:TGID_X_EN: 1
; COMPUTE_PGM_RSRC2:TGID_Y_EN: 0
; COMPUTE_PGM_RSRC2:TGID_Z_EN: 0
; COMPUTE_PGM_RSRC2:TIDIG_COMP_CNT: 0
	.section	.text._ZN7rocprim17ROCPRIM_400000_NS6detail17trampoline_kernelINS0_14default_configENS1_35adjacent_difference_config_selectorILb1EsEEZNS1_24adjacent_difference_implIS3_Lb1ELb0EPsS7_N6thrust23THRUST_200600_302600_NS4plusIsEEEE10hipError_tPvRmT2_T3_mT4_P12ihipStream_tbEUlT_E_NS1_11comp_targetILNS1_3genE10ELNS1_11target_archE1201ELNS1_3gpuE5ELNS1_3repE0EEENS1_30default_config_static_selectorELNS0_4arch9wavefront6targetE0EEEvT1_,"axG",@progbits,_ZN7rocprim17ROCPRIM_400000_NS6detail17trampoline_kernelINS0_14default_configENS1_35adjacent_difference_config_selectorILb1EsEEZNS1_24adjacent_difference_implIS3_Lb1ELb0EPsS7_N6thrust23THRUST_200600_302600_NS4plusIsEEEE10hipError_tPvRmT2_T3_mT4_P12ihipStream_tbEUlT_E_NS1_11comp_targetILNS1_3genE10ELNS1_11target_archE1201ELNS1_3gpuE5ELNS1_3repE0EEENS1_30default_config_static_selectorELNS0_4arch9wavefront6targetE0EEEvT1_,comdat
	.protected	_ZN7rocprim17ROCPRIM_400000_NS6detail17trampoline_kernelINS0_14default_configENS1_35adjacent_difference_config_selectorILb1EsEEZNS1_24adjacent_difference_implIS3_Lb1ELb0EPsS7_N6thrust23THRUST_200600_302600_NS4plusIsEEEE10hipError_tPvRmT2_T3_mT4_P12ihipStream_tbEUlT_E_NS1_11comp_targetILNS1_3genE10ELNS1_11target_archE1201ELNS1_3gpuE5ELNS1_3repE0EEENS1_30default_config_static_selectorELNS0_4arch9wavefront6targetE0EEEvT1_ ; -- Begin function _ZN7rocprim17ROCPRIM_400000_NS6detail17trampoline_kernelINS0_14default_configENS1_35adjacent_difference_config_selectorILb1EsEEZNS1_24adjacent_difference_implIS3_Lb1ELb0EPsS7_N6thrust23THRUST_200600_302600_NS4plusIsEEEE10hipError_tPvRmT2_T3_mT4_P12ihipStream_tbEUlT_E_NS1_11comp_targetILNS1_3genE10ELNS1_11target_archE1201ELNS1_3gpuE5ELNS1_3repE0EEENS1_30default_config_static_selectorELNS0_4arch9wavefront6targetE0EEEvT1_
	.globl	_ZN7rocprim17ROCPRIM_400000_NS6detail17trampoline_kernelINS0_14default_configENS1_35adjacent_difference_config_selectorILb1EsEEZNS1_24adjacent_difference_implIS3_Lb1ELb0EPsS7_N6thrust23THRUST_200600_302600_NS4plusIsEEEE10hipError_tPvRmT2_T3_mT4_P12ihipStream_tbEUlT_E_NS1_11comp_targetILNS1_3genE10ELNS1_11target_archE1201ELNS1_3gpuE5ELNS1_3repE0EEENS1_30default_config_static_selectorELNS0_4arch9wavefront6targetE0EEEvT1_
	.p2align	8
	.type	_ZN7rocprim17ROCPRIM_400000_NS6detail17trampoline_kernelINS0_14default_configENS1_35adjacent_difference_config_selectorILb1EsEEZNS1_24adjacent_difference_implIS3_Lb1ELb0EPsS7_N6thrust23THRUST_200600_302600_NS4plusIsEEEE10hipError_tPvRmT2_T3_mT4_P12ihipStream_tbEUlT_E_NS1_11comp_targetILNS1_3genE10ELNS1_11target_archE1201ELNS1_3gpuE5ELNS1_3repE0EEENS1_30default_config_static_selectorELNS0_4arch9wavefront6targetE0EEEvT1_,@function
_ZN7rocprim17ROCPRIM_400000_NS6detail17trampoline_kernelINS0_14default_configENS1_35adjacent_difference_config_selectorILb1EsEEZNS1_24adjacent_difference_implIS3_Lb1ELb0EPsS7_N6thrust23THRUST_200600_302600_NS4plusIsEEEE10hipError_tPvRmT2_T3_mT4_P12ihipStream_tbEUlT_E_NS1_11comp_targetILNS1_3genE10ELNS1_11target_archE1201ELNS1_3gpuE5ELNS1_3repE0EEENS1_30default_config_static_selectorELNS0_4arch9wavefront6targetE0EEEvT1_: ; @_ZN7rocprim17ROCPRIM_400000_NS6detail17trampoline_kernelINS0_14default_configENS1_35adjacent_difference_config_selectorILb1EsEEZNS1_24adjacent_difference_implIS3_Lb1ELb0EPsS7_N6thrust23THRUST_200600_302600_NS4plusIsEEEE10hipError_tPvRmT2_T3_mT4_P12ihipStream_tbEUlT_E_NS1_11comp_targetILNS1_3genE10ELNS1_11target_archE1201ELNS1_3gpuE5ELNS1_3repE0EEENS1_30default_config_static_selectorELNS0_4arch9wavefront6targetE0EEEvT1_
; %bb.0:
	.section	.rodata,"a",@progbits
	.p2align	6, 0x0
	.amdhsa_kernel _ZN7rocprim17ROCPRIM_400000_NS6detail17trampoline_kernelINS0_14default_configENS1_35adjacent_difference_config_selectorILb1EsEEZNS1_24adjacent_difference_implIS3_Lb1ELb0EPsS7_N6thrust23THRUST_200600_302600_NS4plusIsEEEE10hipError_tPvRmT2_T3_mT4_P12ihipStream_tbEUlT_E_NS1_11comp_targetILNS1_3genE10ELNS1_11target_archE1201ELNS1_3gpuE5ELNS1_3repE0EEENS1_30default_config_static_selectorELNS0_4arch9wavefront6targetE0EEEvT1_
		.amdhsa_group_segment_fixed_size 0
		.amdhsa_private_segment_fixed_size 0
		.amdhsa_kernarg_size 56
		.amdhsa_user_sgpr_count 15
		.amdhsa_user_sgpr_dispatch_ptr 0
		.amdhsa_user_sgpr_queue_ptr 0
		.amdhsa_user_sgpr_kernarg_segment_ptr 1
		.amdhsa_user_sgpr_dispatch_id 0
		.amdhsa_user_sgpr_private_segment_size 0
		.amdhsa_wavefront_size32 1
		.amdhsa_uses_dynamic_stack 0
		.amdhsa_enable_private_segment 0
		.amdhsa_system_sgpr_workgroup_id_x 1
		.amdhsa_system_sgpr_workgroup_id_y 0
		.amdhsa_system_sgpr_workgroup_id_z 0
		.amdhsa_system_sgpr_workgroup_info 0
		.amdhsa_system_vgpr_workitem_id 0
		.amdhsa_next_free_vgpr 1
		.amdhsa_next_free_sgpr 1
		.amdhsa_reserve_vcc 0
		.amdhsa_float_round_mode_32 0
		.amdhsa_float_round_mode_16_64 0
		.amdhsa_float_denorm_mode_32 3
		.amdhsa_float_denorm_mode_16_64 3
		.amdhsa_dx10_clamp 1
		.amdhsa_ieee_mode 1
		.amdhsa_fp16_overflow 0
		.amdhsa_workgroup_processor_mode 1
		.amdhsa_memory_ordered 1
		.amdhsa_forward_progress 0
		.amdhsa_shared_vgpr_count 0
		.amdhsa_exception_fp_ieee_invalid_op 0
		.amdhsa_exception_fp_denorm_src 0
		.amdhsa_exception_fp_ieee_div_zero 0
		.amdhsa_exception_fp_ieee_overflow 0
		.amdhsa_exception_fp_ieee_underflow 0
		.amdhsa_exception_fp_ieee_inexact 0
		.amdhsa_exception_int_div_zero 0
	.end_amdhsa_kernel
	.section	.text._ZN7rocprim17ROCPRIM_400000_NS6detail17trampoline_kernelINS0_14default_configENS1_35adjacent_difference_config_selectorILb1EsEEZNS1_24adjacent_difference_implIS3_Lb1ELb0EPsS7_N6thrust23THRUST_200600_302600_NS4plusIsEEEE10hipError_tPvRmT2_T3_mT4_P12ihipStream_tbEUlT_E_NS1_11comp_targetILNS1_3genE10ELNS1_11target_archE1201ELNS1_3gpuE5ELNS1_3repE0EEENS1_30default_config_static_selectorELNS0_4arch9wavefront6targetE0EEEvT1_,"axG",@progbits,_ZN7rocprim17ROCPRIM_400000_NS6detail17trampoline_kernelINS0_14default_configENS1_35adjacent_difference_config_selectorILb1EsEEZNS1_24adjacent_difference_implIS3_Lb1ELb0EPsS7_N6thrust23THRUST_200600_302600_NS4plusIsEEEE10hipError_tPvRmT2_T3_mT4_P12ihipStream_tbEUlT_E_NS1_11comp_targetILNS1_3genE10ELNS1_11target_archE1201ELNS1_3gpuE5ELNS1_3repE0EEENS1_30default_config_static_selectorELNS0_4arch9wavefront6targetE0EEEvT1_,comdat
.Lfunc_end401:
	.size	_ZN7rocprim17ROCPRIM_400000_NS6detail17trampoline_kernelINS0_14default_configENS1_35adjacent_difference_config_selectorILb1EsEEZNS1_24adjacent_difference_implIS3_Lb1ELb0EPsS7_N6thrust23THRUST_200600_302600_NS4plusIsEEEE10hipError_tPvRmT2_T3_mT4_P12ihipStream_tbEUlT_E_NS1_11comp_targetILNS1_3genE10ELNS1_11target_archE1201ELNS1_3gpuE5ELNS1_3repE0EEENS1_30default_config_static_selectorELNS0_4arch9wavefront6targetE0EEEvT1_, .Lfunc_end401-_ZN7rocprim17ROCPRIM_400000_NS6detail17trampoline_kernelINS0_14default_configENS1_35adjacent_difference_config_selectorILb1EsEEZNS1_24adjacent_difference_implIS3_Lb1ELb0EPsS7_N6thrust23THRUST_200600_302600_NS4plusIsEEEE10hipError_tPvRmT2_T3_mT4_P12ihipStream_tbEUlT_E_NS1_11comp_targetILNS1_3genE10ELNS1_11target_archE1201ELNS1_3gpuE5ELNS1_3repE0EEENS1_30default_config_static_selectorELNS0_4arch9wavefront6targetE0EEEvT1_
                                        ; -- End function
	.section	.AMDGPU.csdata,"",@progbits
; Kernel info:
; codeLenInByte = 0
; NumSgprs: 0
; NumVgprs: 0
; ScratchSize: 0
; MemoryBound: 0
; FloatMode: 240
; IeeeMode: 1
; LDSByteSize: 0 bytes/workgroup (compile time only)
; SGPRBlocks: 0
; VGPRBlocks: 0
; NumSGPRsForWavesPerEU: 1
; NumVGPRsForWavesPerEU: 1
; Occupancy: 16
; WaveLimiterHint : 0
; COMPUTE_PGM_RSRC2:SCRATCH_EN: 0
; COMPUTE_PGM_RSRC2:USER_SGPR: 15
; COMPUTE_PGM_RSRC2:TRAP_HANDLER: 0
; COMPUTE_PGM_RSRC2:TGID_X_EN: 1
; COMPUTE_PGM_RSRC2:TGID_Y_EN: 0
; COMPUTE_PGM_RSRC2:TGID_Z_EN: 0
; COMPUTE_PGM_RSRC2:TIDIG_COMP_CNT: 0
	.section	.text._ZN7rocprim17ROCPRIM_400000_NS6detail17trampoline_kernelINS0_14default_configENS1_35adjacent_difference_config_selectorILb1EsEEZNS1_24adjacent_difference_implIS3_Lb1ELb0EPsS7_N6thrust23THRUST_200600_302600_NS4plusIsEEEE10hipError_tPvRmT2_T3_mT4_P12ihipStream_tbEUlT_E_NS1_11comp_targetILNS1_3genE5ELNS1_11target_archE942ELNS1_3gpuE9ELNS1_3repE0EEENS1_30default_config_static_selectorELNS0_4arch9wavefront6targetE0EEEvT1_,"axG",@progbits,_ZN7rocprim17ROCPRIM_400000_NS6detail17trampoline_kernelINS0_14default_configENS1_35adjacent_difference_config_selectorILb1EsEEZNS1_24adjacent_difference_implIS3_Lb1ELb0EPsS7_N6thrust23THRUST_200600_302600_NS4plusIsEEEE10hipError_tPvRmT2_T3_mT4_P12ihipStream_tbEUlT_E_NS1_11comp_targetILNS1_3genE5ELNS1_11target_archE942ELNS1_3gpuE9ELNS1_3repE0EEENS1_30default_config_static_selectorELNS0_4arch9wavefront6targetE0EEEvT1_,comdat
	.protected	_ZN7rocprim17ROCPRIM_400000_NS6detail17trampoline_kernelINS0_14default_configENS1_35adjacent_difference_config_selectorILb1EsEEZNS1_24adjacent_difference_implIS3_Lb1ELb0EPsS7_N6thrust23THRUST_200600_302600_NS4plusIsEEEE10hipError_tPvRmT2_T3_mT4_P12ihipStream_tbEUlT_E_NS1_11comp_targetILNS1_3genE5ELNS1_11target_archE942ELNS1_3gpuE9ELNS1_3repE0EEENS1_30default_config_static_selectorELNS0_4arch9wavefront6targetE0EEEvT1_ ; -- Begin function _ZN7rocprim17ROCPRIM_400000_NS6detail17trampoline_kernelINS0_14default_configENS1_35adjacent_difference_config_selectorILb1EsEEZNS1_24adjacent_difference_implIS3_Lb1ELb0EPsS7_N6thrust23THRUST_200600_302600_NS4plusIsEEEE10hipError_tPvRmT2_T3_mT4_P12ihipStream_tbEUlT_E_NS1_11comp_targetILNS1_3genE5ELNS1_11target_archE942ELNS1_3gpuE9ELNS1_3repE0EEENS1_30default_config_static_selectorELNS0_4arch9wavefront6targetE0EEEvT1_
	.globl	_ZN7rocprim17ROCPRIM_400000_NS6detail17trampoline_kernelINS0_14default_configENS1_35adjacent_difference_config_selectorILb1EsEEZNS1_24adjacent_difference_implIS3_Lb1ELb0EPsS7_N6thrust23THRUST_200600_302600_NS4plusIsEEEE10hipError_tPvRmT2_T3_mT4_P12ihipStream_tbEUlT_E_NS1_11comp_targetILNS1_3genE5ELNS1_11target_archE942ELNS1_3gpuE9ELNS1_3repE0EEENS1_30default_config_static_selectorELNS0_4arch9wavefront6targetE0EEEvT1_
	.p2align	8
	.type	_ZN7rocprim17ROCPRIM_400000_NS6detail17trampoline_kernelINS0_14default_configENS1_35adjacent_difference_config_selectorILb1EsEEZNS1_24adjacent_difference_implIS3_Lb1ELb0EPsS7_N6thrust23THRUST_200600_302600_NS4plusIsEEEE10hipError_tPvRmT2_T3_mT4_P12ihipStream_tbEUlT_E_NS1_11comp_targetILNS1_3genE5ELNS1_11target_archE942ELNS1_3gpuE9ELNS1_3repE0EEENS1_30default_config_static_selectorELNS0_4arch9wavefront6targetE0EEEvT1_,@function
_ZN7rocprim17ROCPRIM_400000_NS6detail17trampoline_kernelINS0_14default_configENS1_35adjacent_difference_config_selectorILb1EsEEZNS1_24adjacent_difference_implIS3_Lb1ELb0EPsS7_N6thrust23THRUST_200600_302600_NS4plusIsEEEE10hipError_tPvRmT2_T3_mT4_P12ihipStream_tbEUlT_E_NS1_11comp_targetILNS1_3genE5ELNS1_11target_archE942ELNS1_3gpuE9ELNS1_3repE0EEENS1_30default_config_static_selectorELNS0_4arch9wavefront6targetE0EEEvT1_: ; @_ZN7rocprim17ROCPRIM_400000_NS6detail17trampoline_kernelINS0_14default_configENS1_35adjacent_difference_config_selectorILb1EsEEZNS1_24adjacent_difference_implIS3_Lb1ELb0EPsS7_N6thrust23THRUST_200600_302600_NS4plusIsEEEE10hipError_tPvRmT2_T3_mT4_P12ihipStream_tbEUlT_E_NS1_11comp_targetILNS1_3genE5ELNS1_11target_archE942ELNS1_3gpuE9ELNS1_3repE0EEENS1_30default_config_static_selectorELNS0_4arch9wavefront6targetE0EEEvT1_
; %bb.0:
	.section	.rodata,"a",@progbits
	.p2align	6, 0x0
	.amdhsa_kernel _ZN7rocprim17ROCPRIM_400000_NS6detail17trampoline_kernelINS0_14default_configENS1_35adjacent_difference_config_selectorILb1EsEEZNS1_24adjacent_difference_implIS3_Lb1ELb0EPsS7_N6thrust23THRUST_200600_302600_NS4plusIsEEEE10hipError_tPvRmT2_T3_mT4_P12ihipStream_tbEUlT_E_NS1_11comp_targetILNS1_3genE5ELNS1_11target_archE942ELNS1_3gpuE9ELNS1_3repE0EEENS1_30default_config_static_selectorELNS0_4arch9wavefront6targetE0EEEvT1_
		.amdhsa_group_segment_fixed_size 0
		.amdhsa_private_segment_fixed_size 0
		.amdhsa_kernarg_size 56
		.amdhsa_user_sgpr_count 15
		.amdhsa_user_sgpr_dispatch_ptr 0
		.amdhsa_user_sgpr_queue_ptr 0
		.amdhsa_user_sgpr_kernarg_segment_ptr 1
		.amdhsa_user_sgpr_dispatch_id 0
		.amdhsa_user_sgpr_private_segment_size 0
		.amdhsa_wavefront_size32 1
		.amdhsa_uses_dynamic_stack 0
		.amdhsa_enable_private_segment 0
		.amdhsa_system_sgpr_workgroup_id_x 1
		.amdhsa_system_sgpr_workgroup_id_y 0
		.amdhsa_system_sgpr_workgroup_id_z 0
		.amdhsa_system_sgpr_workgroup_info 0
		.amdhsa_system_vgpr_workitem_id 0
		.amdhsa_next_free_vgpr 1
		.amdhsa_next_free_sgpr 1
		.amdhsa_reserve_vcc 0
		.amdhsa_float_round_mode_32 0
		.amdhsa_float_round_mode_16_64 0
		.amdhsa_float_denorm_mode_32 3
		.amdhsa_float_denorm_mode_16_64 3
		.amdhsa_dx10_clamp 1
		.amdhsa_ieee_mode 1
		.amdhsa_fp16_overflow 0
		.amdhsa_workgroup_processor_mode 1
		.amdhsa_memory_ordered 1
		.amdhsa_forward_progress 0
		.amdhsa_shared_vgpr_count 0
		.amdhsa_exception_fp_ieee_invalid_op 0
		.amdhsa_exception_fp_denorm_src 0
		.amdhsa_exception_fp_ieee_div_zero 0
		.amdhsa_exception_fp_ieee_overflow 0
		.amdhsa_exception_fp_ieee_underflow 0
		.amdhsa_exception_fp_ieee_inexact 0
		.amdhsa_exception_int_div_zero 0
	.end_amdhsa_kernel
	.section	.text._ZN7rocprim17ROCPRIM_400000_NS6detail17trampoline_kernelINS0_14default_configENS1_35adjacent_difference_config_selectorILb1EsEEZNS1_24adjacent_difference_implIS3_Lb1ELb0EPsS7_N6thrust23THRUST_200600_302600_NS4plusIsEEEE10hipError_tPvRmT2_T3_mT4_P12ihipStream_tbEUlT_E_NS1_11comp_targetILNS1_3genE5ELNS1_11target_archE942ELNS1_3gpuE9ELNS1_3repE0EEENS1_30default_config_static_selectorELNS0_4arch9wavefront6targetE0EEEvT1_,"axG",@progbits,_ZN7rocprim17ROCPRIM_400000_NS6detail17trampoline_kernelINS0_14default_configENS1_35adjacent_difference_config_selectorILb1EsEEZNS1_24adjacent_difference_implIS3_Lb1ELb0EPsS7_N6thrust23THRUST_200600_302600_NS4plusIsEEEE10hipError_tPvRmT2_T3_mT4_P12ihipStream_tbEUlT_E_NS1_11comp_targetILNS1_3genE5ELNS1_11target_archE942ELNS1_3gpuE9ELNS1_3repE0EEENS1_30default_config_static_selectorELNS0_4arch9wavefront6targetE0EEEvT1_,comdat
.Lfunc_end402:
	.size	_ZN7rocprim17ROCPRIM_400000_NS6detail17trampoline_kernelINS0_14default_configENS1_35adjacent_difference_config_selectorILb1EsEEZNS1_24adjacent_difference_implIS3_Lb1ELb0EPsS7_N6thrust23THRUST_200600_302600_NS4plusIsEEEE10hipError_tPvRmT2_T3_mT4_P12ihipStream_tbEUlT_E_NS1_11comp_targetILNS1_3genE5ELNS1_11target_archE942ELNS1_3gpuE9ELNS1_3repE0EEENS1_30default_config_static_selectorELNS0_4arch9wavefront6targetE0EEEvT1_, .Lfunc_end402-_ZN7rocprim17ROCPRIM_400000_NS6detail17trampoline_kernelINS0_14default_configENS1_35adjacent_difference_config_selectorILb1EsEEZNS1_24adjacent_difference_implIS3_Lb1ELb0EPsS7_N6thrust23THRUST_200600_302600_NS4plusIsEEEE10hipError_tPvRmT2_T3_mT4_P12ihipStream_tbEUlT_E_NS1_11comp_targetILNS1_3genE5ELNS1_11target_archE942ELNS1_3gpuE9ELNS1_3repE0EEENS1_30default_config_static_selectorELNS0_4arch9wavefront6targetE0EEEvT1_
                                        ; -- End function
	.section	.AMDGPU.csdata,"",@progbits
; Kernel info:
; codeLenInByte = 0
; NumSgprs: 0
; NumVgprs: 0
; ScratchSize: 0
; MemoryBound: 0
; FloatMode: 240
; IeeeMode: 1
; LDSByteSize: 0 bytes/workgroup (compile time only)
; SGPRBlocks: 0
; VGPRBlocks: 0
; NumSGPRsForWavesPerEU: 1
; NumVGPRsForWavesPerEU: 1
; Occupancy: 16
; WaveLimiterHint : 0
; COMPUTE_PGM_RSRC2:SCRATCH_EN: 0
; COMPUTE_PGM_RSRC2:USER_SGPR: 15
; COMPUTE_PGM_RSRC2:TRAP_HANDLER: 0
; COMPUTE_PGM_RSRC2:TGID_X_EN: 1
; COMPUTE_PGM_RSRC2:TGID_Y_EN: 0
; COMPUTE_PGM_RSRC2:TGID_Z_EN: 0
; COMPUTE_PGM_RSRC2:TIDIG_COMP_CNT: 0
	.section	.text._ZN7rocprim17ROCPRIM_400000_NS6detail17trampoline_kernelINS0_14default_configENS1_35adjacent_difference_config_selectorILb1EsEEZNS1_24adjacent_difference_implIS3_Lb1ELb0EPsS7_N6thrust23THRUST_200600_302600_NS4plusIsEEEE10hipError_tPvRmT2_T3_mT4_P12ihipStream_tbEUlT_E_NS1_11comp_targetILNS1_3genE4ELNS1_11target_archE910ELNS1_3gpuE8ELNS1_3repE0EEENS1_30default_config_static_selectorELNS0_4arch9wavefront6targetE0EEEvT1_,"axG",@progbits,_ZN7rocprim17ROCPRIM_400000_NS6detail17trampoline_kernelINS0_14default_configENS1_35adjacent_difference_config_selectorILb1EsEEZNS1_24adjacent_difference_implIS3_Lb1ELb0EPsS7_N6thrust23THRUST_200600_302600_NS4plusIsEEEE10hipError_tPvRmT2_T3_mT4_P12ihipStream_tbEUlT_E_NS1_11comp_targetILNS1_3genE4ELNS1_11target_archE910ELNS1_3gpuE8ELNS1_3repE0EEENS1_30default_config_static_selectorELNS0_4arch9wavefront6targetE0EEEvT1_,comdat
	.protected	_ZN7rocprim17ROCPRIM_400000_NS6detail17trampoline_kernelINS0_14default_configENS1_35adjacent_difference_config_selectorILb1EsEEZNS1_24adjacent_difference_implIS3_Lb1ELb0EPsS7_N6thrust23THRUST_200600_302600_NS4plusIsEEEE10hipError_tPvRmT2_T3_mT4_P12ihipStream_tbEUlT_E_NS1_11comp_targetILNS1_3genE4ELNS1_11target_archE910ELNS1_3gpuE8ELNS1_3repE0EEENS1_30default_config_static_selectorELNS0_4arch9wavefront6targetE0EEEvT1_ ; -- Begin function _ZN7rocprim17ROCPRIM_400000_NS6detail17trampoline_kernelINS0_14default_configENS1_35adjacent_difference_config_selectorILb1EsEEZNS1_24adjacent_difference_implIS3_Lb1ELb0EPsS7_N6thrust23THRUST_200600_302600_NS4plusIsEEEE10hipError_tPvRmT2_T3_mT4_P12ihipStream_tbEUlT_E_NS1_11comp_targetILNS1_3genE4ELNS1_11target_archE910ELNS1_3gpuE8ELNS1_3repE0EEENS1_30default_config_static_selectorELNS0_4arch9wavefront6targetE0EEEvT1_
	.globl	_ZN7rocprim17ROCPRIM_400000_NS6detail17trampoline_kernelINS0_14default_configENS1_35adjacent_difference_config_selectorILb1EsEEZNS1_24adjacent_difference_implIS3_Lb1ELb0EPsS7_N6thrust23THRUST_200600_302600_NS4plusIsEEEE10hipError_tPvRmT2_T3_mT4_P12ihipStream_tbEUlT_E_NS1_11comp_targetILNS1_3genE4ELNS1_11target_archE910ELNS1_3gpuE8ELNS1_3repE0EEENS1_30default_config_static_selectorELNS0_4arch9wavefront6targetE0EEEvT1_
	.p2align	8
	.type	_ZN7rocprim17ROCPRIM_400000_NS6detail17trampoline_kernelINS0_14default_configENS1_35adjacent_difference_config_selectorILb1EsEEZNS1_24adjacent_difference_implIS3_Lb1ELb0EPsS7_N6thrust23THRUST_200600_302600_NS4plusIsEEEE10hipError_tPvRmT2_T3_mT4_P12ihipStream_tbEUlT_E_NS1_11comp_targetILNS1_3genE4ELNS1_11target_archE910ELNS1_3gpuE8ELNS1_3repE0EEENS1_30default_config_static_selectorELNS0_4arch9wavefront6targetE0EEEvT1_,@function
_ZN7rocprim17ROCPRIM_400000_NS6detail17trampoline_kernelINS0_14default_configENS1_35adjacent_difference_config_selectorILb1EsEEZNS1_24adjacent_difference_implIS3_Lb1ELb0EPsS7_N6thrust23THRUST_200600_302600_NS4plusIsEEEE10hipError_tPvRmT2_T3_mT4_P12ihipStream_tbEUlT_E_NS1_11comp_targetILNS1_3genE4ELNS1_11target_archE910ELNS1_3gpuE8ELNS1_3repE0EEENS1_30default_config_static_selectorELNS0_4arch9wavefront6targetE0EEEvT1_: ; @_ZN7rocprim17ROCPRIM_400000_NS6detail17trampoline_kernelINS0_14default_configENS1_35adjacent_difference_config_selectorILb1EsEEZNS1_24adjacent_difference_implIS3_Lb1ELb0EPsS7_N6thrust23THRUST_200600_302600_NS4plusIsEEEE10hipError_tPvRmT2_T3_mT4_P12ihipStream_tbEUlT_E_NS1_11comp_targetILNS1_3genE4ELNS1_11target_archE910ELNS1_3gpuE8ELNS1_3repE0EEENS1_30default_config_static_selectorELNS0_4arch9wavefront6targetE0EEEvT1_
; %bb.0:
	.section	.rodata,"a",@progbits
	.p2align	6, 0x0
	.amdhsa_kernel _ZN7rocprim17ROCPRIM_400000_NS6detail17trampoline_kernelINS0_14default_configENS1_35adjacent_difference_config_selectorILb1EsEEZNS1_24adjacent_difference_implIS3_Lb1ELb0EPsS7_N6thrust23THRUST_200600_302600_NS4plusIsEEEE10hipError_tPvRmT2_T3_mT4_P12ihipStream_tbEUlT_E_NS1_11comp_targetILNS1_3genE4ELNS1_11target_archE910ELNS1_3gpuE8ELNS1_3repE0EEENS1_30default_config_static_selectorELNS0_4arch9wavefront6targetE0EEEvT1_
		.amdhsa_group_segment_fixed_size 0
		.amdhsa_private_segment_fixed_size 0
		.amdhsa_kernarg_size 56
		.amdhsa_user_sgpr_count 15
		.amdhsa_user_sgpr_dispatch_ptr 0
		.amdhsa_user_sgpr_queue_ptr 0
		.amdhsa_user_sgpr_kernarg_segment_ptr 1
		.amdhsa_user_sgpr_dispatch_id 0
		.amdhsa_user_sgpr_private_segment_size 0
		.amdhsa_wavefront_size32 1
		.amdhsa_uses_dynamic_stack 0
		.amdhsa_enable_private_segment 0
		.amdhsa_system_sgpr_workgroup_id_x 1
		.amdhsa_system_sgpr_workgroup_id_y 0
		.amdhsa_system_sgpr_workgroup_id_z 0
		.amdhsa_system_sgpr_workgroup_info 0
		.amdhsa_system_vgpr_workitem_id 0
		.amdhsa_next_free_vgpr 1
		.amdhsa_next_free_sgpr 1
		.amdhsa_reserve_vcc 0
		.amdhsa_float_round_mode_32 0
		.amdhsa_float_round_mode_16_64 0
		.amdhsa_float_denorm_mode_32 3
		.amdhsa_float_denorm_mode_16_64 3
		.amdhsa_dx10_clamp 1
		.amdhsa_ieee_mode 1
		.amdhsa_fp16_overflow 0
		.amdhsa_workgroup_processor_mode 1
		.amdhsa_memory_ordered 1
		.amdhsa_forward_progress 0
		.amdhsa_shared_vgpr_count 0
		.amdhsa_exception_fp_ieee_invalid_op 0
		.amdhsa_exception_fp_denorm_src 0
		.amdhsa_exception_fp_ieee_div_zero 0
		.amdhsa_exception_fp_ieee_overflow 0
		.amdhsa_exception_fp_ieee_underflow 0
		.amdhsa_exception_fp_ieee_inexact 0
		.amdhsa_exception_int_div_zero 0
	.end_amdhsa_kernel
	.section	.text._ZN7rocprim17ROCPRIM_400000_NS6detail17trampoline_kernelINS0_14default_configENS1_35adjacent_difference_config_selectorILb1EsEEZNS1_24adjacent_difference_implIS3_Lb1ELb0EPsS7_N6thrust23THRUST_200600_302600_NS4plusIsEEEE10hipError_tPvRmT2_T3_mT4_P12ihipStream_tbEUlT_E_NS1_11comp_targetILNS1_3genE4ELNS1_11target_archE910ELNS1_3gpuE8ELNS1_3repE0EEENS1_30default_config_static_selectorELNS0_4arch9wavefront6targetE0EEEvT1_,"axG",@progbits,_ZN7rocprim17ROCPRIM_400000_NS6detail17trampoline_kernelINS0_14default_configENS1_35adjacent_difference_config_selectorILb1EsEEZNS1_24adjacent_difference_implIS3_Lb1ELb0EPsS7_N6thrust23THRUST_200600_302600_NS4plusIsEEEE10hipError_tPvRmT2_T3_mT4_P12ihipStream_tbEUlT_E_NS1_11comp_targetILNS1_3genE4ELNS1_11target_archE910ELNS1_3gpuE8ELNS1_3repE0EEENS1_30default_config_static_selectorELNS0_4arch9wavefront6targetE0EEEvT1_,comdat
.Lfunc_end403:
	.size	_ZN7rocprim17ROCPRIM_400000_NS6detail17trampoline_kernelINS0_14default_configENS1_35adjacent_difference_config_selectorILb1EsEEZNS1_24adjacent_difference_implIS3_Lb1ELb0EPsS7_N6thrust23THRUST_200600_302600_NS4plusIsEEEE10hipError_tPvRmT2_T3_mT4_P12ihipStream_tbEUlT_E_NS1_11comp_targetILNS1_3genE4ELNS1_11target_archE910ELNS1_3gpuE8ELNS1_3repE0EEENS1_30default_config_static_selectorELNS0_4arch9wavefront6targetE0EEEvT1_, .Lfunc_end403-_ZN7rocprim17ROCPRIM_400000_NS6detail17trampoline_kernelINS0_14default_configENS1_35adjacent_difference_config_selectorILb1EsEEZNS1_24adjacent_difference_implIS3_Lb1ELb0EPsS7_N6thrust23THRUST_200600_302600_NS4plusIsEEEE10hipError_tPvRmT2_T3_mT4_P12ihipStream_tbEUlT_E_NS1_11comp_targetILNS1_3genE4ELNS1_11target_archE910ELNS1_3gpuE8ELNS1_3repE0EEENS1_30default_config_static_selectorELNS0_4arch9wavefront6targetE0EEEvT1_
                                        ; -- End function
	.section	.AMDGPU.csdata,"",@progbits
; Kernel info:
; codeLenInByte = 0
; NumSgprs: 0
; NumVgprs: 0
; ScratchSize: 0
; MemoryBound: 0
; FloatMode: 240
; IeeeMode: 1
; LDSByteSize: 0 bytes/workgroup (compile time only)
; SGPRBlocks: 0
; VGPRBlocks: 0
; NumSGPRsForWavesPerEU: 1
; NumVGPRsForWavesPerEU: 1
; Occupancy: 16
; WaveLimiterHint : 0
; COMPUTE_PGM_RSRC2:SCRATCH_EN: 0
; COMPUTE_PGM_RSRC2:USER_SGPR: 15
; COMPUTE_PGM_RSRC2:TRAP_HANDLER: 0
; COMPUTE_PGM_RSRC2:TGID_X_EN: 1
; COMPUTE_PGM_RSRC2:TGID_Y_EN: 0
; COMPUTE_PGM_RSRC2:TGID_Z_EN: 0
; COMPUTE_PGM_RSRC2:TIDIG_COMP_CNT: 0
	.section	.text._ZN7rocprim17ROCPRIM_400000_NS6detail17trampoline_kernelINS0_14default_configENS1_35adjacent_difference_config_selectorILb1EsEEZNS1_24adjacent_difference_implIS3_Lb1ELb0EPsS7_N6thrust23THRUST_200600_302600_NS4plusIsEEEE10hipError_tPvRmT2_T3_mT4_P12ihipStream_tbEUlT_E_NS1_11comp_targetILNS1_3genE3ELNS1_11target_archE908ELNS1_3gpuE7ELNS1_3repE0EEENS1_30default_config_static_selectorELNS0_4arch9wavefront6targetE0EEEvT1_,"axG",@progbits,_ZN7rocprim17ROCPRIM_400000_NS6detail17trampoline_kernelINS0_14default_configENS1_35adjacent_difference_config_selectorILb1EsEEZNS1_24adjacent_difference_implIS3_Lb1ELb0EPsS7_N6thrust23THRUST_200600_302600_NS4plusIsEEEE10hipError_tPvRmT2_T3_mT4_P12ihipStream_tbEUlT_E_NS1_11comp_targetILNS1_3genE3ELNS1_11target_archE908ELNS1_3gpuE7ELNS1_3repE0EEENS1_30default_config_static_selectorELNS0_4arch9wavefront6targetE0EEEvT1_,comdat
	.protected	_ZN7rocprim17ROCPRIM_400000_NS6detail17trampoline_kernelINS0_14default_configENS1_35adjacent_difference_config_selectorILb1EsEEZNS1_24adjacent_difference_implIS3_Lb1ELb0EPsS7_N6thrust23THRUST_200600_302600_NS4plusIsEEEE10hipError_tPvRmT2_T3_mT4_P12ihipStream_tbEUlT_E_NS1_11comp_targetILNS1_3genE3ELNS1_11target_archE908ELNS1_3gpuE7ELNS1_3repE0EEENS1_30default_config_static_selectorELNS0_4arch9wavefront6targetE0EEEvT1_ ; -- Begin function _ZN7rocprim17ROCPRIM_400000_NS6detail17trampoline_kernelINS0_14default_configENS1_35adjacent_difference_config_selectorILb1EsEEZNS1_24adjacent_difference_implIS3_Lb1ELb0EPsS7_N6thrust23THRUST_200600_302600_NS4plusIsEEEE10hipError_tPvRmT2_T3_mT4_P12ihipStream_tbEUlT_E_NS1_11comp_targetILNS1_3genE3ELNS1_11target_archE908ELNS1_3gpuE7ELNS1_3repE0EEENS1_30default_config_static_selectorELNS0_4arch9wavefront6targetE0EEEvT1_
	.globl	_ZN7rocprim17ROCPRIM_400000_NS6detail17trampoline_kernelINS0_14default_configENS1_35adjacent_difference_config_selectorILb1EsEEZNS1_24adjacent_difference_implIS3_Lb1ELb0EPsS7_N6thrust23THRUST_200600_302600_NS4plusIsEEEE10hipError_tPvRmT2_T3_mT4_P12ihipStream_tbEUlT_E_NS1_11comp_targetILNS1_3genE3ELNS1_11target_archE908ELNS1_3gpuE7ELNS1_3repE0EEENS1_30default_config_static_selectorELNS0_4arch9wavefront6targetE0EEEvT1_
	.p2align	8
	.type	_ZN7rocprim17ROCPRIM_400000_NS6detail17trampoline_kernelINS0_14default_configENS1_35adjacent_difference_config_selectorILb1EsEEZNS1_24adjacent_difference_implIS3_Lb1ELb0EPsS7_N6thrust23THRUST_200600_302600_NS4plusIsEEEE10hipError_tPvRmT2_T3_mT4_P12ihipStream_tbEUlT_E_NS1_11comp_targetILNS1_3genE3ELNS1_11target_archE908ELNS1_3gpuE7ELNS1_3repE0EEENS1_30default_config_static_selectorELNS0_4arch9wavefront6targetE0EEEvT1_,@function
_ZN7rocprim17ROCPRIM_400000_NS6detail17trampoline_kernelINS0_14default_configENS1_35adjacent_difference_config_selectorILb1EsEEZNS1_24adjacent_difference_implIS3_Lb1ELb0EPsS7_N6thrust23THRUST_200600_302600_NS4plusIsEEEE10hipError_tPvRmT2_T3_mT4_P12ihipStream_tbEUlT_E_NS1_11comp_targetILNS1_3genE3ELNS1_11target_archE908ELNS1_3gpuE7ELNS1_3repE0EEENS1_30default_config_static_selectorELNS0_4arch9wavefront6targetE0EEEvT1_: ; @_ZN7rocprim17ROCPRIM_400000_NS6detail17trampoline_kernelINS0_14default_configENS1_35adjacent_difference_config_selectorILb1EsEEZNS1_24adjacent_difference_implIS3_Lb1ELb0EPsS7_N6thrust23THRUST_200600_302600_NS4plusIsEEEE10hipError_tPvRmT2_T3_mT4_P12ihipStream_tbEUlT_E_NS1_11comp_targetILNS1_3genE3ELNS1_11target_archE908ELNS1_3gpuE7ELNS1_3repE0EEENS1_30default_config_static_selectorELNS0_4arch9wavefront6targetE0EEEvT1_
; %bb.0:
	.section	.rodata,"a",@progbits
	.p2align	6, 0x0
	.amdhsa_kernel _ZN7rocprim17ROCPRIM_400000_NS6detail17trampoline_kernelINS0_14default_configENS1_35adjacent_difference_config_selectorILb1EsEEZNS1_24adjacent_difference_implIS3_Lb1ELb0EPsS7_N6thrust23THRUST_200600_302600_NS4plusIsEEEE10hipError_tPvRmT2_T3_mT4_P12ihipStream_tbEUlT_E_NS1_11comp_targetILNS1_3genE3ELNS1_11target_archE908ELNS1_3gpuE7ELNS1_3repE0EEENS1_30default_config_static_selectorELNS0_4arch9wavefront6targetE0EEEvT1_
		.amdhsa_group_segment_fixed_size 0
		.amdhsa_private_segment_fixed_size 0
		.amdhsa_kernarg_size 56
		.amdhsa_user_sgpr_count 15
		.amdhsa_user_sgpr_dispatch_ptr 0
		.amdhsa_user_sgpr_queue_ptr 0
		.amdhsa_user_sgpr_kernarg_segment_ptr 1
		.amdhsa_user_sgpr_dispatch_id 0
		.amdhsa_user_sgpr_private_segment_size 0
		.amdhsa_wavefront_size32 1
		.amdhsa_uses_dynamic_stack 0
		.amdhsa_enable_private_segment 0
		.amdhsa_system_sgpr_workgroup_id_x 1
		.amdhsa_system_sgpr_workgroup_id_y 0
		.amdhsa_system_sgpr_workgroup_id_z 0
		.amdhsa_system_sgpr_workgroup_info 0
		.amdhsa_system_vgpr_workitem_id 0
		.amdhsa_next_free_vgpr 1
		.amdhsa_next_free_sgpr 1
		.amdhsa_reserve_vcc 0
		.amdhsa_float_round_mode_32 0
		.amdhsa_float_round_mode_16_64 0
		.amdhsa_float_denorm_mode_32 3
		.amdhsa_float_denorm_mode_16_64 3
		.amdhsa_dx10_clamp 1
		.amdhsa_ieee_mode 1
		.amdhsa_fp16_overflow 0
		.amdhsa_workgroup_processor_mode 1
		.amdhsa_memory_ordered 1
		.amdhsa_forward_progress 0
		.amdhsa_shared_vgpr_count 0
		.amdhsa_exception_fp_ieee_invalid_op 0
		.amdhsa_exception_fp_denorm_src 0
		.amdhsa_exception_fp_ieee_div_zero 0
		.amdhsa_exception_fp_ieee_overflow 0
		.amdhsa_exception_fp_ieee_underflow 0
		.amdhsa_exception_fp_ieee_inexact 0
		.amdhsa_exception_int_div_zero 0
	.end_amdhsa_kernel
	.section	.text._ZN7rocprim17ROCPRIM_400000_NS6detail17trampoline_kernelINS0_14default_configENS1_35adjacent_difference_config_selectorILb1EsEEZNS1_24adjacent_difference_implIS3_Lb1ELb0EPsS7_N6thrust23THRUST_200600_302600_NS4plusIsEEEE10hipError_tPvRmT2_T3_mT4_P12ihipStream_tbEUlT_E_NS1_11comp_targetILNS1_3genE3ELNS1_11target_archE908ELNS1_3gpuE7ELNS1_3repE0EEENS1_30default_config_static_selectorELNS0_4arch9wavefront6targetE0EEEvT1_,"axG",@progbits,_ZN7rocprim17ROCPRIM_400000_NS6detail17trampoline_kernelINS0_14default_configENS1_35adjacent_difference_config_selectorILb1EsEEZNS1_24adjacent_difference_implIS3_Lb1ELb0EPsS7_N6thrust23THRUST_200600_302600_NS4plusIsEEEE10hipError_tPvRmT2_T3_mT4_P12ihipStream_tbEUlT_E_NS1_11comp_targetILNS1_3genE3ELNS1_11target_archE908ELNS1_3gpuE7ELNS1_3repE0EEENS1_30default_config_static_selectorELNS0_4arch9wavefront6targetE0EEEvT1_,comdat
.Lfunc_end404:
	.size	_ZN7rocprim17ROCPRIM_400000_NS6detail17trampoline_kernelINS0_14default_configENS1_35adjacent_difference_config_selectorILb1EsEEZNS1_24adjacent_difference_implIS3_Lb1ELb0EPsS7_N6thrust23THRUST_200600_302600_NS4plusIsEEEE10hipError_tPvRmT2_T3_mT4_P12ihipStream_tbEUlT_E_NS1_11comp_targetILNS1_3genE3ELNS1_11target_archE908ELNS1_3gpuE7ELNS1_3repE0EEENS1_30default_config_static_selectorELNS0_4arch9wavefront6targetE0EEEvT1_, .Lfunc_end404-_ZN7rocprim17ROCPRIM_400000_NS6detail17trampoline_kernelINS0_14default_configENS1_35adjacent_difference_config_selectorILb1EsEEZNS1_24adjacent_difference_implIS3_Lb1ELb0EPsS7_N6thrust23THRUST_200600_302600_NS4plusIsEEEE10hipError_tPvRmT2_T3_mT4_P12ihipStream_tbEUlT_E_NS1_11comp_targetILNS1_3genE3ELNS1_11target_archE908ELNS1_3gpuE7ELNS1_3repE0EEENS1_30default_config_static_selectorELNS0_4arch9wavefront6targetE0EEEvT1_
                                        ; -- End function
	.section	.AMDGPU.csdata,"",@progbits
; Kernel info:
; codeLenInByte = 0
; NumSgprs: 0
; NumVgprs: 0
; ScratchSize: 0
; MemoryBound: 0
; FloatMode: 240
; IeeeMode: 1
; LDSByteSize: 0 bytes/workgroup (compile time only)
; SGPRBlocks: 0
; VGPRBlocks: 0
; NumSGPRsForWavesPerEU: 1
; NumVGPRsForWavesPerEU: 1
; Occupancy: 16
; WaveLimiterHint : 0
; COMPUTE_PGM_RSRC2:SCRATCH_EN: 0
; COMPUTE_PGM_RSRC2:USER_SGPR: 15
; COMPUTE_PGM_RSRC2:TRAP_HANDLER: 0
; COMPUTE_PGM_RSRC2:TGID_X_EN: 1
; COMPUTE_PGM_RSRC2:TGID_Y_EN: 0
; COMPUTE_PGM_RSRC2:TGID_Z_EN: 0
; COMPUTE_PGM_RSRC2:TIDIG_COMP_CNT: 0
	.section	.text._ZN7rocprim17ROCPRIM_400000_NS6detail17trampoline_kernelINS0_14default_configENS1_35adjacent_difference_config_selectorILb1EsEEZNS1_24adjacent_difference_implIS3_Lb1ELb0EPsS7_N6thrust23THRUST_200600_302600_NS4plusIsEEEE10hipError_tPvRmT2_T3_mT4_P12ihipStream_tbEUlT_E_NS1_11comp_targetILNS1_3genE2ELNS1_11target_archE906ELNS1_3gpuE6ELNS1_3repE0EEENS1_30default_config_static_selectorELNS0_4arch9wavefront6targetE0EEEvT1_,"axG",@progbits,_ZN7rocprim17ROCPRIM_400000_NS6detail17trampoline_kernelINS0_14default_configENS1_35adjacent_difference_config_selectorILb1EsEEZNS1_24adjacent_difference_implIS3_Lb1ELb0EPsS7_N6thrust23THRUST_200600_302600_NS4plusIsEEEE10hipError_tPvRmT2_T3_mT4_P12ihipStream_tbEUlT_E_NS1_11comp_targetILNS1_3genE2ELNS1_11target_archE906ELNS1_3gpuE6ELNS1_3repE0EEENS1_30default_config_static_selectorELNS0_4arch9wavefront6targetE0EEEvT1_,comdat
	.protected	_ZN7rocprim17ROCPRIM_400000_NS6detail17trampoline_kernelINS0_14default_configENS1_35adjacent_difference_config_selectorILb1EsEEZNS1_24adjacent_difference_implIS3_Lb1ELb0EPsS7_N6thrust23THRUST_200600_302600_NS4plusIsEEEE10hipError_tPvRmT2_T3_mT4_P12ihipStream_tbEUlT_E_NS1_11comp_targetILNS1_3genE2ELNS1_11target_archE906ELNS1_3gpuE6ELNS1_3repE0EEENS1_30default_config_static_selectorELNS0_4arch9wavefront6targetE0EEEvT1_ ; -- Begin function _ZN7rocprim17ROCPRIM_400000_NS6detail17trampoline_kernelINS0_14default_configENS1_35adjacent_difference_config_selectorILb1EsEEZNS1_24adjacent_difference_implIS3_Lb1ELb0EPsS7_N6thrust23THRUST_200600_302600_NS4plusIsEEEE10hipError_tPvRmT2_T3_mT4_P12ihipStream_tbEUlT_E_NS1_11comp_targetILNS1_3genE2ELNS1_11target_archE906ELNS1_3gpuE6ELNS1_3repE0EEENS1_30default_config_static_selectorELNS0_4arch9wavefront6targetE0EEEvT1_
	.globl	_ZN7rocprim17ROCPRIM_400000_NS6detail17trampoline_kernelINS0_14default_configENS1_35adjacent_difference_config_selectorILb1EsEEZNS1_24adjacent_difference_implIS3_Lb1ELb0EPsS7_N6thrust23THRUST_200600_302600_NS4plusIsEEEE10hipError_tPvRmT2_T3_mT4_P12ihipStream_tbEUlT_E_NS1_11comp_targetILNS1_3genE2ELNS1_11target_archE906ELNS1_3gpuE6ELNS1_3repE0EEENS1_30default_config_static_selectorELNS0_4arch9wavefront6targetE0EEEvT1_
	.p2align	8
	.type	_ZN7rocprim17ROCPRIM_400000_NS6detail17trampoline_kernelINS0_14default_configENS1_35adjacent_difference_config_selectorILb1EsEEZNS1_24adjacent_difference_implIS3_Lb1ELb0EPsS7_N6thrust23THRUST_200600_302600_NS4plusIsEEEE10hipError_tPvRmT2_T3_mT4_P12ihipStream_tbEUlT_E_NS1_11comp_targetILNS1_3genE2ELNS1_11target_archE906ELNS1_3gpuE6ELNS1_3repE0EEENS1_30default_config_static_selectorELNS0_4arch9wavefront6targetE0EEEvT1_,@function
_ZN7rocprim17ROCPRIM_400000_NS6detail17trampoline_kernelINS0_14default_configENS1_35adjacent_difference_config_selectorILb1EsEEZNS1_24adjacent_difference_implIS3_Lb1ELb0EPsS7_N6thrust23THRUST_200600_302600_NS4plusIsEEEE10hipError_tPvRmT2_T3_mT4_P12ihipStream_tbEUlT_E_NS1_11comp_targetILNS1_3genE2ELNS1_11target_archE906ELNS1_3gpuE6ELNS1_3repE0EEENS1_30default_config_static_selectorELNS0_4arch9wavefront6targetE0EEEvT1_: ; @_ZN7rocprim17ROCPRIM_400000_NS6detail17trampoline_kernelINS0_14default_configENS1_35adjacent_difference_config_selectorILb1EsEEZNS1_24adjacent_difference_implIS3_Lb1ELb0EPsS7_N6thrust23THRUST_200600_302600_NS4plusIsEEEE10hipError_tPvRmT2_T3_mT4_P12ihipStream_tbEUlT_E_NS1_11comp_targetILNS1_3genE2ELNS1_11target_archE906ELNS1_3gpuE6ELNS1_3repE0EEENS1_30default_config_static_selectorELNS0_4arch9wavefront6targetE0EEEvT1_
; %bb.0:
	.section	.rodata,"a",@progbits
	.p2align	6, 0x0
	.amdhsa_kernel _ZN7rocprim17ROCPRIM_400000_NS6detail17trampoline_kernelINS0_14default_configENS1_35adjacent_difference_config_selectorILb1EsEEZNS1_24adjacent_difference_implIS3_Lb1ELb0EPsS7_N6thrust23THRUST_200600_302600_NS4plusIsEEEE10hipError_tPvRmT2_T3_mT4_P12ihipStream_tbEUlT_E_NS1_11comp_targetILNS1_3genE2ELNS1_11target_archE906ELNS1_3gpuE6ELNS1_3repE0EEENS1_30default_config_static_selectorELNS0_4arch9wavefront6targetE0EEEvT1_
		.amdhsa_group_segment_fixed_size 0
		.amdhsa_private_segment_fixed_size 0
		.amdhsa_kernarg_size 56
		.amdhsa_user_sgpr_count 15
		.amdhsa_user_sgpr_dispatch_ptr 0
		.amdhsa_user_sgpr_queue_ptr 0
		.amdhsa_user_sgpr_kernarg_segment_ptr 1
		.amdhsa_user_sgpr_dispatch_id 0
		.amdhsa_user_sgpr_private_segment_size 0
		.amdhsa_wavefront_size32 1
		.amdhsa_uses_dynamic_stack 0
		.amdhsa_enable_private_segment 0
		.amdhsa_system_sgpr_workgroup_id_x 1
		.amdhsa_system_sgpr_workgroup_id_y 0
		.amdhsa_system_sgpr_workgroup_id_z 0
		.amdhsa_system_sgpr_workgroup_info 0
		.amdhsa_system_vgpr_workitem_id 0
		.amdhsa_next_free_vgpr 1
		.amdhsa_next_free_sgpr 1
		.amdhsa_reserve_vcc 0
		.amdhsa_float_round_mode_32 0
		.amdhsa_float_round_mode_16_64 0
		.amdhsa_float_denorm_mode_32 3
		.amdhsa_float_denorm_mode_16_64 3
		.amdhsa_dx10_clamp 1
		.amdhsa_ieee_mode 1
		.amdhsa_fp16_overflow 0
		.amdhsa_workgroup_processor_mode 1
		.amdhsa_memory_ordered 1
		.amdhsa_forward_progress 0
		.amdhsa_shared_vgpr_count 0
		.amdhsa_exception_fp_ieee_invalid_op 0
		.amdhsa_exception_fp_denorm_src 0
		.amdhsa_exception_fp_ieee_div_zero 0
		.amdhsa_exception_fp_ieee_overflow 0
		.amdhsa_exception_fp_ieee_underflow 0
		.amdhsa_exception_fp_ieee_inexact 0
		.amdhsa_exception_int_div_zero 0
	.end_amdhsa_kernel
	.section	.text._ZN7rocprim17ROCPRIM_400000_NS6detail17trampoline_kernelINS0_14default_configENS1_35adjacent_difference_config_selectorILb1EsEEZNS1_24adjacent_difference_implIS3_Lb1ELb0EPsS7_N6thrust23THRUST_200600_302600_NS4plusIsEEEE10hipError_tPvRmT2_T3_mT4_P12ihipStream_tbEUlT_E_NS1_11comp_targetILNS1_3genE2ELNS1_11target_archE906ELNS1_3gpuE6ELNS1_3repE0EEENS1_30default_config_static_selectorELNS0_4arch9wavefront6targetE0EEEvT1_,"axG",@progbits,_ZN7rocprim17ROCPRIM_400000_NS6detail17trampoline_kernelINS0_14default_configENS1_35adjacent_difference_config_selectorILb1EsEEZNS1_24adjacent_difference_implIS3_Lb1ELb0EPsS7_N6thrust23THRUST_200600_302600_NS4plusIsEEEE10hipError_tPvRmT2_T3_mT4_P12ihipStream_tbEUlT_E_NS1_11comp_targetILNS1_3genE2ELNS1_11target_archE906ELNS1_3gpuE6ELNS1_3repE0EEENS1_30default_config_static_selectorELNS0_4arch9wavefront6targetE0EEEvT1_,comdat
.Lfunc_end405:
	.size	_ZN7rocprim17ROCPRIM_400000_NS6detail17trampoline_kernelINS0_14default_configENS1_35adjacent_difference_config_selectorILb1EsEEZNS1_24adjacent_difference_implIS3_Lb1ELb0EPsS7_N6thrust23THRUST_200600_302600_NS4plusIsEEEE10hipError_tPvRmT2_T3_mT4_P12ihipStream_tbEUlT_E_NS1_11comp_targetILNS1_3genE2ELNS1_11target_archE906ELNS1_3gpuE6ELNS1_3repE0EEENS1_30default_config_static_selectorELNS0_4arch9wavefront6targetE0EEEvT1_, .Lfunc_end405-_ZN7rocprim17ROCPRIM_400000_NS6detail17trampoline_kernelINS0_14default_configENS1_35adjacent_difference_config_selectorILb1EsEEZNS1_24adjacent_difference_implIS3_Lb1ELb0EPsS7_N6thrust23THRUST_200600_302600_NS4plusIsEEEE10hipError_tPvRmT2_T3_mT4_P12ihipStream_tbEUlT_E_NS1_11comp_targetILNS1_3genE2ELNS1_11target_archE906ELNS1_3gpuE6ELNS1_3repE0EEENS1_30default_config_static_selectorELNS0_4arch9wavefront6targetE0EEEvT1_
                                        ; -- End function
	.section	.AMDGPU.csdata,"",@progbits
; Kernel info:
; codeLenInByte = 0
; NumSgprs: 0
; NumVgprs: 0
; ScratchSize: 0
; MemoryBound: 0
; FloatMode: 240
; IeeeMode: 1
; LDSByteSize: 0 bytes/workgroup (compile time only)
; SGPRBlocks: 0
; VGPRBlocks: 0
; NumSGPRsForWavesPerEU: 1
; NumVGPRsForWavesPerEU: 1
; Occupancy: 16
; WaveLimiterHint : 0
; COMPUTE_PGM_RSRC2:SCRATCH_EN: 0
; COMPUTE_PGM_RSRC2:USER_SGPR: 15
; COMPUTE_PGM_RSRC2:TRAP_HANDLER: 0
; COMPUTE_PGM_RSRC2:TGID_X_EN: 1
; COMPUTE_PGM_RSRC2:TGID_Y_EN: 0
; COMPUTE_PGM_RSRC2:TGID_Z_EN: 0
; COMPUTE_PGM_RSRC2:TIDIG_COMP_CNT: 0
	.section	.text._ZN7rocprim17ROCPRIM_400000_NS6detail17trampoline_kernelINS0_14default_configENS1_35adjacent_difference_config_selectorILb1EsEEZNS1_24adjacent_difference_implIS3_Lb1ELb0EPsS7_N6thrust23THRUST_200600_302600_NS4plusIsEEEE10hipError_tPvRmT2_T3_mT4_P12ihipStream_tbEUlT_E_NS1_11comp_targetILNS1_3genE9ELNS1_11target_archE1100ELNS1_3gpuE3ELNS1_3repE0EEENS1_30default_config_static_selectorELNS0_4arch9wavefront6targetE0EEEvT1_,"axG",@progbits,_ZN7rocprim17ROCPRIM_400000_NS6detail17trampoline_kernelINS0_14default_configENS1_35adjacent_difference_config_selectorILb1EsEEZNS1_24adjacent_difference_implIS3_Lb1ELb0EPsS7_N6thrust23THRUST_200600_302600_NS4plusIsEEEE10hipError_tPvRmT2_T3_mT4_P12ihipStream_tbEUlT_E_NS1_11comp_targetILNS1_3genE9ELNS1_11target_archE1100ELNS1_3gpuE3ELNS1_3repE0EEENS1_30default_config_static_selectorELNS0_4arch9wavefront6targetE0EEEvT1_,comdat
	.protected	_ZN7rocprim17ROCPRIM_400000_NS6detail17trampoline_kernelINS0_14default_configENS1_35adjacent_difference_config_selectorILb1EsEEZNS1_24adjacent_difference_implIS3_Lb1ELb0EPsS7_N6thrust23THRUST_200600_302600_NS4plusIsEEEE10hipError_tPvRmT2_T3_mT4_P12ihipStream_tbEUlT_E_NS1_11comp_targetILNS1_3genE9ELNS1_11target_archE1100ELNS1_3gpuE3ELNS1_3repE0EEENS1_30default_config_static_selectorELNS0_4arch9wavefront6targetE0EEEvT1_ ; -- Begin function _ZN7rocprim17ROCPRIM_400000_NS6detail17trampoline_kernelINS0_14default_configENS1_35adjacent_difference_config_selectorILb1EsEEZNS1_24adjacent_difference_implIS3_Lb1ELb0EPsS7_N6thrust23THRUST_200600_302600_NS4plusIsEEEE10hipError_tPvRmT2_T3_mT4_P12ihipStream_tbEUlT_E_NS1_11comp_targetILNS1_3genE9ELNS1_11target_archE1100ELNS1_3gpuE3ELNS1_3repE0EEENS1_30default_config_static_selectorELNS0_4arch9wavefront6targetE0EEEvT1_
	.globl	_ZN7rocprim17ROCPRIM_400000_NS6detail17trampoline_kernelINS0_14default_configENS1_35adjacent_difference_config_selectorILb1EsEEZNS1_24adjacent_difference_implIS3_Lb1ELb0EPsS7_N6thrust23THRUST_200600_302600_NS4plusIsEEEE10hipError_tPvRmT2_T3_mT4_P12ihipStream_tbEUlT_E_NS1_11comp_targetILNS1_3genE9ELNS1_11target_archE1100ELNS1_3gpuE3ELNS1_3repE0EEENS1_30default_config_static_selectorELNS0_4arch9wavefront6targetE0EEEvT1_
	.p2align	8
	.type	_ZN7rocprim17ROCPRIM_400000_NS6detail17trampoline_kernelINS0_14default_configENS1_35adjacent_difference_config_selectorILb1EsEEZNS1_24adjacent_difference_implIS3_Lb1ELb0EPsS7_N6thrust23THRUST_200600_302600_NS4plusIsEEEE10hipError_tPvRmT2_T3_mT4_P12ihipStream_tbEUlT_E_NS1_11comp_targetILNS1_3genE9ELNS1_11target_archE1100ELNS1_3gpuE3ELNS1_3repE0EEENS1_30default_config_static_selectorELNS0_4arch9wavefront6targetE0EEEvT1_,@function
_ZN7rocprim17ROCPRIM_400000_NS6detail17trampoline_kernelINS0_14default_configENS1_35adjacent_difference_config_selectorILb1EsEEZNS1_24adjacent_difference_implIS3_Lb1ELb0EPsS7_N6thrust23THRUST_200600_302600_NS4plusIsEEEE10hipError_tPvRmT2_T3_mT4_P12ihipStream_tbEUlT_E_NS1_11comp_targetILNS1_3genE9ELNS1_11target_archE1100ELNS1_3gpuE3ELNS1_3repE0EEENS1_30default_config_static_selectorELNS0_4arch9wavefront6targetE0EEEvT1_: ; @_ZN7rocprim17ROCPRIM_400000_NS6detail17trampoline_kernelINS0_14default_configENS1_35adjacent_difference_config_selectorILb1EsEEZNS1_24adjacent_difference_implIS3_Lb1ELb0EPsS7_N6thrust23THRUST_200600_302600_NS4plusIsEEEE10hipError_tPvRmT2_T3_mT4_P12ihipStream_tbEUlT_E_NS1_11comp_targetILNS1_3genE9ELNS1_11target_archE1100ELNS1_3gpuE3ELNS1_3repE0EEENS1_30default_config_static_selectorELNS0_4arch9wavefront6targetE0EEEvT1_
; %bb.0:
	s_load_b256 s[4:11], s[0:1], 0x0
	s_mov_b32 s14, s15
	s_waitcnt lgkmcnt(0)
	s_lshl_b64 s[6:7], s[6:7], 1
	s_delay_alu instid0(SALU_CYCLE_1)
	s_add_u32 s23, s4, s6
	s_addc_u32 s24, s5, s7
	s_add_u32 s2, 0, 0x590b2000
	s_addc_u32 s3, 0, 0
	s_mul_hi_u32 s5, s2, 0xfffff480
	s_add_i32 s3, s3, 0x1642c8
	s_sub_i32 s5, s5, s2
	s_mul_i32 s13, s3, 0xfffff480
	s_mul_i32 s4, s2, 0xfffff480
	s_add_i32 s5, s5, s13
	s_mul_hi_u32 s12, s2, s4
	s_mul_i32 s16, s2, s5
	s_mul_hi_u32 s13, s2, s5
	s_mul_hi_u32 s15, s3, s4
	s_mul_i32 s4, s3, s4
	s_add_u32 s12, s12, s16
	s_addc_u32 s13, 0, s13
	s_mul_hi_u32 s17, s3, s5
	s_add_u32 s4, s12, s4
	s_mul_i32 s5, s3, s5
	s_addc_u32 s4, s13, s15
	s_addc_u32 s12, s17, 0
	s_add_u32 s4, s4, s5
	s_delay_alu instid0(SALU_CYCLE_1) | instskip(SKIP_3) | instid1(VALU_DEP_1)
	v_add_co_u32 v1, s2, s2, s4
	s_addc_u32 s4, 0, s12
	s_cmp_lg_u32 s2, 0
	s_addc_u32 s2, s3, s4
	v_readfirstlane_b32 s3, v1
	s_mul_i32 s5, s10, s2
	s_mul_hi_u32 s4, s10, s2
	s_mul_hi_u32 s12, s11, s2
	s_mul_i32 s2, s11, s2
	s_mul_hi_u32 s13, s10, s3
	s_mul_hi_u32 s15, s11, s3
	s_mul_i32 s3, s11, s3
	s_add_u32 s5, s13, s5
	s_addc_u32 s4, 0, s4
	s_add_u32 s3, s5, s3
	s_addc_u32 s3, s4, s15
	s_addc_u32 s4, s12, 0
	s_add_u32 s5, s3, s2
	s_addc_u32 s4, 0, s4
	s_mul_i32 s3, s5, 0xb80
	s_add_u32 s2, s5, 1
	v_sub_co_u32 v1, s3, s10, s3
	s_mul_hi_u32 s12, s5, 0xb80
	s_addc_u32 s13, s4, 0
	s_mul_i32 s15, s4, 0xb80
	s_delay_alu instid0(VALU_DEP_1)
	v_subrev_co_u32 v2, s16, 0xb80, v1
	s_add_u32 s17, s5, 2
	s_addc_u32 s18, s4, 0
	s_add_i32 s12, s12, s15
	s_cmp_lg_u32 s3, 0
	v_readfirstlane_b32 s3, v2
	s_subb_u32 s12, s11, s12
	s_cmp_lg_u32 s16, 0
	s_subb_u32 s15, s12, 0
	s_delay_alu instid0(VALU_DEP_1) | instskip(SKIP_4) | instid1(SALU_CYCLE_1)
	s_cmpk_gt_u32 s3, 0xb7f
	s_cselect_b32 s3, -1, 0
	s_cmp_eq_u32 s15, 0
	v_readfirstlane_b32 s15, v1
	s_cselect_b32 s3, s3, -1
	s_cmp_lg_u32 s3, 0
	s_cselect_b32 s16, s17, s2
	s_cselect_b32 s13, s18, s13
	s_cmpk_gt_u32 s15, 0xb7f
	s_cselect_b32 s2, -1, 0
	s_cmp_eq_u32 s12, 0
	s_cselect_b32 s2, s2, -1
	s_delay_alu instid0(SALU_CYCLE_1)
	s_cmp_lg_u32 s2, 0
	s_load_b128 s[0:3], s[0:1], 0x28
	s_cselect_b32 s13, s13, s4
	s_cselect_b32 s12, s16, s5
	s_mul_i32 s4, s13, 0xb80
	s_mul_hi_u32 s5, s12, 0xb80
	s_mul_i32 s15, s12, 0xb80
	s_add_i32 s5, s5, s4
	s_sub_u32 s4, s10, s15
	s_subb_u32 s5, s11, s5
	s_mov_b32 s15, 0
	s_cmp_lg_u64 s[4:5], 0
	s_mov_b32 s5, -1
	s_cselect_b32 s4, -1, 0
	s_delay_alu instid0(SALU_CYCLE_1) | instskip(NEXT) | instid1(VALU_DEP_1)
	v_cndmask_b32_e64 v1, 0, 1, s4
	v_readfirstlane_b32 s4, v1
	s_delay_alu instid0(VALU_DEP_1)
	s_add_u32 s12, s12, s4
	s_addc_u32 s13, s13, 0
	s_waitcnt lgkmcnt(0)
	s_add_u32 s16, s2, s14
	s_addc_u32 s17, s3, 0
	s_add_u32 s18, s12, -1
	s_addc_u32 s19, s13, -1
	s_mul_i32 s4, s14, 0xb80
	v_cmp_ge_u64_e64 s22, s[16:17], s[18:19]
	s_mul_i32 s11, s18, 0xfffff480
	s_delay_alu instid0(VALU_DEP_1)
	s_and_b32 vcc_lo, exec_lo, s22
	s_cbranch_vccz .LBB406_48
; %bb.1:
	s_mov_b32 s5, s15
	s_add_i32 s25, s11, s10
	s_lshl_b64 s[20:21], s[4:5], 1
	s_mov_b32 s5, exec_lo
	s_add_u32 s20, s23, s20
	s_addc_u32 s21, s24, s21
                                        ; implicit-def: $vgpr1
	v_cmpx_gt_u32_e64 s25, v0
	s_cbranch_execz .LBB406_3
; %bb.2:
	v_lshlrev_b32_e32 v1, 1, v0
	global_load_u16 v1, v1, s[20:21]
.LBB406_3:
	s_or_b32 exec_lo, exec_lo, s5
	v_or_b32_e32 v2, 0x80, v0
	s_delay_alu instid0(VALU_DEP_1)
	v_cmp_gt_u32_e32 vcc_lo, s25, v2
                                        ; implicit-def: $vgpr2
	s_and_saveexec_b32 s5, vcc_lo
	s_cbranch_execz .LBB406_5
; %bb.4:
	v_lshlrev_b32_e32 v2, 1, v0
	global_load_u16 v2, v2, s[20:21] offset:256
.LBB406_5:
	s_or_b32 exec_lo, exec_lo, s5
	v_or_b32_e32 v3, 0x100, v0
	s_delay_alu instid0(VALU_DEP_1)
	v_cmp_gt_u32_e32 vcc_lo, s25, v3
                                        ; implicit-def: $vgpr3
	s_and_saveexec_b32 s5, vcc_lo
	s_cbranch_execz .LBB406_7
; %bb.6:
	v_lshlrev_b32_e32 v3, 1, v0
	global_load_u16 v3, v3, s[20:21] offset:512
.LBB406_7:
	s_or_b32 exec_lo, exec_lo, s5
	v_or_b32_e32 v4, 0x180, v0
	s_delay_alu instid0(VALU_DEP_1)
	v_cmp_gt_u32_e32 vcc_lo, s25, v4
                                        ; implicit-def: $vgpr4
	s_and_saveexec_b32 s5, vcc_lo
	s_cbranch_execz .LBB406_9
; %bb.8:
	v_lshlrev_b32_e32 v4, 1, v0
	global_load_u16 v4, v4, s[20:21] offset:768
.LBB406_9:
	s_or_b32 exec_lo, exec_lo, s5
	v_or_b32_e32 v5, 0x200, v0
	s_delay_alu instid0(VALU_DEP_1)
	v_cmp_gt_u32_e32 vcc_lo, s25, v5
                                        ; implicit-def: $vgpr5
	s_and_saveexec_b32 s5, vcc_lo
	s_cbranch_execz .LBB406_11
; %bb.10:
	v_lshlrev_b32_e32 v5, 1, v0
	global_load_u16 v5, v5, s[20:21] offset:1024
.LBB406_11:
	s_or_b32 exec_lo, exec_lo, s5
	v_or_b32_e32 v6, 0x280, v0
	s_delay_alu instid0(VALU_DEP_1)
	v_cmp_gt_u32_e32 vcc_lo, s25, v6
                                        ; implicit-def: $vgpr6
	s_and_saveexec_b32 s5, vcc_lo
	s_cbranch_execz .LBB406_13
; %bb.12:
	v_lshlrev_b32_e32 v6, 1, v0
	global_load_u16 v6, v6, s[20:21] offset:1280
.LBB406_13:
	s_or_b32 exec_lo, exec_lo, s5
	v_or_b32_e32 v7, 0x300, v0
	s_delay_alu instid0(VALU_DEP_1)
	v_cmp_gt_u32_e32 vcc_lo, s25, v7
                                        ; implicit-def: $vgpr7
	s_and_saveexec_b32 s5, vcc_lo
	s_cbranch_execz .LBB406_15
; %bb.14:
	v_lshlrev_b32_e32 v7, 1, v0
	global_load_u16 v7, v7, s[20:21] offset:1536
.LBB406_15:
	s_or_b32 exec_lo, exec_lo, s5
	v_or_b32_e32 v8, 0x380, v0
	s_delay_alu instid0(VALU_DEP_1)
	v_cmp_gt_u32_e32 vcc_lo, s25, v8
                                        ; implicit-def: $vgpr8
	s_and_saveexec_b32 s5, vcc_lo
	s_cbranch_execz .LBB406_17
; %bb.16:
	v_lshlrev_b32_e32 v8, 1, v0
	global_load_u16 v8, v8, s[20:21] offset:1792
.LBB406_17:
	s_or_b32 exec_lo, exec_lo, s5
	v_or_b32_e32 v9, 0x400, v0
	s_delay_alu instid0(VALU_DEP_1)
	v_cmp_gt_u32_e32 vcc_lo, s25, v9
                                        ; implicit-def: $vgpr9
	s_and_saveexec_b32 s5, vcc_lo
	s_cbranch_execz .LBB406_19
; %bb.18:
	v_lshlrev_b32_e32 v9, 1, v0
	global_load_u16 v9, v9, s[20:21] offset:2048
.LBB406_19:
	s_or_b32 exec_lo, exec_lo, s5
	v_or_b32_e32 v10, 0x480, v0
	s_delay_alu instid0(VALU_DEP_1)
	v_cmp_gt_u32_e32 vcc_lo, s25, v10
                                        ; implicit-def: $vgpr10
	s_and_saveexec_b32 s5, vcc_lo
	s_cbranch_execz .LBB406_21
; %bb.20:
	v_lshlrev_b32_e32 v10, 1, v0
	global_load_u16 v10, v10, s[20:21] offset:2304
.LBB406_21:
	s_or_b32 exec_lo, exec_lo, s5
	v_or_b32_e32 v11, 0x500, v0
	s_delay_alu instid0(VALU_DEP_1)
	v_cmp_gt_u32_e32 vcc_lo, s25, v11
                                        ; implicit-def: $vgpr11
	s_and_saveexec_b32 s5, vcc_lo
	s_cbranch_execz .LBB406_23
; %bb.22:
	v_lshlrev_b32_e32 v11, 1, v0
	global_load_u16 v11, v11, s[20:21] offset:2560
.LBB406_23:
	s_or_b32 exec_lo, exec_lo, s5
	v_or_b32_e32 v12, 0x580, v0
	s_delay_alu instid0(VALU_DEP_1)
	v_cmp_gt_u32_e32 vcc_lo, s25, v12
                                        ; implicit-def: $vgpr12
	s_and_saveexec_b32 s5, vcc_lo
	s_cbranch_execz .LBB406_25
; %bb.24:
	v_lshlrev_b32_e32 v12, 1, v0
	global_load_u16 v12, v12, s[20:21] offset:2816
.LBB406_25:
	s_or_b32 exec_lo, exec_lo, s5
	v_or_b32_e32 v13, 0x600, v0
	s_delay_alu instid0(VALU_DEP_1)
	v_cmp_gt_u32_e32 vcc_lo, s25, v13
                                        ; implicit-def: $vgpr13
	s_and_saveexec_b32 s5, vcc_lo
	s_cbranch_execz .LBB406_27
; %bb.26:
	v_lshlrev_b32_e32 v13, 1, v0
	global_load_u16 v13, v13, s[20:21] offset:3072
.LBB406_27:
	s_or_b32 exec_lo, exec_lo, s5
	v_or_b32_e32 v14, 0x680, v0
	s_delay_alu instid0(VALU_DEP_1)
	v_cmp_gt_u32_e32 vcc_lo, s25, v14
                                        ; implicit-def: $vgpr14
	s_and_saveexec_b32 s5, vcc_lo
	s_cbranch_execz .LBB406_29
; %bb.28:
	v_lshlrev_b32_e32 v14, 1, v0
	global_load_u16 v14, v14, s[20:21] offset:3328
.LBB406_29:
	s_or_b32 exec_lo, exec_lo, s5
	v_or_b32_e32 v15, 0x700, v0
	s_delay_alu instid0(VALU_DEP_1)
	v_cmp_gt_u32_e32 vcc_lo, s25, v15
                                        ; implicit-def: $vgpr15
	s_and_saveexec_b32 s5, vcc_lo
	s_cbranch_execz .LBB406_31
; %bb.30:
	v_lshlrev_b32_e32 v15, 1, v0
	global_load_u16 v15, v15, s[20:21] offset:3584
.LBB406_31:
	s_or_b32 exec_lo, exec_lo, s5
	v_or_b32_e32 v16, 0x780, v0
	s_delay_alu instid0(VALU_DEP_1)
	v_cmp_gt_u32_e32 vcc_lo, s25, v16
                                        ; implicit-def: $vgpr16
	s_and_saveexec_b32 s5, vcc_lo
	s_cbranch_execz .LBB406_33
; %bb.32:
	v_lshlrev_b32_e32 v16, 1, v0
	global_load_u16 v16, v16, s[20:21] offset:3840
.LBB406_33:
	s_or_b32 exec_lo, exec_lo, s5
	v_or_b32_e32 v18, 0x800, v0
	s_mov_b32 s5, exec_lo
                                        ; implicit-def: $vgpr17
	s_delay_alu instid0(VALU_DEP_1)
	v_cmpx_gt_u32_e64 s25, v18
	s_cbranch_execz .LBB406_35
; %bb.34:
	v_lshlrev_b32_e32 v17, 1, v18
	global_load_u16 v17, v17, s[20:21]
.LBB406_35:
	s_or_b32 exec_lo, exec_lo, s5
	v_or_b32_e32 v19, 0x880, v0
	s_mov_b32 s5, exec_lo
                                        ; implicit-def: $vgpr18
	s_delay_alu instid0(VALU_DEP_1)
	v_cmpx_gt_u32_e64 s25, v19
	s_cbranch_execz .LBB406_37
; %bb.36:
	v_lshlrev_b32_e32 v18, 1, v19
	global_load_u16 v18, v18, s[20:21]
.LBB406_37:
	s_or_b32 exec_lo, exec_lo, s5
	v_or_b32_e32 v20, 0x900, v0
	s_mov_b32 s5, exec_lo
                                        ; implicit-def: $vgpr19
	s_delay_alu instid0(VALU_DEP_1)
	v_cmpx_gt_u32_e64 s25, v20
	s_cbranch_execz .LBB406_39
; %bb.38:
	v_lshlrev_b32_e32 v19, 1, v20
	global_load_u16 v19, v19, s[20:21]
.LBB406_39:
	s_or_b32 exec_lo, exec_lo, s5
	v_or_b32_e32 v21, 0x980, v0
	s_mov_b32 s5, exec_lo
                                        ; implicit-def: $vgpr20
	s_delay_alu instid0(VALU_DEP_1)
	v_cmpx_gt_u32_e64 s25, v21
	s_cbranch_execz .LBB406_41
; %bb.40:
	v_lshlrev_b32_e32 v20, 1, v21
	global_load_u16 v20, v20, s[20:21]
.LBB406_41:
	s_or_b32 exec_lo, exec_lo, s5
	v_or_b32_e32 v22, 0xa00, v0
	s_mov_b32 s5, exec_lo
                                        ; implicit-def: $vgpr21
	s_delay_alu instid0(VALU_DEP_1)
	v_cmpx_gt_u32_e64 s25, v22
	s_cbranch_execz .LBB406_43
; %bb.42:
	v_lshlrev_b32_e32 v21, 1, v22
	global_load_u16 v21, v21, s[20:21]
.LBB406_43:
	s_or_b32 exec_lo, exec_lo, s5
	v_or_b32_e32 v23, 0xa80, v0
	s_mov_b32 s5, exec_lo
                                        ; implicit-def: $vgpr22
	s_delay_alu instid0(VALU_DEP_1)
	v_cmpx_gt_u32_e64 s25, v23
	s_cbranch_execz .LBB406_45
; %bb.44:
	v_lshlrev_b32_e32 v22, 1, v23
	global_load_u16 v22, v22, s[20:21]
.LBB406_45:
	s_or_b32 exec_lo, exec_lo, s5
	v_or_b32_e32 v24, 0xb00, v0
	s_mov_b32 s5, exec_lo
                                        ; implicit-def: $vgpr23
	s_delay_alu instid0(VALU_DEP_1)
	v_cmpx_gt_u32_e64 s25, v24
	s_cbranch_execz .LBB406_47
; %bb.46:
	v_lshlrev_b32_e32 v23, 1, v24
	global_load_u16 v23, v23, s[20:21]
.LBB406_47:
	s_or_b32 exec_lo, exec_lo, s5
	v_lshlrev_b32_e32 v24, 1, v0
	s_mov_b32 s5, 0
	s_waitcnt vmcnt(0)
	ds_store_b16 v24, v1
	ds_store_b16 v24, v2 offset:256
	ds_store_b16 v24, v3 offset:512
	;; [unrolled: 1-line block ×22, first 2 shown]
	s_waitcnt lgkmcnt(0)
	s_barrier
.LBB406_48:
	v_lshlrev_b32_e32 v22, 1, v0
	s_and_b32 vcc_lo, exec_lo, s5
	s_cbranch_vccz .LBB406_50
; %bb.49:
	s_mov_b32 s5, 0
	s_delay_alu instid0(SALU_CYCLE_1) | instskip(NEXT) | instid1(SALU_CYCLE_1)
	s_lshl_b64 s[20:21], s[4:5], 1
	s_add_u32 s20, s23, s20
	s_addc_u32 s21, s24, s21
	v_add_co_u32 v1, s5, s20, v22
	s_delay_alu instid0(VALU_DEP_1)
	v_add_co_ci_u32_e64 v2, null, s21, 0, s5
	s_clause 0x8
	global_load_u16 v3, v22, s[20:21]
	global_load_u16 v4, v22, s[20:21] offset:256
	global_load_u16 v5, v22, s[20:21] offset:512
	;; [unrolled: 1-line block ×8, first 2 shown]
	v_add_co_u32 v1, vcc_lo, 0x1000, v1
	v_add_co_ci_u32_e32 v2, vcc_lo, 0, v2, vcc_lo
	s_clause 0xd
	global_load_u16 v12, v22, s[20:21] offset:2304
	global_load_u16 v13, v22, s[20:21] offset:2560
	;; [unrolled: 1-line block ×7, first 2 shown]
	global_load_u16 v19, v[1:2], off
	global_load_u16 v20, v[1:2], off offset:256
	global_load_u16 v21, v[1:2], off offset:512
	;; [unrolled: 1-line block ×6, first 2 shown]
	s_waitcnt vmcnt(22)
	ds_store_b16 v22, v3
	s_waitcnt vmcnt(21)
	ds_store_b16 v22, v4 offset:256
	s_waitcnt vmcnt(20)
	ds_store_b16 v22, v5 offset:512
	;; [unrolled: 2-line block ×22, first 2 shown]
	s_waitcnt lgkmcnt(0)
	s_barrier
.LBB406_50:
	v_mul_u32_u24_e32 v1, 23, v0
	buffer_gl0_inv
	s_cmp_eq_u64 s[16:17], 0
	v_lshlrev_b32_e32 v12, 1, v1
	ds_load_b128 v[5:8], v12
	ds_load_b128 v[1:4], v12 offset:16
	ds_load_b96 v[9:11], v12 offset:32
	ds_load_u16 v23, v12 offset:44
	s_waitcnt lgkmcnt(0)
	s_barrier
	buffer_gl0_inv
	s_cbranch_scc1 .LBB406_55
; %bb.51:
	s_lshl_b64 s[2:3], s[2:3], 1
	v_mov_b32_e32 v12, 0
	s_add_u32 s2, s0, s2
	s_addc_u32 s3, s1, s3
	s_lshl_b64 s[0:1], s[14:15], 1
	s_delay_alu instid0(SALU_CYCLE_1)
	s_add_u32 s0, s2, s0
	s_addc_u32 s1, s3, s1
	s_cmp_eq_u64 s[16:17], s[18:19]
	global_load_u16 v26, v12, s[0:1] offset:-2
	s_cbranch_scc1 .LBB406_56
; %bb.52:
	s_waitcnt vmcnt(0)
	v_mov_b32_e32 v12, v26
	s_mov_b32 s0, 0
	s_mov_b32 s1, exec_lo
	ds_store_b16 v22, v23
	s_waitcnt lgkmcnt(0)
	s_barrier
	buffer_gl0_inv
	v_cmpx_ne_u32_e32 0, v0
	s_cbranch_execz .LBB406_54
; %bb.53:
	v_add_nc_u32_e32 v12, -2, v22
	ds_load_u16 v12, v12
.LBB406_54:
	s_or_b32 exec_lo, exec_lo, s1
	s_waitcnt lgkmcnt(0)
	v_add_nc_u16 v24, v12, v5
	s_branch .LBB406_57
.LBB406_55:
                                        ; implicit-def: $vgpr25
                                        ; implicit-def: $vgpr12_vgpr13
                                        ; implicit-def: $vgpr14_vgpr15
                                        ; implicit-def: $vgpr16_vgpr17
                                        ; implicit-def: $vgpr18_vgpr19
                                        ; implicit-def: $vgpr20_vgpr21
                                        ; implicit-def: $vgpr24
	s_branch .LBB406_62
.LBB406_56:
	s_mov_b32 s0, -1
                                        ; implicit-def: $vgpr24
.LBB406_57:
	v_mov_b32_e32 v13, v10
	v_mov_b32_e32 v15, v4
	v_mov_b32_e32 v17, v2
	v_mov_b32_e32 v19, v8
	v_dual_mov_b32 v21, v6 :: v_dual_mov_b32 v20, v5
	v_dual_mov_b32 v25, v11 :: v_dual_mov_b32 v12, v9
	v_mov_b32_e32 v14, v3
	v_mov_b32_e32 v16, v1
	;; [unrolled: 1-line block ×3, first 2 shown]
	s_and_b32 vcc_lo, exec_lo, s0
	s_cbranch_vccz .LBB406_61
; %bb.58:
	v_mul_u32_u24_e32 v18, 23, v0
	s_mov_b32 s0, exec_lo
	ds_store_b16 v22, v23
	s_waitcnt vmcnt(0) lgkmcnt(0)
	s_barrier
	buffer_gl0_inv
	v_cmpx_ne_u32_e32 0, v0
	s_cbranch_execz .LBB406_60
; %bb.59:
	v_add_nc_u32_e32 v12, -2, v22
	ds_load_u16 v26, v12
.LBB406_60:
	s_or_b32 exec_lo, exec_lo, s0
	v_lshrrev_b32_e32 v17, 16, v10
	v_add_nc_u32_e32 v12, 21, v18
	s_mul_i32 s0, s16, 0xfffff480
	v_lshrrev_b32_e32 v14, 16, v11
	s_add_i32 s0, s0, s10
	v_add_nc_u32_e32 v15, 19, v18
	v_cmp_gt_u32_e32 vcc_lo, s0, v12
	v_add_nc_u32_e32 v13, 22, v18
	v_add_nc_u32_e32 v16, 20, v18
	v_lshrrev_b32_e32 v21, 16, v3
	v_lshrrev_b32_e32 v28, 16, v2
	v_cndmask_b32_e32 v12, 0, v11, vcc_lo
	v_cmp_gt_u32_e32 vcc_lo, s0, v13
	v_lshrrev_b32_e32 v20, 16, v4
	v_lshrrev_b32_e32 v29, 16, v1
	v_add_nc_u32_e32 v19, 14, v18
	v_add_nc_u32_e32 v24, 9, v18
	v_cndmask_b32_e32 v13, 0, v14, vcc_lo
	v_cmp_gt_u32_e32 vcc_lo, s0, v15
	v_lshrrev_b32_e32 v31, 16, v6
	v_add_nc_u32_e32 v27, 10, v18
	v_lshrrev_b32_e32 v32, 16, v5
	v_perm_b32 v25, v13, v12, 0x5040100
	v_cndmask_b32_e32 v14, 0, v10, vcc_lo
	v_cmp_gt_u32_e32 vcc_lo, s0, v16
	v_add_nc_u32_e32 v16, 17, v18
	v_add_nc_u32_e32 v12, 18, v18
	v_dual_cndmask_b32 v15, 0, v17 :: v_dual_add_nc_u32 v30, 2, v18
	s_delay_alu instid0(VALU_DEP_3) | instskip(SKIP_2) | instid1(VALU_DEP_4)
	v_cmp_gt_u32_e32 vcc_lo, s0, v16
	v_lshrrev_b32_e32 v17, 16, v9
	v_add_nc_u32_e32 v16, 16, v18
	v_perm_b32 v13, v15, v14, 0x5040100
	v_cndmask_b32_e32 v14, 0, v9, vcc_lo
	v_cmp_gt_u32_e32 vcc_lo, s0, v12
	v_dual_cndmask_b32 v12, 0, v17 :: v_dual_add_nc_u32 v15, 15, v18
	s_delay_alu instid0(VALU_DEP_1) | instskip(SKIP_1) | instid1(VALU_DEP_3)
	v_cmp_gt_u32_e32 vcc_lo, s0, v15
	v_add_nc_u32_e32 v17, 13, v18
	v_perm_b32 v12, v12, v14, 0x5040100
	v_cndmask_b32_e32 v15, 0, v4, vcc_lo
	v_cmp_gt_u32_e32 vcc_lo, s0, v16
	v_cndmask_b32_e32 v16, 0, v20, vcc_lo
	v_cmp_gt_u32_e32 vcc_lo, s0, v17
	v_add_nc_u32_e32 v20, 11, v18
	s_delay_alu instid0(VALU_DEP_3)
	v_perm_b32 v15, v16, v15, 0x5040100
	v_cndmask_b32_e32 v17, 0, v3, vcc_lo
	v_cmp_gt_u32_e32 vcc_lo, s0, v19
	v_cndmask_b32_e32 v19, 0, v21, vcc_lo
	v_add_nc_u32_e32 v21, 12, v18
	v_cmp_gt_u32_e32 vcc_lo, s0, v20
	s_delay_alu instid0(VALU_DEP_3)
	v_perm_b32 v14, v19, v17, 0x5040100
	v_add_nc_u32_e32 v19, 7, v18
	v_cndmask_b32_e32 v20, 0, v2, vcc_lo
	v_cmp_gt_u32_e32 vcc_lo, s0, v21
	v_cndmask_b32_e32 v21, 0, v28, vcc_lo
	v_cmp_gt_u32_e32 vcc_lo, s0, v24
	v_lshrrev_b32_e32 v28, 16, v7
	s_delay_alu instid0(VALU_DEP_3)
	v_perm_b32 v17, v21, v20, 0x5040100
	v_cndmask_b32_e32 v24, 0, v1, vcc_lo
	v_cmp_gt_u32_e32 vcc_lo, s0, v27
	v_add_nc_u32_e32 v20, 8, v18
	v_add_nc_u32_e32 v21, 5, v18
	v_cndmask_b32_e32 v27, 0, v29, vcc_lo
	v_cmp_gt_u32_e32 vcc_lo, s0, v19
	v_add_nc_u32_e32 v29, 1, v18
	s_delay_alu instid0(VALU_DEP_3) | instskip(SKIP_4) | instid1(VALU_DEP_4)
	v_perm_b32 v16, v27, v24, 0x5040100
	v_lshrrev_b32_e32 v27, 16, v8
	v_cndmask_b32_e32 v19, 0, v8, vcc_lo
	v_cmp_gt_u32_e32 vcc_lo, s0, v20
	v_add_nc_u32_e32 v24, 6, v18
	v_cndmask_b32_e32 v20, 0, v27, vcc_lo
	v_cmp_gt_u32_e32 vcc_lo, s0, v21
	v_add_nc_u32_e32 v27, 3, v18
	s_delay_alu instid0(VALU_DEP_3)
	v_perm_b32 v19, v20, v19, 0x5040100
	v_cndmask_b32_e32 v21, 0, v7, vcc_lo
	v_cmp_gt_u32_e32 vcc_lo, s0, v24
	v_cndmask_b32_e32 v24, 0, v28, vcc_lo
	v_add_nc_u32_e32 v28, 4, v18
	v_cmp_gt_u32_e32 vcc_lo, s0, v27
	v_cndmask_b32_e32 v27, 0, v6, vcc_lo
	s_delay_alu instid0(VALU_DEP_3)
	v_cmp_gt_u32_e32 vcc_lo, s0, v28
	v_cndmask_b32_e32 v28, 0, v31, vcc_lo
	v_cmp_gt_u32_e32 vcc_lo, s0, v29
	v_cndmask_b32_e32 v29, 0, v5, vcc_lo
	;; [unrolled: 2-line block ×3, first 2 shown]
	v_cmp_gt_u32_e32 vcc_lo, s0, v18
	v_perm_b32 v18, v24, v21, 0x5040100
	v_perm_b32 v21, v28, v27, 0x5040100
	s_delay_alu instid0(VALU_DEP_4) | instskip(SKIP_2) | instid1(VALU_DEP_1)
	v_perm_b32 v20, v30, v29, 0x5040100
	s_waitcnt lgkmcnt(0)
	v_cndmask_b32_e32 v26, 0, v26, vcc_lo
	v_add_nc_u16 v24, v26, v5
.LBB406_61:
	s_cbranch_execnz .LBB406_71
.LBB406_62:
	v_cmp_ne_u32_e32 vcc_lo, 0, v0
	s_cmp_eq_u64 s[12:13], 1
	s_cbranch_scc1 .LBB406_66
; %bb.63:
	v_mov_b32_e32 v24, v5
	s_mov_b32 s0, 0
	ds_store_b16 v22, v23
	s_waitcnt vmcnt(0) lgkmcnt(0)
	s_barrier
	buffer_gl0_inv
	s_and_saveexec_b32 s1, vcc_lo
	s_cbranch_execz .LBB406_65
; %bb.64:
	v_add_nc_u32_e32 v12, -2, v22
	ds_load_u16 v12, v12
	s_waitcnt lgkmcnt(0)
	v_add_nc_u16 v24, v12, v5
.LBB406_65:
	s_or_b32 exec_lo, exec_lo, s1
	s_branch .LBB406_67
.LBB406_66:
	s_mov_b32 s0, -1
                                        ; implicit-def: $vgpr24
.LBB406_67:
	v_mov_b32_e32 v13, v10
	v_mov_b32_e32 v15, v4
	;; [unrolled: 1-line block ×4, first 2 shown]
	v_dual_mov_b32 v21, v6 :: v_dual_mov_b32 v20, v5
	v_dual_mov_b32 v25, v11 :: v_dual_mov_b32 v12, v9
	v_mov_b32_e32 v14, v3
	v_mov_b32_e32 v16, v1
	;; [unrolled: 1-line block ×3, first 2 shown]
	s_and_not1_b32 vcc_lo, exec_lo, s0
	s_cbranch_vccnz .LBB406_71
; %bb.68:
	v_mad_u32_u24 v15, v0, 23, 19
	v_mad_u32_u24 v16, v0, 23, 20
	;; [unrolled: 1-line block ×3, first 2 shown]
	v_lshrrev_b32_e32 v19, 16, v10
	v_mad_u32_u24 v18, v0, 23, 18
	v_cmp_gt_u32_e32 vcc_lo, s10, v15
	v_mad_u32_u24 v12, v0, 23, 21
	v_lshrrev_b32_e32 v14, 16, v11
	v_lshrrev_b32_e32 v21, 16, v9
	v_mad_u32_u24 v13, v0, 23, 22
	v_cndmask_b32_e32 v15, 0, v10, vcc_lo
	v_cmp_gt_u32_e32 vcc_lo, s10, v16
	v_lshrrev_b32_e32 v24, 16, v2
	v_lshrrev_b32_e32 v30, 16, v6
	;; [unrolled: 1-line block ×3, first 2 shown]
	v_mad_u32_u24 v28, v0, 23, 1
	v_cndmask_b32_e32 v16, 0, v19, vcc_lo
	v_cmp_gt_u32_e32 vcc_lo, s10, v17
	v_mad_u32_u24 v19, v0, 23, 11
	v_mad_u32_u24 v29, v0, 23, 2
	v_lshrrev_b32_e32 v31, 16, v5
	v_mul_u32_u24_e32 v20, 23, v0
	v_cndmask_b32_e32 v17, 0, v9, vcc_lo
	v_cmp_gt_u32_e32 vcc_lo, s10, v18
	ds_store_b16 v22, v23
	s_waitcnt vmcnt(0) lgkmcnt(0)
	v_cmp_gt_u32_e64 s0, s10, v20
	s_barrier
	v_cndmask_b32_e32 v18, 0, v21, vcc_lo
	v_cmp_gt_u32_e32 vcc_lo, s10, v12
	v_mad_u32_u24 v21, v0, 23, 12
	buffer_gl0_inv
	v_cndmask_b32_e32 v25, 0, v11, vcc_lo
	v_cmp_gt_u32_e32 vcc_lo, s10, v13
	v_perm_b32 v13, v16, v15, 0x5040100
	v_mad_u32_u24 v15, v0, 23, 16
	v_mad_u32_u24 v16, v0, 23, 13
	v_cndmask_b32_e32 v26, 0, v14, vcc_lo
	v_mad_u32_u24 v14, v0, 23, 15
	v_perm_b32 v12, v18, v17, 0x5040100
	v_lshrrev_b32_e32 v17, 16, v4
	v_mad_u32_u24 v18, v0, 23, 14
	s_delay_alu instid0(VALU_DEP_4)
	v_cmp_gt_u32_e32 vcc_lo, s10, v14
	v_cndmask_b32_e32 v14, 0, v4, vcc_lo
	v_cmp_gt_u32_e32 vcc_lo, s10, v15
	v_cndmask_b32_e32 v15, 0, v17, vcc_lo
	v_cmp_gt_u32_e32 vcc_lo, s10, v16
	v_lshrrev_b32_e32 v17, 16, v3
	s_delay_alu instid0(VALU_DEP_3) | instskip(SKIP_2) | instid1(VALU_DEP_4)
	v_perm_b32 v15, v15, v14, 0x5040100
	v_cndmask_b32_e32 v16, 0, v3, vcc_lo
	v_cmp_gt_u32_e32 vcc_lo, s10, v18
	v_cndmask_b32_e32 v17, 0, v17, vcc_lo
	v_cmp_gt_u32_e32 vcc_lo, s10, v19
	s_delay_alu instid0(VALU_DEP_2)
	v_perm_b32 v14, v17, v16, 0x5040100
	v_cndmask_b32_e32 v18, 0, v2, vcc_lo
	v_cmp_gt_u32_e32 vcc_lo, s10, v21
	v_mad_u32_u24 v21, v0, 23, 9
	v_mad_u32_u24 v16, v0, 23, 10
	v_cndmask_b32_e32 v19, 0, v24, vcc_lo
	s_delay_alu instid0(VALU_DEP_3) | instskip(SKIP_2) | instid1(VALU_DEP_4)
	v_cmp_gt_u32_e32 vcc_lo, s10, v21
	v_mad_u32_u24 v21, v0, 23, 7
	v_mad_u32_u24 v24, v0, 23, 8
	v_perm_b32 v17, v19, v18, 0x5040100
	v_cndmask_b32_e32 v18, 0, v1, vcc_lo
	v_lshrrev_b32_e32 v19, 16, v1
	v_cmp_gt_u32_e32 vcc_lo, s10, v16
	s_delay_alu instid0(VALU_DEP_2)
	v_cndmask_b32_e32 v16, 0, v19, vcc_lo
	v_cmp_gt_u32_e32 vcc_lo, s10, v21
	v_cndmask_b32_e32 v19, 0, v8, vcc_lo
	v_cmp_gt_u32_e32 vcc_lo, s10, v24
	v_mad_u32_u24 v24, v0, 23, 5
	v_perm_b32 v16, v16, v18, 0x5040100
	v_mad_u32_u24 v18, v0, 23, 6
	v_cndmask_b32_e32 v21, 0, v27, vcc_lo
	s_delay_alu instid0(VALU_DEP_4) | instskip(SKIP_2) | instid1(VALU_DEP_4)
	v_cmp_gt_u32_e32 vcc_lo, s10, v24
	v_lshrrev_b32_e32 v27, 16, v7
	v_mad_u32_u24 v24, v0, 23, 3
	v_perm_b32 v19, v21, v19, 0x5040100
	v_cndmask_b32_e32 v21, 0, v7, vcc_lo
	v_cmp_gt_u32_e32 vcc_lo, s10, v18
	v_cndmask_b32_e32 v18, 0, v27, vcc_lo
	v_mad_u32_u24 v27, v0, 23, 4
	v_cmp_gt_u32_e32 vcc_lo, s10, v24
	v_cndmask_b32_e32 v24, 0, v6, vcc_lo
	s_delay_alu instid0(VALU_DEP_3)
	v_cmp_gt_u32_e32 vcc_lo, s10, v27
	v_cndmask_b32_e32 v27, 0, v30, vcc_lo
	v_cmp_gt_u32_e32 vcc_lo, s10, v28
	v_cndmask_b32_e32 v28, 0, v5, vcc_lo
	v_cmp_gt_u32_e32 vcc_lo, s10, v29
	v_perm_b32 v18, v18, v21, 0x5040100
	v_perm_b32 v21, v27, v24, 0x5040100
	v_dual_mov_b32 v24, v5 :: v_dual_cndmask_b32 v29, 0, v31
	v_cmp_ne_u32_e32 vcc_lo, 0, v0
	s_delay_alu instid0(VALU_DEP_2) | instskip(SKIP_1) | instid1(SALU_CYCLE_1)
	v_perm_b32 v20, v29, v28, 0x5040100
	s_and_b32 s1, vcc_lo, s0
	s_and_saveexec_b32 s0, s1
	s_cbranch_execz .LBB406_70
; %bb.69:
	v_add_nc_u32_e32 v24, -2, v22
	ds_load_u16 v24, v24
	s_waitcnt lgkmcnt(0)
	v_add_nc_u16 v24, v24, v5
.LBB406_70:
	s_or_b32 exec_lo, exec_lo, s0
	v_perm_b32 v25, v26, v25, 0x5040100
.LBB406_71:
	s_waitcnt vmcnt(0)
	v_alignbit_b32 v26, v7, v6, 16
	v_alignbit_b32 v5, v6, v5, 16
	;; [unrolled: 1-line block ×5, first 2 shown]
	v_pk_add_u16 v6, v21, v26
	v_alignbit_b32 v21, v3, v2, 16
	v_alignbit_b32 v3, v4, v3, 16
	v_pk_add_u16 v1, v16, v1
	v_alignbit_b32 v16, v9, v4, 16
	v_alignbit_b32 v9, v10, v9, 16
	;; [unrolled: 3-line block ×3, first 2 shown]
	v_pk_add_u16 v5, v20, v5
	v_pk_add_u16 v8, v19, v27
	;; [unrolled: 1-line block ×8, first 2 shown]
	v_mul_u32_u24_e32 v14, 46, v0
	v_mul_i32_i24_e32 v15, 0xffffffd4, v0
	s_add_u32 s0, s8, s6
	s_addc_u32 s1, s9, s7
	s_and_b32 vcc_lo, exec_lo, s22
	s_barrier
	buffer_gl0_inv
	s_cbranch_vccz .LBB406_117
; %bb.72:
	v_mad_u32_u24 v12, v0, 46, v15
	ds_store_b16 v14, v24
	ds_store_b128 v14, v[5:8] offset:2
	ds_store_b128 v14, v[1:4] offset:18
	ds_store_b96 v14, v[9:11] offset:34
	s_waitcnt lgkmcnt(0)
	s_barrier
	buffer_gl0_inv
	ds_load_u16 v39, v12 offset:256
	ds_load_u16 v38, v12 offset:512
	;; [unrolled: 1-line block ×22, first 2 shown]
	s_mov_b32 s5, 0
	s_add_i32 s11, s11, s10
	s_lshl_b64 s[2:3], s[4:5], 1
	s_delay_alu instid0(SALU_CYCLE_1) | instskip(SKIP_2) | instid1(VALU_DEP_1)
	s_add_u32 s2, s0, s2
	s_addc_u32 s3, s1, s3
	v_add_co_u32 v12, s2, s2, v22
	v_add_co_ci_u32_e64 v13, null, s3, 0, s2
	s_mov_b32 s2, exec_lo
	v_cmpx_gt_u32_e64 s11, v0
	s_cbranch_execz .LBB406_74
; %bb.73:
	v_add_nc_u32_e32 v40, v14, v15
	ds_load_u16 v40, v40
	s_waitcnt lgkmcnt(0)
	global_store_b16 v[12:13], v40, off
.LBB406_74:
	s_or_b32 exec_lo, exec_lo, s2
	v_or_b32_e32 v40, 0x80, v0
	s_mov_b32 s2, exec_lo
	s_delay_alu instid0(VALU_DEP_1)
	v_cmpx_gt_u32_e64 s11, v40
	s_cbranch_execz .LBB406_76
; %bb.75:
	s_waitcnt lgkmcnt(21)
	global_store_b16 v[12:13], v39, off offset:256
.LBB406_76:
	s_or_b32 exec_lo, exec_lo, s2
	s_waitcnt lgkmcnt(21)
	v_or_b32_e32 v39, 0x100, v0
	s_mov_b32 s2, exec_lo
	s_delay_alu instid0(VALU_DEP_1)
	v_cmpx_gt_u32_e64 s11, v39
	s_cbranch_execz .LBB406_78
; %bb.77:
	s_waitcnt lgkmcnt(20)
	global_store_b16 v[12:13], v38, off offset:512
.LBB406_78:
	s_or_b32 exec_lo, exec_lo, s2
	s_waitcnt lgkmcnt(20)
	;; [unrolled: 11-line block ×15, first 2 shown]
	v_or_b32_e32 v25, 0x800, v0
	s_mov_b32 s2, exec_lo
	s_delay_alu instid0(VALU_DEP_1)
	v_cmpx_gt_u32_e64 s11, v25
	s_cbranch_execz .LBB406_106
; %bb.105:
	v_add_co_u32 v25, vcc_lo, 0x1000, v12
	v_add_co_ci_u32_e32 v26, vcc_lo, 0, v13, vcc_lo
	s_waitcnt lgkmcnt(6)
	global_store_b16 v[25:26], v23, off
.LBB406_106:
	s_or_b32 exec_lo, exec_lo, s2
	s_waitcnt lgkmcnt(6)
	v_or_b32_e32 v23, 0x880, v0
	s_mov_b32 s2, exec_lo
	s_delay_alu instid0(VALU_DEP_1)
	v_cmpx_gt_u32_e64 s11, v23
	s_cbranch_execz .LBB406_108
; %bb.107:
	v_add_co_u32 v25, vcc_lo, 0x1000, v12
	v_add_co_ci_u32_e32 v26, vcc_lo, 0, v13, vcc_lo
	s_waitcnt lgkmcnt(5)
	global_store_b16 v[25:26], v21, off offset:256
.LBB406_108:
	s_or_b32 exec_lo, exec_lo, s2
	s_waitcnt lgkmcnt(5)
	v_or_b32_e32 v21, 0x900, v0
	s_mov_b32 s2, exec_lo
	s_delay_alu instid0(VALU_DEP_1)
	v_cmpx_gt_u32_e64 s11, v21
	s_cbranch_execz .LBB406_110
; %bb.109:
	v_add_co_u32 v25, vcc_lo, 0x1000, v12
	v_add_co_ci_u32_e32 v26, vcc_lo, 0, v13, vcc_lo
	s_waitcnt lgkmcnt(4)
	global_store_b16 v[25:26], v20, off offset:512
.LBB406_110:
	;; [unrolled: 13-line block ×5, first 2 shown]
	s_or_b32 exec_lo, exec_lo, s2
	s_waitcnt lgkmcnt(1)
	v_or_b32_e32 v17, 0xb00, v0
	s_delay_alu instid0(VALU_DEP_1)
	v_cmp_gt_u32_e64 s2, s11, v17
	s_branch .LBB406_119
.LBB406_117:
	s_mov_b32 s2, 0
                                        ; implicit-def: $vgpr16
                                        ; implicit-def: $vgpr12_vgpr13
	s_cbranch_execz .LBB406_119
; %bb.118:
	v_mad_u32_u24 v0, v0, 46, v15
	ds_store_b16 v14, v24
	ds_store_b128 v14, v[5:8] offset:2
	ds_store_b128 v14, v[1:4] offset:18
	ds_store_b96 v14, v[9:11] offset:34
	s_waitcnt lgkmcnt(0)
	s_waitcnt_vscnt null, 0x0
	s_barrier
	buffer_gl0_inv
	ds_load_u16 v2, v0
	ds_load_u16 v1, v0 offset:256
	ds_load_u16 v3, v0 offset:512
	ds_load_u16 v4, v0 offset:768
	ds_load_u16 v5, v0 offset:1024
	ds_load_u16 v6, v0 offset:1280
	ds_load_u16 v7, v0 offset:1536
	ds_load_u16 v8, v0 offset:1792
	ds_load_u16 v9, v0 offset:2048
	ds_load_u16 v10, v0 offset:2304
	ds_load_u16 v11, v0 offset:2560
	ds_load_u16 v14, v0 offset:2816
	ds_load_u16 v15, v0 offset:3072
	ds_load_u16 v17, v0 offset:3328
	ds_load_u16 v18, v0 offset:3584
	ds_load_u16 v19, v0 offset:3840
	ds_load_u16 v20, v0 offset:4096
	ds_load_u16 v21, v0 offset:4352
	ds_load_u16 v23, v0 offset:4608
	ds_load_u16 v24, v0 offset:4864
	ds_load_u16 v25, v0 offset:5120
	ds_load_u16 v26, v0 offset:5376
	ds_load_u16 v16, v0 offset:5632
	s_mov_b32 s5, 0
	s_delay_alu instid0(SALU_CYCLE_1) | instskip(NEXT) | instid1(SALU_CYCLE_1)
	s_lshl_b64 s[4:5], s[4:5], 1
	s_add_u32 s0, s0, s4
	s_addc_u32 s1, s1, s5
	v_add_co_u32 v12, s3, s0, v22
	s_delay_alu instid0(VALU_DEP_1)
	v_add_co_ci_u32_e64 v13, null, s1, 0, s3
	s_waitcnt lgkmcnt(21)
	global_store_b16 v22, v1, s[0:1] offset:256
	s_waitcnt lgkmcnt(20)
	global_store_b16 v22, v3, s[0:1] offset:512
	;; [unrolled: 2-line block ×9, first 2 shown]
	v_add_co_u32 v0, vcc_lo, 0x1000, v12
	v_add_co_ci_u32_e32 v1, vcc_lo, 0, v13, vcc_lo
	s_or_b32 s2, s2, exec_lo
	s_waitcnt lgkmcnt(12)
	global_store_b16 v22, v11, s[0:1] offset:2560
	s_waitcnt lgkmcnt(11)
	global_store_b16 v22, v14, s[0:1] offset:2816
	;; [unrolled: 2-line block ×6, first 2 shown]
	s_waitcnt lgkmcnt(6)
	global_store_b16 v[0:1], v20, off
	s_waitcnt lgkmcnt(5)
	global_store_b16 v[0:1], v21, off offset:256
	s_waitcnt lgkmcnt(4)
	global_store_b16 v[0:1], v23, off offset:512
	;; [unrolled: 2-line block ×3, first 2 shown]
	s_waitcnt lgkmcnt(2)
	s_clause 0x1
	global_store_b16 v[0:1], v25, off offset:1024
	global_store_b16 v22, v2, s[0:1]
	s_waitcnt lgkmcnt(1)
	global_store_b16 v[0:1], v26, off offset:1280
.LBB406_119:
	s_delay_alu instid0(VALU_DEP_1)
	s_and_saveexec_b32 s0, s2
	s_cbranch_execnz .LBB406_121
; %bb.120:
	s_nop 0
	s_sendmsg sendmsg(MSG_DEALLOC_VGPRS)
	s_endpgm
.LBB406_121:
	v_add_co_u32 v0, vcc_lo, 0x1000, v12
	v_add_co_ci_u32_e32 v1, vcc_lo, 0, v13, vcc_lo
	s_waitcnt lgkmcnt(0)
	global_store_b16 v[0:1], v16, off offset:1536
	s_nop 0
	s_sendmsg sendmsg(MSG_DEALLOC_VGPRS)
	s_endpgm
	.section	.rodata,"a",@progbits
	.p2align	6, 0x0
	.amdhsa_kernel _ZN7rocprim17ROCPRIM_400000_NS6detail17trampoline_kernelINS0_14default_configENS1_35adjacent_difference_config_selectorILb1EsEEZNS1_24adjacent_difference_implIS3_Lb1ELb0EPsS7_N6thrust23THRUST_200600_302600_NS4plusIsEEEE10hipError_tPvRmT2_T3_mT4_P12ihipStream_tbEUlT_E_NS1_11comp_targetILNS1_3genE9ELNS1_11target_archE1100ELNS1_3gpuE3ELNS1_3repE0EEENS1_30default_config_static_selectorELNS0_4arch9wavefront6targetE0EEEvT1_
		.amdhsa_group_segment_fixed_size 5888
		.amdhsa_private_segment_fixed_size 0
		.amdhsa_kernarg_size 56
		.amdhsa_user_sgpr_count 15
		.amdhsa_user_sgpr_dispatch_ptr 0
		.amdhsa_user_sgpr_queue_ptr 0
		.amdhsa_user_sgpr_kernarg_segment_ptr 1
		.amdhsa_user_sgpr_dispatch_id 0
		.amdhsa_user_sgpr_private_segment_size 0
		.amdhsa_wavefront_size32 1
		.amdhsa_uses_dynamic_stack 0
		.amdhsa_enable_private_segment 0
		.amdhsa_system_sgpr_workgroup_id_x 1
		.amdhsa_system_sgpr_workgroup_id_y 0
		.amdhsa_system_sgpr_workgroup_id_z 0
		.amdhsa_system_sgpr_workgroup_info 0
		.amdhsa_system_vgpr_workitem_id 0
		.amdhsa_next_free_vgpr 41
		.amdhsa_next_free_sgpr 26
		.amdhsa_reserve_vcc 1
		.amdhsa_float_round_mode_32 0
		.amdhsa_float_round_mode_16_64 0
		.amdhsa_float_denorm_mode_32 3
		.amdhsa_float_denorm_mode_16_64 3
		.amdhsa_dx10_clamp 1
		.amdhsa_ieee_mode 1
		.amdhsa_fp16_overflow 0
		.amdhsa_workgroup_processor_mode 1
		.amdhsa_memory_ordered 1
		.amdhsa_forward_progress 0
		.amdhsa_shared_vgpr_count 0
		.amdhsa_exception_fp_ieee_invalid_op 0
		.amdhsa_exception_fp_denorm_src 0
		.amdhsa_exception_fp_ieee_div_zero 0
		.amdhsa_exception_fp_ieee_overflow 0
		.amdhsa_exception_fp_ieee_underflow 0
		.amdhsa_exception_fp_ieee_inexact 0
		.amdhsa_exception_int_div_zero 0
	.end_amdhsa_kernel
	.section	.text._ZN7rocprim17ROCPRIM_400000_NS6detail17trampoline_kernelINS0_14default_configENS1_35adjacent_difference_config_selectorILb1EsEEZNS1_24adjacent_difference_implIS3_Lb1ELb0EPsS7_N6thrust23THRUST_200600_302600_NS4plusIsEEEE10hipError_tPvRmT2_T3_mT4_P12ihipStream_tbEUlT_E_NS1_11comp_targetILNS1_3genE9ELNS1_11target_archE1100ELNS1_3gpuE3ELNS1_3repE0EEENS1_30default_config_static_selectorELNS0_4arch9wavefront6targetE0EEEvT1_,"axG",@progbits,_ZN7rocprim17ROCPRIM_400000_NS6detail17trampoline_kernelINS0_14default_configENS1_35adjacent_difference_config_selectorILb1EsEEZNS1_24adjacent_difference_implIS3_Lb1ELb0EPsS7_N6thrust23THRUST_200600_302600_NS4plusIsEEEE10hipError_tPvRmT2_T3_mT4_P12ihipStream_tbEUlT_E_NS1_11comp_targetILNS1_3genE9ELNS1_11target_archE1100ELNS1_3gpuE3ELNS1_3repE0EEENS1_30default_config_static_selectorELNS0_4arch9wavefront6targetE0EEEvT1_,comdat
.Lfunc_end406:
	.size	_ZN7rocprim17ROCPRIM_400000_NS6detail17trampoline_kernelINS0_14default_configENS1_35adjacent_difference_config_selectorILb1EsEEZNS1_24adjacent_difference_implIS3_Lb1ELb0EPsS7_N6thrust23THRUST_200600_302600_NS4plusIsEEEE10hipError_tPvRmT2_T3_mT4_P12ihipStream_tbEUlT_E_NS1_11comp_targetILNS1_3genE9ELNS1_11target_archE1100ELNS1_3gpuE3ELNS1_3repE0EEENS1_30default_config_static_selectorELNS0_4arch9wavefront6targetE0EEEvT1_, .Lfunc_end406-_ZN7rocprim17ROCPRIM_400000_NS6detail17trampoline_kernelINS0_14default_configENS1_35adjacent_difference_config_selectorILb1EsEEZNS1_24adjacent_difference_implIS3_Lb1ELb0EPsS7_N6thrust23THRUST_200600_302600_NS4plusIsEEEE10hipError_tPvRmT2_T3_mT4_P12ihipStream_tbEUlT_E_NS1_11comp_targetILNS1_3genE9ELNS1_11target_archE1100ELNS1_3gpuE3ELNS1_3repE0EEENS1_30default_config_static_selectorELNS0_4arch9wavefront6targetE0EEEvT1_
                                        ; -- End function
	.section	.AMDGPU.csdata,"",@progbits
; Kernel info:
; codeLenInByte = 6144
; NumSgprs: 28
; NumVgprs: 41
; ScratchSize: 0
; MemoryBound: 0
; FloatMode: 240
; IeeeMode: 1
; LDSByteSize: 5888 bytes/workgroup (compile time only)
; SGPRBlocks: 3
; VGPRBlocks: 5
; NumSGPRsForWavesPerEU: 28
; NumVGPRsForWavesPerEU: 41
; Occupancy: 16
; WaveLimiterHint : 1
; COMPUTE_PGM_RSRC2:SCRATCH_EN: 0
; COMPUTE_PGM_RSRC2:USER_SGPR: 15
; COMPUTE_PGM_RSRC2:TRAP_HANDLER: 0
; COMPUTE_PGM_RSRC2:TGID_X_EN: 1
; COMPUTE_PGM_RSRC2:TGID_Y_EN: 0
; COMPUTE_PGM_RSRC2:TGID_Z_EN: 0
; COMPUTE_PGM_RSRC2:TIDIG_COMP_CNT: 0
	.section	.text._ZN7rocprim17ROCPRIM_400000_NS6detail17trampoline_kernelINS0_14default_configENS1_35adjacent_difference_config_selectorILb1EsEEZNS1_24adjacent_difference_implIS3_Lb1ELb0EPsS7_N6thrust23THRUST_200600_302600_NS4plusIsEEEE10hipError_tPvRmT2_T3_mT4_P12ihipStream_tbEUlT_E_NS1_11comp_targetILNS1_3genE8ELNS1_11target_archE1030ELNS1_3gpuE2ELNS1_3repE0EEENS1_30default_config_static_selectorELNS0_4arch9wavefront6targetE0EEEvT1_,"axG",@progbits,_ZN7rocprim17ROCPRIM_400000_NS6detail17trampoline_kernelINS0_14default_configENS1_35adjacent_difference_config_selectorILb1EsEEZNS1_24adjacent_difference_implIS3_Lb1ELb0EPsS7_N6thrust23THRUST_200600_302600_NS4plusIsEEEE10hipError_tPvRmT2_T3_mT4_P12ihipStream_tbEUlT_E_NS1_11comp_targetILNS1_3genE8ELNS1_11target_archE1030ELNS1_3gpuE2ELNS1_3repE0EEENS1_30default_config_static_selectorELNS0_4arch9wavefront6targetE0EEEvT1_,comdat
	.protected	_ZN7rocprim17ROCPRIM_400000_NS6detail17trampoline_kernelINS0_14default_configENS1_35adjacent_difference_config_selectorILb1EsEEZNS1_24adjacent_difference_implIS3_Lb1ELb0EPsS7_N6thrust23THRUST_200600_302600_NS4plusIsEEEE10hipError_tPvRmT2_T3_mT4_P12ihipStream_tbEUlT_E_NS1_11comp_targetILNS1_3genE8ELNS1_11target_archE1030ELNS1_3gpuE2ELNS1_3repE0EEENS1_30default_config_static_selectorELNS0_4arch9wavefront6targetE0EEEvT1_ ; -- Begin function _ZN7rocprim17ROCPRIM_400000_NS6detail17trampoline_kernelINS0_14default_configENS1_35adjacent_difference_config_selectorILb1EsEEZNS1_24adjacent_difference_implIS3_Lb1ELb0EPsS7_N6thrust23THRUST_200600_302600_NS4plusIsEEEE10hipError_tPvRmT2_T3_mT4_P12ihipStream_tbEUlT_E_NS1_11comp_targetILNS1_3genE8ELNS1_11target_archE1030ELNS1_3gpuE2ELNS1_3repE0EEENS1_30default_config_static_selectorELNS0_4arch9wavefront6targetE0EEEvT1_
	.globl	_ZN7rocprim17ROCPRIM_400000_NS6detail17trampoline_kernelINS0_14default_configENS1_35adjacent_difference_config_selectorILb1EsEEZNS1_24adjacent_difference_implIS3_Lb1ELb0EPsS7_N6thrust23THRUST_200600_302600_NS4plusIsEEEE10hipError_tPvRmT2_T3_mT4_P12ihipStream_tbEUlT_E_NS1_11comp_targetILNS1_3genE8ELNS1_11target_archE1030ELNS1_3gpuE2ELNS1_3repE0EEENS1_30default_config_static_selectorELNS0_4arch9wavefront6targetE0EEEvT1_
	.p2align	8
	.type	_ZN7rocprim17ROCPRIM_400000_NS6detail17trampoline_kernelINS0_14default_configENS1_35adjacent_difference_config_selectorILb1EsEEZNS1_24adjacent_difference_implIS3_Lb1ELb0EPsS7_N6thrust23THRUST_200600_302600_NS4plusIsEEEE10hipError_tPvRmT2_T3_mT4_P12ihipStream_tbEUlT_E_NS1_11comp_targetILNS1_3genE8ELNS1_11target_archE1030ELNS1_3gpuE2ELNS1_3repE0EEENS1_30default_config_static_selectorELNS0_4arch9wavefront6targetE0EEEvT1_,@function
_ZN7rocprim17ROCPRIM_400000_NS6detail17trampoline_kernelINS0_14default_configENS1_35adjacent_difference_config_selectorILb1EsEEZNS1_24adjacent_difference_implIS3_Lb1ELb0EPsS7_N6thrust23THRUST_200600_302600_NS4plusIsEEEE10hipError_tPvRmT2_T3_mT4_P12ihipStream_tbEUlT_E_NS1_11comp_targetILNS1_3genE8ELNS1_11target_archE1030ELNS1_3gpuE2ELNS1_3repE0EEENS1_30default_config_static_selectorELNS0_4arch9wavefront6targetE0EEEvT1_: ; @_ZN7rocprim17ROCPRIM_400000_NS6detail17trampoline_kernelINS0_14default_configENS1_35adjacent_difference_config_selectorILb1EsEEZNS1_24adjacent_difference_implIS3_Lb1ELb0EPsS7_N6thrust23THRUST_200600_302600_NS4plusIsEEEE10hipError_tPvRmT2_T3_mT4_P12ihipStream_tbEUlT_E_NS1_11comp_targetILNS1_3genE8ELNS1_11target_archE1030ELNS1_3gpuE2ELNS1_3repE0EEENS1_30default_config_static_selectorELNS0_4arch9wavefront6targetE0EEEvT1_
; %bb.0:
	.section	.rodata,"a",@progbits
	.p2align	6, 0x0
	.amdhsa_kernel _ZN7rocprim17ROCPRIM_400000_NS6detail17trampoline_kernelINS0_14default_configENS1_35adjacent_difference_config_selectorILb1EsEEZNS1_24adjacent_difference_implIS3_Lb1ELb0EPsS7_N6thrust23THRUST_200600_302600_NS4plusIsEEEE10hipError_tPvRmT2_T3_mT4_P12ihipStream_tbEUlT_E_NS1_11comp_targetILNS1_3genE8ELNS1_11target_archE1030ELNS1_3gpuE2ELNS1_3repE0EEENS1_30default_config_static_selectorELNS0_4arch9wavefront6targetE0EEEvT1_
		.amdhsa_group_segment_fixed_size 0
		.amdhsa_private_segment_fixed_size 0
		.amdhsa_kernarg_size 56
		.amdhsa_user_sgpr_count 15
		.amdhsa_user_sgpr_dispatch_ptr 0
		.amdhsa_user_sgpr_queue_ptr 0
		.amdhsa_user_sgpr_kernarg_segment_ptr 1
		.amdhsa_user_sgpr_dispatch_id 0
		.amdhsa_user_sgpr_private_segment_size 0
		.amdhsa_wavefront_size32 1
		.amdhsa_uses_dynamic_stack 0
		.amdhsa_enable_private_segment 0
		.amdhsa_system_sgpr_workgroup_id_x 1
		.amdhsa_system_sgpr_workgroup_id_y 0
		.amdhsa_system_sgpr_workgroup_id_z 0
		.amdhsa_system_sgpr_workgroup_info 0
		.amdhsa_system_vgpr_workitem_id 0
		.amdhsa_next_free_vgpr 1
		.amdhsa_next_free_sgpr 1
		.amdhsa_reserve_vcc 0
		.amdhsa_float_round_mode_32 0
		.amdhsa_float_round_mode_16_64 0
		.amdhsa_float_denorm_mode_32 3
		.amdhsa_float_denorm_mode_16_64 3
		.amdhsa_dx10_clamp 1
		.amdhsa_ieee_mode 1
		.amdhsa_fp16_overflow 0
		.amdhsa_workgroup_processor_mode 1
		.amdhsa_memory_ordered 1
		.amdhsa_forward_progress 0
		.amdhsa_shared_vgpr_count 0
		.amdhsa_exception_fp_ieee_invalid_op 0
		.amdhsa_exception_fp_denorm_src 0
		.amdhsa_exception_fp_ieee_div_zero 0
		.amdhsa_exception_fp_ieee_overflow 0
		.amdhsa_exception_fp_ieee_underflow 0
		.amdhsa_exception_fp_ieee_inexact 0
		.amdhsa_exception_int_div_zero 0
	.end_amdhsa_kernel
	.section	.text._ZN7rocprim17ROCPRIM_400000_NS6detail17trampoline_kernelINS0_14default_configENS1_35adjacent_difference_config_selectorILb1EsEEZNS1_24adjacent_difference_implIS3_Lb1ELb0EPsS7_N6thrust23THRUST_200600_302600_NS4plusIsEEEE10hipError_tPvRmT2_T3_mT4_P12ihipStream_tbEUlT_E_NS1_11comp_targetILNS1_3genE8ELNS1_11target_archE1030ELNS1_3gpuE2ELNS1_3repE0EEENS1_30default_config_static_selectorELNS0_4arch9wavefront6targetE0EEEvT1_,"axG",@progbits,_ZN7rocprim17ROCPRIM_400000_NS6detail17trampoline_kernelINS0_14default_configENS1_35adjacent_difference_config_selectorILb1EsEEZNS1_24adjacent_difference_implIS3_Lb1ELb0EPsS7_N6thrust23THRUST_200600_302600_NS4plusIsEEEE10hipError_tPvRmT2_T3_mT4_P12ihipStream_tbEUlT_E_NS1_11comp_targetILNS1_3genE8ELNS1_11target_archE1030ELNS1_3gpuE2ELNS1_3repE0EEENS1_30default_config_static_selectorELNS0_4arch9wavefront6targetE0EEEvT1_,comdat
.Lfunc_end407:
	.size	_ZN7rocprim17ROCPRIM_400000_NS6detail17trampoline_kernelINS0_14default_configENS1_35adjacent_difference_config_selectorILb1EsEEZNS1_24adjacent_difference_implIS3_Lb1ELb0EPsS7_N6thrust23THRUST_200600_302600_NS4plusIsEEEE10hipError_tPvRmT2_T3_mT4_P12ihipStream_tbEUlT_E_NS1_11comp_targetILNS1_3genE8ELNS1_11target_archE1030ELNS1_3gpuE2ELNS1_3repE0EEENS1_30default_config_static_selectorELNS0_4arch9wavefront6targetE0EEEvT1_, .Lfunc_end407-_ZN7rocprim17ROCPRIM_400000_NS6detail17trampoline_kernelINS0_14default_configENS1_35adjacent_difference_config_selectorILb1EsEEZNS1_24adjacent_difference_implIS3_Lb1ELb0EPsS7_N6thrust23THRUST_200600_302600_NS4plusIsEEEE10hipError_tPvRmT2_T3_mT4_P12ihipStream_tbEUlT_E_NS1_11comp_targetILNS1_3genE8ELNS1_11target_archE1030ELNS1_3gpuE2ELNS1_3repE0EEENS1_30default_config_static_selectorELNS0_4arch9wavefront6targetE0EEEvT1_
                                        ; -- End function
	.section	.AMDGPU.csdata,"",@progbits
; Kernel info:
; codeLenInByte = 0
; NumSgprs: 0
; NumVgprs: 0
; ScratchSize: 0
; MemoryBound: 0
; FloatMode: 240
; IeeeMode: 1
; LDSByteSize: 0 bytes/workgroup (compile time only)
; SGPRBlocks: 0
; VGPRBlocks: 0
; NumSGPRsForWavesPerEU: 1
; NumVGPRsForWavesPerEU: 1
; Occupancy: 16
; WaveLimiterHint : 0
; COMPUTE_PGM_RSRC2:SCRATCH_EN: 0
; COMPUTE_PGM_RSRC2:USER_SGPR: 15
; COMPUTE_PGM_RSRC2:TRAP_HANDLER: 0
; COMPUTE_PGM_RSRC2:TGID_X_EN: 1
; COMPUTE_PGM_RSRC2:TGID_Y_EN: 0
; COMPUTE_PGM_RSRC2:TGID_Z_EN: 0
; COMPUTE_PGM_RSRC2:TIDIG_COMP_CNT: 0
	.section	.text._ZN7rocprim17ROCPRIM_400000_NS6detail17trampoline_kernelINS0_14default_configENS1_22reduce_config_selectorIN6thrust23THRUST_200600_302600_NS5tupleIblNS6_9null_typeES8_S8_S8_S8_S8_S8_S8_EEEEZNS1_11reduce_implILb1ES3_PS9_SC_S9_NS6_11hip_rocprim9__find_if7functorIS9_EEEE10hipError_tPvRmT1_T2_T3_mT4_P12ihipStream_tbEUlT_E0_NS1_11comp_targetILNS1_3genE0ELNS1_11target_archE4294967295ELNS1_3gpuE0ELNS1_3repE0EEENS1_30default_config_static_selectorELNS0_4arch9wavefront6targetE0EEEvSK_,"axG",@progbits,_ZN7rocprim17ROCPRIM_400000_NS6detail17trampoline_kernelINS0_14default_configENS1_22reduce_config_selectorIN6thrust23THRUST_200600_302600_NS5tupleIblNS6_9null_typeES8_S8_S8_S8_S8_S8_S8_EEEEZNS1_11reduce_implILb1ES3_PS9_SC_S9_NS6_11hip_rocprim9__find_if7functorIS9_EEEE10hipError_tPvRmT1_T2_T3_mT4_P12ihipStream_tbEUlT_E0_NS1_11comp_targetILNS1_3genE0ELNS1_11target_archE4294967295ELNS1_3gpuE0ELNS1_3repE0EEENS1_30default_config_static_selectorELNS0_4arch9wavefront6targetE0EEEvSK_,comdat
	.protected	_ZN7rocprim17ROCPRIM_400000_NS6detail17trampoline_kernelINS0_14default_configENS1_22reduce_config_selectorIN6thrust23THRUST_200600_302600_NS5tupleIblNS6_9null_typeES8_S8_S8_S8_S8_S8_S8_EEEEZNS1_11reduce_implILb1ES3_PS9_SC_S9_NS6_11hip_rocprim9__find_if7functorIS9_EEEE10hipError_tPvRmT1_T2_T3_mT4_P12ihipStream_tbEUlT_E0_NS1_11comp_targetILNS1_3genE0ELNS1_11target_archE4294967295ELNS1_3gpuE0ELNS1_3repE0EEENS1_30default_config_static_selectorELNS0_4arch9wavefront6targetE0EEEvSK_ ; -- Begin function _ZN7rocprim17ROCPRIM_400000_NS6detail17trampoline_kernelINS0_14default_configENS1_22reduce_config_selectorIN6thrust23THRUST_200600_302600_NS5tupleIblNS6_9null_typeES8_S8_S8_S8_S8_S8_S8_EEEEZNS1_11reduce_implILb1ES3_PS9_SC_S9_NS6_11hip_rocprim9__find_if7functorIS9_EEEE10hipError_tPvRmT1_T2_T3_mT4_P12ihipStream_tbEUlT_E0_NS1_11comp_targetILNS1_3genE0ELNS1_11target_archE4294967295ELNS1_3gpuE0ELNS1_3repE0EEENS1_30default_config_static_selectorELNS0_4arch9wavefront6targetE0EEEvSK_
	.globl	_ZN7rocprim17ROCPRIM_400000_NS6detail17trampoline_kernelINS0_14default_configENS1_22reduce_config_selectorIN6thrust23THRUST_200600_302600_NS5tupleIblNS6_9null_typeES8_S8_S8_S8_S8_S8_S8_EEEEZNS1_11reduce_implILb1ES3_PS9_SC_S9_NS6_11hip_rocprim9__find_if7functorIS9_EEEE10hipError_tPvRmT1_T2_T3_mT4_P12ihipStream_tbEUlT_E0_NS1_11comp_targetILNS1_3genE0ELNS1_11target_archE4294967295ELNS1_3gpuE0ELNS1_3repE0EEENS1_30default_config_static_selectorELNS0_4arch9wavefront6targetE0EEEvSK_
	.p2align	8
	.type	_ZN7rocprim17ROCPRIM_400000_NS6detail17trampoline_kernelINS0_14default_configENS1_22reduce_config_selectorIN6thrust23THRUST_200600_302600_NS5tupleIblNS6_9null_typeES8_S8_S8_S8_S8_S8_S8_EEEEZNS1_11reduce_implILb1ES3_PS9_SC_S9_NS6_11hip_rocprim9__find_if7functorIS9_EEEE10hipError_tPvRmT1_T2_T3_mT4_P12ihipStream_tbEUlT_E0_NS1_11comp_targetILNS1_3genE0ELNS1_11target_archE4294967295ELNS1_3gpuE0ELNS1_3repE0EEENS1_30default_config_static_selectorELNS0_4arch9wavefront6targetE0EEEvSK_,@function
_ZN7rocprim17ROCPRIM_400000_NS6detail17trampoline_kernelINS0_14default_configENS1_22reduce_config_selectorIN6thrust23THRUST_200600_302600_NS5tupleIblNS6_9null_typeES8_S8_S8_S8_S8_S8_S8_EEEEZNS1_11reduce_implILb1ES3_PS9_SC_S9_NS6_11hip_rocprim9__find_if7functorIS9_EEEE10hipError_tPvRmT1_T2_T3_mT4_P12ihipStream_tbEUlT_E0_NS1_11comp_targetILNS1_3genE0ELNS1_11target_archE4294967295ELNS1_3gpuE0ELNS1_3repE0EEENS1_30default_config_static_selectorELNS0_4arch9wavefront6targetE0EEEvSK_: ; @_ZN7rocprim17ROCPRIM_400000_NS6detail17trampoline_kernelINS0_14default_configENS1_22reduce_config_selectorIN6thrust23THRUST_200600_302600_NS5tupleIblNS6_9null_typeES8_S8_S8_S8_S8_S8_S8_EEEEZNS1_11reduce_implILb1ES3_PS9_SC_S9_NS6_11hip_rocprim9__find_if7functorIS9_EEEE10hipError_tPvRmT1_T2_T3_mT4_P12ihipStream_tbEUlT_E0_NS1_11comp_targetILNS1_3genE0ELNS1_11target_archE4294967295ELNS1_3gpuE0ELNS1_3repE0EEENS1_30default_config_static_selectorELNS0_4arch9wavefront6targetE0EEEvSK_
; %bb.0:
	.section	.rodata,"a",@progbits
	.p2align	6, 0x0
	.amdhsa_kernel _ZN7rocprim17ROCPRIM_400000_NS6detail17trampoline_kernelINS0_14default_configENS1_22reduce_config_selectorIN6thrust23THRUST_200600_302600_NS5tupleIblNS6_9null_typeES8_S8_S8_S8_S8_S8_S8_EEEEZNS1_11reduce_implILb1ES3_PS9_SC_S9_NS6_11hip_rocprim9__find_if7functorIS9_EEEE10hipError_tPvRmT1_T2_T3_mT4_P12ihipStream_tbEUlT_E0_NS1_11comp_targetILNS1_3genE0ELNS1_11target_archE4294967295ELNS1_3gpuE0ELNS1_3repE0EEENS1_30default_config_static_selectorELNS0_4arch9wavefront6targetE0EEEvSK_
		.amdhsa_group_segment_fixed_size 0
		.amdhsa_private_segment_fixed_size 0
		.amdhsa_kernarg_size 72
		.amdhsa_user_sgpr_count 15
		.amdhsa_user_sgpr_dispatch_ptr 0
		.amdhsa_user_sgpr_queue_ptr 0
		.amdhsa_user_sgpr_kernarg_segment_ptr 1
		.amdhsa_user_sgpr_dispatch_id 0
		.amdhsa_user_sgpr_private_segment_size 0
		.amdhsa_wavefront_size32 1
		.amdhsa_uses_dynamic_stack 0
		.amdhsa_enable_private_segment 0
		.amdhsa_system_sgpr_workgroup_id_x 1
		.amdhsa_system_sgpr_workgroup_id_y 0
		.amdhsa_system_sgpr_workgroup_id_z 0
		.amdhsa_system_sgpr_workgroup_info 0
		.amdhsa_system_vgpr_workitem_id 0
		.amdhsa_next_free_vgpr 1
		.amdhsa_next_free_sgpr 1
		.amdhsa_reserve_vcc 0
		.amdhsa_float_round_mode_32 0
		.amdhsa_float_round_mode_16_64 0
		.amdhsa_float_denorm_mode_32 3
		.amdhsa_float_denorm_mode_16_64 3
		.amdhsa_dx10_clamp 1
		.amdhsa_ieee_mode 1
		.amdhsa_fp16_overflow 0
		.amdhsa_workgroup_processor_mode 1
		.amdhsa_memory_ordered 1
		.amdhsa_forward_progress 0
		.amdhsa_shared_vgpr_count 0
		.amdhsa_exception_fp_ieee_invalid_op 0
		.amdhsa_exception_fp_denorm_src 0
		.amdhsa_exception_fp_ieee_div_zero 0
		.amdhsa_exception_fp_ieee_overflow 0
		.amdhsa_exception_fp_ieee_underflow 0
		.amdhsa_exception_fp_ieee_inexact 0
		.amdhsa_exception_int_div_zero 0
	.end_amdhsa_kernel
	.section	.text._ZN7rocprim17ROCPRIM_400000_NS6detail17trampoline_kernelINS0_14default_configENS1_22reduce_config_selectorIN6thrust23THRUST_200600_302600_NS5tupleIblNS6_9null_typeES8_S8_S8_S8_S8_S8_S8_EEEEZNS1_11reduce_implILb1ES3_PS9_SC_S9_NS6_11hip_rocprim9__find_if7functorIS9_EEEE10hipError_tPvRmT1_T2_T3_mT4_P12ihipStream_tbEUlT_E0_NS1_11comp_targetILNS1_3genE0ELNS1_11target_archE4294967295ELNS1_3gpuE0ELNS1_3repE0EEENS1_30default_config_static_selectorELNS0_4arch9wavefront6targetE0EEEvSK_,"axG",@progbits,_ZN7rocprim17ROCPRIM_400000_NS6detail17trampoline_kernelINS0_14default_configENS1_22reduce_config_selectorIN6thrust23THRUST_200600_302600_NS5tupleIblNS6_9null_typeES8_S8_S8_S8_S8_S8_S8_EEEEZNS1_11reduce_implILb1ES3_PS9_SC_S9_NS6_11hip_rocprim9__find_if7functorIS9_EEEE10hipError_tPvRmT1_T2_T3_mT4_P12ihipStream_tbEUlT_E0_NS1_11comp_targetILNS1_3genE0ELNS1_11target_archE4294967295ELNS1_3gpuE0ELNS1_3repE0EEENS1_30default_config_static_selectorELNS0_4arch9wavefront6targetE0EEEvSK_,comdat
.Lfunc_end408:
	.size	_ZN7rocprim17ROCPRIM_400000_NS6detail17trampoline_kernelINS0_14default_configENS1_22reduce_config_selectorIN6thrust23THRUST_200600_302600_NS5tupleIblNS6_9null_typeES8_S8_S8_S8_S8_S8_S8_EEEEZNS1_11reduce_implILb1ES3_PS9_SC_S9_NS6_11hip_rocprim9__find_if7functorIS9_EEEE10hipError_tPvRmT1_T2_T3_mT4_P12ihipStream_tbEUlT_E0_NS1_11comp_targetILNS1_3genE0ELNS1_11target_archE4294967295ELNS1_3gpuE0ELNS1_3repE0EEENS1_30default_config_static_selectorELNS0_4arch9wavefront6targetE0EEEvSK_, .Lfunc_end408-_ZN7rocprim17ROCPRIM_400000_NS6detail17trampoline_kernelINS0_14default_configENS1_22reduce_config_selectorIN6thrust23THRUST_200600_302600_NS5tupleIblNS6_9null_typeES8_S8_S8_S8_S8_S8_S8_EEEEZNS1_11reduce_implILb1ES3_PS9_SC_S9_NS6_11hip_rocprim9__find_if7functorIS9_EEEE10hipError_tPvRmT1_T2_T3_mT4_P12ihipStream_tbEUlT_E0_NS1_11comp_targetILNS1_3genE0ELNS1_11target_archE4294967295ELNS1_3gpuE0ELNS1_3repE0EEENS1_30default_config_static_selectorELNS0_4arch9wavefront6targetE0EEEvSK_
                                        ; -- End function
	.section	.AMDGPU.csdata,"",@progbits
; Kernel info:
; codeLenInByte = 0
; NumSgprs: 0
; NumVgprs: 0
; ScratchSize: 0
; MemoryBound: 0
; FloatMode: 240
; IeeeMode: 1
; LDSByteSize: 0 bytes/workgroup (compile time only)
; SGPRBlocks: 0
; VGPRBlocks: 0
; NumSGPRsForWavesPerEU: 1
; NumVGPRsForWavesPerEU: 1
; Occupancy: 16
; WaveLimiterHint : 0
; COMPUTE_PGM_RSRC2:SCRATCH_EN: 0
; COMPUTE_PGM_RSRC2:USER_SGPR: 15
; COMPUTE_PGM_RSRC2:TRAP_HANDLER: 0
; COMPUTE_PGM_RSRC2:TGID_X_EN: 1
; COMPUTE_PGM_RSRC2:TGID_Y_EN: 0
; COMPUTE_PGM_RSRC2:TGID_Z_EN: 0
; COMPUTE_PGM_RSRC2:TIDIG_COMP_CNT: 0
	.section	.text._ZN7rocprim17ROCPRIM_400000_NS6detail17trampoline_kernelINS0_14default_configENS1_22reduce_config_selectorIN6thrust23THRUST_200600_302600_NS5tupleIblNS6_9null_typeES8_S8_S8_S8_S8_S8_S8_EEEEZNS1_11reduce_implILb1ES3_PS9_SC_S9_NS6_11hip_rocprim9__find_if7functorIS9_EEEE10hipError_tPvRmT1_T2_T3_mT4_P12ihipStream_tbEUlT_E0_NS1_11comp_targetILNS1_3genE5ELNS1_11target_archE942ELNS1_3gpuE9ELNS1_3repE0EEENS1_30default_config_static_selectorELNS0_4arch9wavefront6targetE0EEEvSK_,"axG",@progbits,_ZN7rocprim17ROCPRIM_400000_NS6detail17trampoline_kernelINS0_14default_configENS1_22reduce_config_selectorIN6thrust23THRUST_200600_302600_NS5tupleIblNS6_9null_typeES8_S8_S8_S8_S8_S8_S8_EEEEZNS1_11reduce_implILb1ES3_PS9_SC_S9_NS6_11hip_rocprim9__find_if7functorIS9_EEEE10hipError_tPvRmT1_T2_T3_mT4_P12ihipStream_tbEUlT_E0_NS1_11comp_targetILNS1_3genE5ELNS1_11target_archE942ELNS1_3gpuE9ELNS1_3repE0EEENS1_30default_config_static_selectorELNS0_4arch9wavefront6targetE0EEEvSK_,comdat
	.protected	_ZN7rocprim17ROCPRIM_400000_NS6detail17trampoline_kernelINS0_14default_configENS1_22reduce_config_selectorIN6thrust23THRUST_200600_302600_NS5tupleIblNS6_9null_typeES8_S8_S8_S8_S8_S8_S8_EEEEZNS1_11reduce_implILb1ES3_PS9_SC_S9_NS6_11hip_rocprim9__find_if7functorIS9_EEEE10hipError_tPvRmT1_T2_T3_mT4_P12ihipStream_tbEUlT_E0_NS1_11comp_targetILNS1_3genE5ELNS1_11target_archE942ELNS1_3gpuE9ELNS1_3repE0EEENS1_30default_config_static_selectorELNS0_4arch9wavefront6targetE0EEEvSK_ ; -- Begin function _ZN7rocprim17ROCPRIM_400000_NS6detail17trampoline_kernelINS0_14default_configENS1_22reduce_config_selectorIN6thrust23THRUST_200600_302600_NS5tupleIblNS6_9null_typeES8_S8_S8_S8_S8_S8_S8_EEEEZNS1_11reduce_implILb1ES3_PS9_SC_S9_NS6_11hip_rocprim9__find_if7functorIS9_EEEE10hipError_tPvRmT1_T2_T3_mT4_P12ihipStream_tbEUlT_E0_NS1_11comp_targetILNS1_3genE5ELNS1_11target_archE942ELNS1_3gpuE9ELNS1_3repE0EEENS1_30default_config_static_selectorELNS0_4arch9wavefront6targetE0EEEvSK_
	.globl	_ZN7rocprim17ROCPRIM_400000_NS6detail17trampoline_kernelINS0_14default_configENS1_22reduce_config_selectorIN6thrust23THRUST_200600_302600_NS5tupleIblNS6_9null_typeES8_S8_S8_S8_S8_S8_S8_EEEEZNS1_11reduce_implILb1ES3_PS9_SC_S9_NS6_11hip_rocprim9__find_if7functorIS9_EEEE10hipError_tPvRmT1_T2_T3_mT4_P12ihipStream_tbEUlT_E0_NS1_11comp_targetILNS1_3genE5ELNS1_11target_archE942ELNS1_3gpuE9ELNS1_3repE0EEENS1_30default_config_static_selectorELNS0_4arch9wavefront6targetE0EEEvSK_
	.p2align	8
	.type	_ZN7rocprim17ROCPRIM_400000_NS6detail17trampoline_kernelINS0_14default_configENS1_22reduce_config_selectorIN6thrust23THRUST_200600_302600_NS5tupleIblNS6_9null_typeES8_S8_S8_S8_S8_S8_S8_EEEEZNS1_11reduce_implILb1ES3_PS9_SC_S9_NS6_11hip_rocprim9__find_if7functorIS9_EEEE10hipError_tPvRmT1_T2_T3_mT4_P12ihipStream_tbEUlT_E0_NS1_11comp_targetILNS1_3genE5ELNS1_11target_archE942ELNS1_3gpuE9ELNS1_3repE0EEENS1_30default_config_static_selectorELNS0_4arch9wavefront6targetE0EEEvSK_,@function
_ZN7rocprim17ROCPRIM_400000_NS6detail17trampoline_kernelINS0_14default_configENS1_22reduce_config_selectorIN6thrust23THRUST_200600_302600_NS5tupleIblNS6_9null_typeES8_S8_S8_S8_S8_S8_S8_EEEEZNS1_11reduce_implILb1ES3_PS9_SC_S9_NS6_11hip_rocprim9__find_if7functorIS9_EEEE10hipError_tPvRmT1_T2_T3_mT4_P12ihipStream_tbEUlT_E0_NS1_11comp_targetILNS1_3genE5ELNS1_11target_archE942ELNS1_3gpuE9ELNS1_3repE0EEENS1_30default_config_static_selectorELNS0_4arch9wavefront6targetE0EEEvSK_: ; @_ZN7rocprim17ROCPRIM_400000_NS6detail17trampoline_kernelINS0_14default_configENS1_22reduce_config_selectorIN6thrust23THRUST_200600_302600_NS5tupleIblNS6_9null_typeES8_S8_S8_S8_S8_S8_S8_EEEEZNS1_11reduce_implILb1ES3_PS9_SC_S9_NS6_11hip_rocprim9__find_if7functorIS9_EEEE10hipError_tPvRmT1_T2_T3_mT4_P12ihipStream_tbEUlT_E0_NS1_11comp_targetILNS1_3genE5ELNS1_11target_archE942ELNS1_3gpuE9ELNS1_3repE0EEENS1_30default_config_static_selectorELNS0_4arch9wavefront6targetE0EEEvSK_
; %bb.0:
	.section	.rodata,"a",@progbits
	.p2align	6, 0x0
	.amdhsa_kernel _ZN7rocprim17ROCPRIM_400000_NS6detail17trampoline_kernelINS0_14default_configENS1_22reduce_config_selectorIN6thrust23THRUST_200600_302600_NS5tupleIblNS6_9null_typeES8_S8_S8_S8_S8_S8_S8_EEEEZNS1_11reduce_implILb1ES3_PS9_SC_S9_NS6_11hip_rocprim9__find_if7functorIS9_EEEE10hipError_tPvRmT1_T2_T3_mT4_P12ihipStream_tbEUlT_E0_NS1_11comp_targetILNS1_3genE5ELNS1_11target_archE942ELNS1_3gpuE9ELNS1_3repE0EEENS1_30default_config_static_selectorELNS0_4arch9wavefront6targetE0EEEvSK_
		.amdhsa_group_segment_fixed_size 0
		.amdhsa_private_segment_fixed_size 0
		.amdhsa_kernarg_size 72
		.amdhsa_user_sgpr_count 15
		.amdhsa_user_sgpr_dispatch_ptr 0
		.amdhsa_user_sgpr_queue_ptr 0
		.amdhsa_user_sgpr_kernarg_segment_ptr 1
		.amdhsa_user_sgpr_dispatch_id 0
		.amdhsa_user_sgpr_private_segment_size 0
		.amdhsa_wavefront_size32 1
		.amdhsa_uses_dynamic_stack 0
		.amdhsa_enable_private_segment 0
		.amdhsa_system_sgpr_workgroup_id_x 1
		.amdhsa_system_sgpr_workgroup_id_y 0
		.amdhsa_system_sgpr_workgroup_id_z 0
		.amdhsa_system_sgpr_workgroup_info 0
		.amdhsa_system_vgpr_workitem_id 0
		.amdhsa_next_free_vgpr 1
		.amdhsa_next_free_sgpr 1
		.amdhsa_reserve_vcc 0
		.amdhsa_float_round_mode_32 0
		.amdhsa_float_round_mode_16_64 0
		.amdhsa_float_denorm_mode_32 3
		.amdhsa_float_denorm_mode_16_64 3
		.amdhsa_dx10_clamp 1
		.amdhsa_ieee_mode 1
		.amdhsa_fp16_overflow 0
		.amdhsa_workgroup_processor_mode 1
		.amdhsa_memory_ordered 1
		.amdhsa_forward_progress 0
		.amdhsa_shared_vgpr_count 0
		.amdhsa_exception_fp_ieee_invalid_op 0
		.amdhsa_exception_fp_denorm_src 0
		.amdhsa_exception_fp_ieee_div_zero 0
		.amdhsa_exception_fp_ieee_overflow 0
		.amdhsa_exception_fp_ieee_underflow 0
		.amdhsa_exception_fp_ieee_inexact 0
		.amdhsa_exception_int_div_zero 0
	.end_amdhsa_kernel
	.section	.text._ZN7rocprim17ROCPRIM_400000_NS6detail17trampoline_kernelINS0_14default_configENS1_22reduce_config_selectorIN6thrust23THRUST_200600_302600_NS5tupleIblNS6_9null_typeES8_S8_S8_S8_S8_S8_S8_EEEEZNS1_11reduce_implILb1ES3_PS9_SC_S9_NS6_11hip_rocprim9__find_if7functorIS9_EEEE10hipError_tPvRmT1_T2_T3_mT4_P12ihipStream_tbEUlT_E0_NS1_11comp_targetILNS1_3genE5ELNS1_11target_archE942ELNS1_3gpuE9ELNS1_3repE0EEENS1_30default_config_static_selectorELNS0_4arch9wavefront6targetE0EEEvSK_,"axG",@progbits,_ZN7rocprim17ROCPRIM_400000_NS6detail17trampoline_kernelINS0_14default_configENS1_22reduce_config_selectorIN6thrust23THRUST_200600_302600_NS5tupleIblNS6_9null_typeES8_S8_S8_S8_S8_S8_S8_EEEEZNS1_11reduce_implILb1ES3_PS9_SC_S9_NS6_11hip_rocprim9__find_if7functorIS9_EEEE10hipError_tPvRmT1_T2_T3_mT4_P12ihipStream_tbEUlT_E0_NS1_11comp_targetILNS1_3genE5ELNS1_11target_archE942ELNS1_3gpuE9ELNS1_3repE0EEENS1_30default_config_static_selectorELNS0_4arch9wavefront6targetE0EEEvSK_,comdat
.Lfunc_end409:
	.size	_ZN7rocprim17ROCPRIM_400000_NS6detail17trampoline_kernelINS0_14default_configENS1_22reduce_config_selectorIN6thrust23THRUST_200600_302600_NS5tupleIblNS6_9null_typeES8_S8_S8_S8_S8_S8_S8_EEEEZNS1_11reduce_implILb1ES3_PS9_SC_S9_NS6_11hip_rocprim9__find_if7functorIS9_EEEE10hipError_tPvRmT1_T2_T3_mT4_P12ihipStream_tbEUlT_E0_NS1_11comp_targetILNS1_3genE5ELNS1_11target_archE942ELNS1_3gpuE9ELNS1_3repE0EEENS1_30default_config_static_selectorELNS0_4arch9wavefront6targetE0EEEvSK_, .Lfunc_end409-_ZN7rocprim17ROCPRIM_400000_NS6detail17trampoline_kernelINS0_14default_configENS1_22reduce_config_selectorIN6thrust23THRUST_200600_302600_NS5tupleIblNS6_9null_typeES8_S8_S8_S8_S8_S8_S8_EEEEZNS1_11reduce_implILb1ES3_PS9_SC_S9_NS6_11hip_rocprim9__find_if7functorIS9_EEEE10hipError_tPvRmT1_T2_T3_mT4_P12ihipStream_tbEUlT_E0_NS1_11comp_targetILNS1_3genE5ELNS1_11target_archE942ELNS1_3gpuE9ELNS1_3repE0EEENS1_30default_config_static_selectorELNS0_4arch9wavefront6targetE0EEEvSK_
                                        ; -- End function
	.section	.AMDGPU.csdata,"",@progbits
; Kernel info:
; codeLenInByte = 0
; NumSgprs: 0
; NumVgprs: 0
; ScratchSize: 0
; MemoryBound: 0
; FloatMode: 240
; IeeeMode: 1
; LDSByteSize: 0 bytes/workgroup (compile time only)
; SGPRBlocks: 0
; VGPRBlocks: 0
; NumSGPRsForWavesPerEU: 1
; NumVGPRsForWavesPerEU: 1
; Occupancy: 16
; WaveLimiterHint : 0
; COMPUTE_PGM_RSRC2:SCRATCH_EN: 0
; COMPUTE_PGM_RSRC2:USER_SGPR: 15
; COMPUTE_PGM_RSRC2:TRAP_HANDLER: 0
; COMPUTE_PGM_RSRC2:TGID_X_EN: 1
; COMPUTE_PGM_RSRC2:TGID_Y_EN: 0
; COMPUTE_PGM_RSRC2:TGID_Z_EN: 0
; COMPUTE_PGM_RSRC2:TIDIG_COMP_CNT: 0
	.section	.text._ZN7rocprim17ROCPRIM_400000_NS6detail17trampoline_kernelINS0_14default_configENS1_22reduce_config_selectorIN6thrust23THRUST_200600_302600_NS5tupleIblNS6_9null_typeES8_S8_S8_S8_S8_S8_S8_EEEEZNS1_11reduce_implILb1ES3_PS9_SC_S9_NS6_11hip_rocprim9__find_if7functorIS9_EEEE10hipError_tPvRmT1_T2_T3_mT4_P12ihipStream_tbEUlT_E0_NS1_11comp_targetILNS1_3genE4ELNS1_11target_archE910ELNS1_3gpuE8ELNS1_3repE0EEENS1_30default_config_static_selectorELNS0_4arch9wavefront6targetE0EEEvSK_,"axG",@progbits,_ZN7rocprim17ROCPRIM_400000_NS6detail17trampoline_kernelINS0_14default_configENS1_22reduce_config_selectorIN6thrust23THRUST_200600_302600_NS5tupleIblNS6_9null_typeES8_S8_S8_S8_S8_S8_S8_EEEEZNS1_11reduce_implILb1ES3_PS9_SC_S9_NS6_11hip_rocprim9__find_if7functorIS9_EEEE10hipError_tPvRmT1_T2_T3_mT4_P12ihipStream_tbEUlT_E0_NS1_11comp_targetILNS1_3genE4ELNS1_11target_archE910ELNS1_3gpuE8ELNS1_3repE0EEENS1_30default_config_static_selectorELNS0_4arch9wavefront6targetE0EEEvSK_,comdat
	.protected	_ZN7rocprim17ROCPRIM_400000_NS6detail17trampoline_kernelINS0_14default_configENS1_22reduce_config_selectorIN6thrust23THRUST_200600_302600_NS5tupleIblNS6_9null_typeES8_S8_S8_S8_S8_S8_S8_EEEEZNS1_11reduce_implILb1ES3_PS9_SC_S9_NS6_11hip_rocprim9__find_if7functorIS9_EEEE10hipError_tPvRmT1_T2_T3_mT4_P12ihipStream_tbEUlT_E0_NS1_11comp_targetILNS1_3genE4ELNS1_11target_archE910ELNS1_3gpuE8ELNS1_3repE0EEENS1_30default_config_static_selectorELNS0_4arch9wavefront6targetE0EEEvSK_ ; -- Begin function _ZN7rocprim17ROCPRIM_400000_NS6detail17trampoline_kernelINS0_14default_configENS1_22reduce_config_selectorIN6thrust23THRUST_200600_302600_NS5tupleIblNS6_9null_typeES8_S8_S8_S8_S8_S8_S8_EEEEZNS1_11reduce_implILb1ES3_PS9_SC_S9_NS6_11hip_rocprim9__find_if7functorIS9_EEEE10hipError_tPvRmT1_T2_T3_mT4_P12ihipStream_tbEUlT_E0_NS1_11comp_targetILNS1_3genE4ELNS1_11target_archE910ELNS1_3gpuE8ELNS1_3repE0EEENS1_30default_config_static_selectorELNS0_4arch9wavefront6targetE0EEEvSK_
	.globl	_ZN7rocprim17ROCPRIM_400000_NS6detail17trampoline_kernelINS0_14default_configENS1_22reduce_config_selectorIN6thrust23THRUST_200600_302600_NS5tupleIblNS6_9null_typeES8_S8_S8_S8_S8_S8_S8_EEEEZNS1_11reduce_implILb1ES3_PS9_SC_S9_NS6_11hip_rocprim9__find_if7functorIS9_EEEE10hipError_tPvRmT1_T2_T3_mT4_P12ihipStream_tbEUlT_E0_NS1_11comp_targetILNS1_3genE4ELNS1_11target_archE910ELNS1_3gpuE8ELNS1_3repE0EEENS1_30default_config_static_selectorELNS0_4arch9wavefront6targetE0EEEvSK_
	.p2align	8
	.type	_ZN7rocprim17ROCPRIM_400000_NS6detail17trampoline_kernelINS0_14default_configENS1_22reduce_config_selectorIN6thrust23THRUST_200600_302600_NS5tupleIblNS6_9null_typeES8_S8_S8_S8_S8_S8_S8_EEEEZNS1_11reduce_implILb1ES3_PS9_SC_S9_NS6_11hip_rocprim9__find_if7functorIS9_EEEE10hipError_tPvRmT1_T2_T3_mT4_P12ihipStream_tbEUlT_E0_NS1_11comp_targetILNS1_3genE4ELNS1_11target_archE910ELNS1_3gpuE8ELNS1_3repE0EEENS1_30default_config_static_selectorELNS0_4arch9wavefront6targetE0EEEvSK_,@function
_ZN7rocprim17ROCPRIM_400000_NS6detail17trampoline_kernelINS0_14default_configENS1_22reduce_config_selectorIN6thrust23THRUST_200600_302600_NS5tupleIblNS6_9null_typeES8_S8_S8_S8_S8_S8_S8_EEEEZNS1_11reduce_implILb1ES3_PS9_SC_S9_NS6_11hip_rocprim9__find_if7functorIS9_EEEE10hipError_tPvRmT1_T2_T3_mT4_P12ihipStream_tbEUlT_E0_NS1_11comp_targetILNS1_3genE4ELNS1_11target_archE910ELNS1_3gpuE8ELNS1_3repE0EEENS1_30default_config_static_selectorELNS0_4arch9wavefront6targetE0EEEvSK_: ; @_ZN7rocprim17ROCPRIM_400000_NS6detail17trampoline_kernelINS0_14default_configENS1_22reduce_config_selectorIN6thrust23THRUST_200600_302600_NS5tupleIblNS6_9null_typeES8_S8_S8_S8_S8_S8_S8_EEEEZNS1_11reduce_implILb1ES3_PS9_SC_S9_NS6_11hip_rocprim9__find_if7functorIS9_EEEE10hipError_tPvRmT1_T2_T3_mT4_P12ihipStream_tbEUlT_E0_NS1_11comp_targetILNS1_3genE4ELNS1_11target_archE910ELNS1_3gpuE8ELNS1_3repE0EEENS1_30default_config_static_selectorELNS0_4arch9wavefront6targetE0EEEvSK_
; %bb.0:
	.section	.rodata,"a",@progbits
	.p2align	6, 0x0
	.amdhsa_kernel _ZN7rocprim17ROCPRIM_400000_NS6detail17trampoline_kernelINS0_14default_configENS1_22reduce_config_selectorIN6thrust23THRUST_200600_302600_NS5tupleIblNS6_9null_typeES8_S8_S8_S8_S8_S8_S8_EEEEZNS1_11reduce_implILb1ES3_PS9_SC_S9_NS6_11hip_rocprim9__find_if7functorIS9_EEEE10hipError_tPvRmT1_T2_T3_mT4_P12ihipStream_tbEUlT_E0_NS1_11comp_targetILNS1_3genE4ELNS1_11target_archE910ELNS1_3gpuE8ELNS1_3repE0EEENS1_30default_config_static_selectorELNS0_4arch9wavefront6targetE0EEEvSK_
		.amdhsa_group_segment_fixed_size 0
		.amdhsa_private_segment_fixed_size 0
		.amdhsa_kernarg_size 72
		.amdhsa_user_sgpr_count 15
		.amdhsa_user_sgpr_dispatch_ptr 0
		.amdhsa_user_sgpr_queue_ptr 0
		.amdhsa_user_sgpr_kernarg_segment_ptr 1
		.amdhsa_user_sgpr_dispatch_id 0
		.amdhsa_user_sgpr_private_segment_size 0
		.amdhsa_wavefront_size32 1
		.amdhsa_uses_dynamic_stack 0
		.amdhsa_enable_private_segment 0
		.amdhsa_system_sgpr_workgroup_id_x 1
		.amdhsa_system_sgpr_workgroup_id_y 0
		.amdhsa_system_sgpr_workgroup_id_z 0
		.amdhsa_system_sgpr_workgroup_info 0
		.amdhsa_system_vgpr_workitem_id 0
		.amdhsa_next_free_vgpr 1
		.amdhsa_next_free_sgpr 1
		.amdhsa_reserve_vcc 0
		.amdhsa_float_round_mode_32 0
		.amdhsa_float_round_mode_16_64 0
		.amdhsa_float_denorm_mode_32 3
		.amdhsa_float_denorm_mode_16_64 3
		.amdhsa_dx10_clamp 1
		.amdhsa_ieee_mode 1
		.amdhsa_fp16_overflow 0
		.amdhsa_workgroup_processor_mode 1
		.amdhsa_memory_ordered 1
		.amdhsa_forward_progress 0
		.amdhsa_shared_vgpr_count 0
		.amdhsa_exception_fp_ieee_invalid_op 0
		.amdhsa_exception_fp_denorm_src 0
		.amdhsa_exception_fp_ieee_div_zero 0
		.amdhsa_exception_fp_ieee_overflow 0
		.amdhsa_exception_fp_ieee_underflow 0
		.amdhsa_exception_fp_ieee_inexact 0
		.amdhsa_exception_int_div_zero 0
	.end_amdhsa_kernel
	.section	.text._ZN7rocprim17ROCPRIM_400000_NS6detail17trampoline_kernelINS0_14default_configENS1_22reduce_config_selectorIN6thrust23THRUST_200600_302600_NS5tupleIblNS6_9null_typeES8_S8_S8_S8_S8_S8_S8_EEEEZNS1_11reduce_implILb1ES3_PS9_SC_S9_NS6_11hip_rocprim9__find_if7functorIS9_EEEE10hipError_tPvRmT1_T2_T3_mT4_P12ihipStream_tbEUlT_E0_NS1_11comp_targetILNS1_3genE4ELNS1_11target_archE910ELNS1_3gpuE8ELNS1_3repE0EEENS1_30default_config_static_selectorELNS0_4arch9wavefront6targetE0EEEvSK_,"axG",@progbits,_ZN7rocprim17ROCPRIM_400000_NS6detail17trampoline_kernelINS0_14default_configENS1_22reduce_config_selectorIN6thrust23THRUST_200600_302600_NS5tupleIblNS6_9null_typeES8_S8_S8_S8_S8_S8_S8_EEEEZNS1_11reduce_implILb1ES3_PS9_SC_S9_NS6_11hip_rocprim9__find_if7functorIS9_EEEE10hipError_tPvRmT1_T2_T3_mT4_P12ihipStream_tbEUlT_E0_NS1_11comp_targetILNS1_3genE4ELNS1_11target_archE910ELNS1_3gpuE8ELNS1_3repE0EEENS1_30default_config_static_selectorELNS0_4arch9wavefront6targetE0EEEvSK_,comdat
.Lfunc_end410:
	.size	_ZN7rocprim17ROCPRIM_400000_NS6detail17trampoline_kernelINS0_14default_configENS1_22reduce_config_selectorIN6thrust23THRUST_200600_302600_NS5tupleIblNS6_9null_typeES8_S8_S8_S8_S8_S8_S8_EEEEZNS1_11reduce_implILb1ES3_PS9_SC_S9_NS6_11hip_rocprim9__find_if7functorIS9_EEEE10hipError_tPvRmT1_T2_T3_mT4_P12ihipStream_tbEUlT_E0_NS1_11comp_targetILNS1_3genE4ELNS1_11target_archE910ELNS1_3gpuE8ELNS1_3repE0EEENS1_30default_config_static_selectorELNS0_4arch9wavefront6targetE0EEEvSK_, .Lfunc_end410-_ZN7rocprim17ROCPRIM_400000_NS6detail17trampoline_kernelINS0_14default_configENS1_22reduce_config_selectorIN6thrust23THRUST_200600_302600_NS5tupleIblNS6_9null_typeES8_S8_S8_S8_S8_S8_S8_EEEEZNS1_11reduce_implILb1ES3_PS9_SC_S9_NS6_11hip_rocprim9__find_if7functorIS9_EEEE10hipError_tPvRmT1_T2_T3_mT4_P12ihipStream_tbEUlT_E0_NS1_11comp_targetILNS1_3genE4ELNS1_11target_archE910ELNS1_3gpuE8ELNS1_3repE0EEENS1_30default_config_static_selectorELNS0_4arch9wavefront6targetE0EEEvSK_
                                        ; -- End function
	.section	.AMDGPU.csdata,"",@progbits
; Kernel info:
; codeLenInByte = 0
; NumSgprs: 0
; NumVgprs: 0
; ScratchSize: 0
; MemoryBound: 0
; FloatMode: 240
; IeeeMode: 1
; LDSByteSize: 0 bytes/workgroup (compile time only)
; SGPRBlocks: 0
; VGPRBlocks: 0
; NumSGPRsForWavesPerEU: 1
; NumVGPRsForWavesPerEU: 1
; Occupancy: 16
; WaveLimiterHint : 0
; COMPUTE_PGM_RSRC2:SCRATCH_EN: 0
; COMPUTE_PGM_RSRC2:USER_SGPR: 15
; COMPUTE_PGM_RSRC2:TRAP_HANDLER: 0
; COMPUTE_PGM_RSRC2:TGID_X_EN: 1
; COMPUTE_PGM_RSRC2:TGID_Y_EN: 0
; COMPUTE_PGM_RSRC2:TGID_Z_EN: 0
; COMPUTE_PGM_RSRC2:TIDIG_COMP_CNT: 0
	.section	.text._ZN7rocprim17ROCPRIM_400000_NS6detail17trampoline_kernelINS0_14default_configENS1_22reduce_config_selectorIN6thrust23THRUST_200600_302600_NS5tupleIblNS6_9null_typeES8_S8_S8_S8_S8_S8_S8_EEEEZNS1_11reduce_implILb1ES3_PS9_SC_S9_NS6_11hip_rocprim9__find_if7functorIS9_EEEE10hipError_tPvRmT1_T2_T3_mT4_P12ihipStream_tbEUlT_E0_NS1_11comp_targetILNS1_3genE3ELNS1_11target_archE908ELNS1_3gpuE7ELNS1_3repE0EEENS1_30default_config_static_selectorELNS0_4arch9wavefront6targetE0EEEvSK_,"axG",@progbits,_ZN7rocprim17ROCPRIM_400000_NS6detail17trampoline_kernelINS0_14default_configENS1_22reduce_config_selectorIN6thrust23THRUST_200600_302600_NS5tupleIblNS6_9null_typeES8_S8_S8_S8_S8_S8_S8_EEEEZNS1_11reduce_implILb1ES3_PS9_SC_S9_NS6_11hip_rocprim9__find_if7functorIS9_EEEE10hipError_tPvRmT1_T2_T3_mT4_P12ihipStream_tbEUlT_E0_NS1_11comp_targetILNS1_3genE3ELNS1_11target_archE908ELNS1_3gpuE7ELNS1_3repE0EEENS1_30default_config_static_selectorELNS0_4arch9wavefront6targetE0EEEvSK_,comdat
	.protected	_ZN7rocprim17ROCPRIM_400000_NS6detail17trampoline_kernelINS0_14default_configENS1_22reduce_config_selectorIN6thrust23THRUST_200600_302600_NS5tupleIblNS6_9null_typeES8_S8_S8_S8_S8_S8_S8_EEEEZNS1_11reduce_implILb1ES3_PS9_SC_S9_NS6_11hip_rocprim9__find_if7functorIS9_EEEE10hipError_tPvRmT1_T2_T3_mT4_P12ihipStream_tbEUlT_E0_NS1_11comp_targetILNS1_3genE3ELNS1_11target_archE908ELNS1_3gpuE7ELNS1_3repE0EEENS1_30default_config_static_selectorELNS0_4arch9wavefront6targetE0EEEvSK_ ; -- Begin function _ZN7rocprim17ROCPRIM_400000_NS6detail17trampoline_kernelINS0_14default_configENS1_22reduce_config_selectorIN6thrust23THRUST_200600_302600_NS5tupleIblNS6_9null_typeES8_S8_S8_S8_S8_S8_S8_EEEEZNS1_11reduce_implILb1ES3_PS9_SC_S9_NS6_11hip_rocprim9__find_if7functorIS9_EEEE10hipError_tPvRmT1_T2_T3_mT4_P12ihipStream_tbEUlT_E0_NS1_11comp_targetILNS1_3genE3ELNS1_11target_archE908ELNS1_3gpuE7ELNS1_3repE0EEENS1_30default_config_static_selectorELNS0_4arch9wavefront6targetE0EEEvSK_
	.globl	_ZN7rocprim17ROCPRIM_400000_NS6detail17trampoline_kernelINS0_14default_configENS1_22reduce_config_selectorIN6thrust23THRUST_200600_302600_NS5tupleIblNS6_9null_typeES8_S8_S8_S8_S8_S8_S8_EEEEZNS1_11reduce_implILb1ES3_PS9_SC_S9_NS6_11hip_rocprim9__find_if7functorIS9_EEEE10hipError_tPvRmT1_T2_T3_mT4_P12ihipStream_tbEUlT_E0_NS1_11comp_targetILNS1_3genE3ELNS1_11target_archE908ELNS1_3gpuE7ELNS1_3repE0EEENS1_30default_config_static_selectorELNS0_4arch9wavefront6targetE0EEEvSK_
	.p2align	8
	.type	_ZN7rocprim17ROCPRIM_400000_NS6detail17trampoline_kernelINS0_14default_configENS1_22reduce_config_selectorIN6thrust23THRUST_200600_302600_NS5tupleIblNS6_9null_typeES8_S8_S8_S8_S8_S8_S8_EEEEZNS1_11reduce_implILb1ES3_PS9_SC_S9_NS6_11hip_rocprim9__find_if7functorIS9_EEEE10hipError_tPvRmT1_T2_T3_mT4_P12ihipStream_tbEUlT_E0_NS1_11comp_targetILNS1_3genE3ELNS1_11target_archE908ELNS1_3gpuE7ELNS1_3repE0EEENS1_30default_config_static_selectorELNS0_4arch9wavefront6targetE0EEEvSK_,@function
_ZN7rocprim17ROCPRIM_400000_NS6detail17trampoline_kernelINS0_14default_configENS1_22reduce_config_selectorIN6thrust23THRUST_200600_302600_NS5tupleIblNS6_9null_typeES8_S8_S8_S8_S8_S8_S8_EEEEZNS1_11reduce_implILb1ES3_PS9_SC_S9_NS6_11hip_rocprim9__find_if7functorIS9_EEEE10hipError_tPvRmT1_T2_T3_mT4_P12ihipStream_tbEUlT_E0_NS1_11comp_targetILNS1_3genE3ELNS1_11target_archE908ELNS1_3gpuE7ELNS1_3repE0EEENS1_30default_config_static_selectorELNS0_4arch9wavefront6targetE0EEEvSK_: ; @_ZN7rocprim17ROCPRIM_400000_NS6detail17trampoline_kernelINS0_14default_configENS1_22reduce_config_selectorIN6thrust23THRUST_200600_302600_NS5tupleIblNS6_9null_typeES8_S8_S8_S8_S8_S8_S8_EEEEZNS1_11reduce_implILb1ES3_PS9_SC_S9_NS6_11hip_rocprim9__find_if7functorIS9_EEEE10hipError_tPvRmT1_T2_T3_mT4_P12ihipStream_tbEUlT_E0_NS1_11comp_targetILNS1_3genE3ELNS1_11target_archE908ELNS1_3gpuE7ELNS1_3repE0EEENS1_30default_config_static_selectorELNS0_4arch9wavefront6targetE0EEEvSK_
; %bb.0:
	.section	.rodata,"a",@progbits
	.p2align	6, 0x0
	.amdhsa_kernel _ZN7rocprim17ROCPRIM_400000_NS6detail17trampoline_kernelINS0_14default_configENS1_22reduce_config_selectorIN6thrust23THRUST_200600_302600_NS5tupleIblNS6_9null_typeES8_S8_S8_S8_S8_S8_S8_EEEEZNS1_11reduce_implILb1ES3_PS9_SC_S9_NS6_11hip_rocprim9__find_if7functorIS9_EEEE10hipError_tPvRmT1_T2_T3_mT4_P12ihipStream_tbEUlT_E0_NS1_11comp_targetILNS1_3genE3ELNS1_11target_archE908ELNS1_3gpuE7ELNS1_3repE0EEENS1_30default_config_static_selectorELNS0_4arch9wavefront6targetE0EEEvSK_
		.amdhsa_group_segment_fixed_size 0
		.amdhsa_private_segment_fixed_size 0
		.amdhsa_kernarg_size 72
		.amdhsa_user_sgpr_count 15
		.amdhsa_user_sgpr_dispatch_ptr 0
		.amdhsa_user_sgpr_queue_ptr 0
		.amdhsa_user_sgpr_kernarg_segment_ptr 1
		.amdhsa_user_sgpr_dispatch_id 0
		.amdhsa_user_sgpr_private_segment_size 0
		.amdhsa_wavefront_size32 1
		.amdhsa_uses_dynamic_stack 0
		.amdhsa_enable_private_segment 0
		.amdhsa_system_sgpr_workgroup_id_x 1
		.amdhsa_system_sgpr_workgroup_id_y 0
		.amdhsa_system_sgpr_workgroup_id_z 0
		.amdhsa_system_sgpr_workgroup_info 0
		.amdhsa_system_vgpr_workitem_id 0
		.amdhsa_next_free_vgpr 1
		.amdhsa_next_free_sgpr 1
		.amdhsa_reserve_vcc 0
		.amdhsa_float_round_mode_32 0
		.amdhsa_float_round_mode_16_64 0
		.amdhsa_float_denorm_mode_32 3
		.amdhsa_float_denorm_mode_16_64 3
		.amdhsa_dx10_clamp 1
		.amdhsa_ieee_mode 1
		.amdhsa_fp16_overflow 0
		.amdhsa_workgroup_processor_mode 1
		.amdhsa_memory_ordered 1
		.amdhsa_forward_progress 0
		.amdhsa_shared_vgpr_count 0
		.amdhsa_exception_fp_ieee_invalid_op 0
		.amdhsa_exception_fp_denorm_src 0
		.amdhsa_exception_fp_ieee_div_zero 0
		.amdhsa_exception_fp_ieee_overflow 0
		.amdhsa_exception_fp_ieee_underflow 0
		.amdhsa_exception_fp_ieee_inexact 0
		.amdhsa_exception_int_div_zero 0
	.end_amdhsa_kernel
	.section	.text._ZN7rocprim17ROCPRIM_400000_NS6detail17trampoline_kernelINS0_14default_configENS1_22reduce_config_selectorIN6thrust23THRUST_200600_302600_NS5tupleIblNS6_9null_typeES8_S8_S8_S8_S8_S8_S8_EEEEZNS1_11reduce_implILb1ES3_PS9_SC_S9_NS6_11hip_rocprim9__find_if7functorIS9_EEEE10hipError_tPvRmT1_T2_T3_mT4_P12ihipStream_tbEUlT_E0_NS1_11comp_targetILNS1_3genE3ELNS1_11target_archE908ELNS1_3gpuE7ELNS1_3repE0EEENS1_30default_config_static_selectorELNS0_4arch9wavefront6targetE0EEEvSK_,"axG",@progbits,_ZN7rocprim17ROCPRIM_400000_NS6detail17trampoline_kernelINS0_14default_configENS1_22reduce_config_selectorIN6thrust23THRUST_200600_302600_NS5tupleIblNS6_9null_typeES8_S8_S8_S8_S8_S8_S8_EEEEZNS1_11reduce_implILb1ES3_PS9_SC_S9_NS6_11hip_rocprim9__find_if7functorIS9_EEEE10hipError_tPvRmT1_T2_T3_mT4_P12ihipStream_tbEUlT_E0_NS1_11comp_targetILNS1_3genE3ELNS1_11target_archE908ELNS1_3gpuE7ELNS1_3repE0EEENS1_30default_config_static_selectorELNS0_4arch9wavefront6targetE0EEEvSK_,comdat
.Lfunc_end411:
	.size	_ZN7rocprim17ROCPRIM_400000_NS6detail17trampoline_kernelINS0_14default_configENS1_22reduce_config_selectorIN6thrust23THRUST_200600_302600_NS5tupleIblNS6_9null_typeES8_S8_S8_S8_S8_S8_S8_EEEEZNS1_11reduce_implILb1ES3_PS9_SC_S9_NS6_11hip_rocprim9__find_if7functorIS9_EEEE10hipError_tPvRmT1_T2_T3_mT4_P12ihipStream_tbEUlT_E0_NS1_11comp_targetILNS1_3genE3ELNS1_11target_archE908ELNS1_3gpuE7ELNS1_3repE0EEENS1_30default_config_static_selectorELNS0_4arch9wavefront6targetE0EEEvSK_, .Lfunc_end411-_ZN7rocprim17ROCPRIM_400000_NS6detail17trampoline_kernelINS0_14default_configENS1_22reduce_config_selectorIN6thrust23THRUST_200600_302600_NS5tupleIblNS6_9null_typeES8_S8_S8_S8_S8_S8_S8_EEEEZNS1_11reduce_implILb1ES3_PS9_SC_S9_NS6_11hip_rocprim9__find_if7functorIS9_EEEE10hipError_tPvRmT1_T2_T3_mT4_P12ihipStream_tbEUlT_E0_NS1_11comp_targetILNS1_3genE3ELNS1_11target_archE908ELNS1_3gpuE7ELNS1_3repE0EEENS1_30default_config_static_selectorELNS0_4arch9wavefront6targetE0EEEvSK_
                                        ; -- End function
	.section	.AMDGPU.csdata,"",@progbits
; Kernel info:
; codeLenInByte = 0
; NumSgprs: 0
; NumVgprs: 0
; ScratchSize: 0
; MemoryBound: 0
; FloatMode: 240
; IeeeMode: 1
; LDSByteSize: 0 bytes/workgroup (compile time only)
; SGPRBlocks: 0
; VGPRBlocks: 0
; NumSGPRsForWavesPerEU: 1
; NumVGPRsForWavesPerEU: 1
; Occupancy: 16
; WaveLimiterHint : 0
; COMPUTE_PGM_RSRC2:SCRATCH_EN: 0
; COMPUTE_PGM_RSRC2:USER_SGPR: 15
; COMPUTE_PGM_RSRC2:TRAP_HANDLER: 0
; COMPUTE_PGM_RSRC2:TGID_X_EN: 1
; COMPUTE_PGM_RSRC2:TGID_Y_EN: 0
; COMPUTE_PGM_RSRC2:TGID_Z_EN: 0
; COMPUTE_PGM_RSRC2:TIDIG_COMP_CNT: 0
	.section	.text._ZN7rocprim17ROCPRIM_400000_NS6detail17trampoline_kernelINS0_14default_configENS1_22reduce_config_selectorIN6thrust23THRUST_200600_302600_NS5tupleIblNS6_9null_typeES8_S8_S8_S8_S8_S8_S8_EEEEZNS1_11reduce_implILb1ES3_PS9_SC_S9_NS6_11hip_rocprim9__find_if7functorIS9_EEEE10hipError_tPvRmT1_T2_T3_mT4_P12ihipStream_tbEUlT_E0_NS1_11comp_targetILNS1_3genE2ELNS1_11target_archE906ELNS1_3gpuE6ELNS1_3repE0EEENS1_30default_config_static_selectorELNS0_4arch9wavefront6targetE0EEEvSK_,"axG",@progbits,_ZN7rocprim17ROCPRIM_400000_NS6detail17trampoline_kernelINS0_14default_configENS1_22reduce_config_selectorIN6thrust23THRUST_200600_302600_NS5tupleIblNS6_9null_typeES8_S8_S8_S8_S8_S8_S8_EEEEZNS1_11reduce_implILb1ES3_PS9_SC_S9_NS6_11hip_rocprim9__find_if7functorIS9_EEEE10hipError_tPvRmT1_T2_T3_mT4_P12ihipStream_tbEUlT_E0_NS1_11comp_targetILNS1_3genE2ELNS1_11target_archE906ELNS1_3gpuE6ELNS1_3repE0EEENS1_30default_config_static_selectorELNS0_4arch9wavefront6targetE0EEEvSK_,comdat
	.protected	_ZN7rocprim17ROCPRIM_400000_NS6detail17trampoline_kernelINS0_14default_configENS1_22reduce_config_selectorIN6thrust23THRUST_200600_302600_NS5tupleIblNS6_9null_typeES8_S8_S8_S8_S8_S8_S8_EEEEZNS1_11reduce_implILb1ES3_PS9_SC_S9_NS6_11hip_rocprim9__find_if7functorIS9_EEEE10hipError_tPvRmT1_T2_T3_mT4_P12ihipStream_tbEUlT_E0_NS1_11comp_targetILNS1_3genE2ELNS1_11target_archE906ELNS1_3gpuE6ELNS1_3repE0EEENS1_30default_config_static_selectorELNS0_4arch9wavefront6targetE0EEEvSK_ ; -- Begin function _ZN7rocprim17ROCPRIM_400000_NS6detail17trampoline_kernelINS0_14default_configENS1_22reduce_config_selectorIN6thrust23THRUST_200600_302600_NS5tupleIblNS6_9null_typeES8_S8_S8_S8_S8_S8_S8_EEEEZNS1_11reduce_implILb1ES3_PS9_SC_S9_NS6_11hip_rocprim9__find_if7functorIS9_EEEE10hipError_tPvRmT1_T2_T3_mT4_P12ihipStream_tbEUlT_E0_NS1_11comp_targetILNS1_3genE2ELNS1_11target_archE906ELNS1_3gpuE6ELNS1_3repE0EEENS1_30default_config_static_selectorELNS0_4arch9wavefront6targetE0EEEvSK_
	.globl	_ZN7rocprim17ROCPRIM_400000_NS6detail17trampoline_kernelINS0_14default_configENS1_22reduce_config_selectorIN6thrust23THRUST_200600_302600_NS5tupleIblNS6_9null_typeES8_S8_S8_S8_S8_S8_S8_EEEEZNS1_11reduce_implILb1ES3_PS9_SC_S9_NS6_11hip_rocprim9__find_if7functorIS9_EEEE10hipError_tPvRmT1_T2_T3_mT4_P12ihipStream_tbEUlT_E0_NS1_11comp_targetILNS1_3genE2ELNS1_11target_archE906ELNS1_3gpuE6ELNS1_3repE0EEENS1_30default_config_static_selectorELNS0_4arch9wavefront6targetE0EEEvSK_
	.p2align	8
	.type	_ZN7rocprim17ROCPRIM_400000_NS6detail17trampoline_kernelINS0_14default_configENS1_22reduce_config_selectorIN6thrust23THRUST_200600_302600_NS5tupleIblNS6_9null_typeES8_S8_S8_S8_S8_S8_S8_EEEEZNS1_11reduce_implILb1ES3_PS9_SC_S9_NS6_11hip_rocprim9__find_if7functorIS9_EEEE10hipError_tPvRmT1_T2_T3_mT4_P12ihipStream_tbEUlT_E0_NS1_11comp_targetILNS1_3genE2ELNS1_11target_archE906ELNS1_3gpuE6ELNS1_3repE0EEENS1_30default_config_static_selectorELNS0_4arch9wavefront6targetE0EEEvSK_,@function
_ZN7rocprim17ROCPRIM_400000_NS6detail17trampoline_kernelINS0_14default_configENS1_22reduce_config_selectorIN6thrust23THRUST_200600_302600_NS5tupleIblNS6_9null_typeES8_S8_S8_S8_S8_S8_S8_EEEEZNS1_11reduce_implILb1ES3_PS9_SC_S9_NS6_11hip_rocprim9__find_if7functorIS9_EEEE10hipError_tPvRmT1_T2_T3_mT4_P12ihipStream_tbEUlT_E0_NS1_11comp_targetILNS1_3genE2ELNS1_11target_archE906ELNS1_3gpuE6ELNS1_3repE0EEENS1_30default_config_static_selectorELNS0_4arch9wavefront6targetE0EEEvSK_: ; @_ZN7rocprim17ROCPRIM_400000_NS6detail17trampoline_kernelINS0_14default_configENS1_22reduce_config_selectorIN6thrust23THRUST_200600_302600_NS5tupleIblNS6_9null_typeES8_S8_S8_S8_S8_S8_S8_EEEEZNS1_11reduce_implILb1ES3_PS9_SC_S9_NS6_11hip_rocprim9__find_if7functorIS9_EEEE10hipError_tPvRmT1_T2_T3_mT4_P12ihipStream_tbEUlT_E0_NS1_11comp_targetILNS1_3genE2ELNS1_11target_archE906ELNS1_3gpuE6ELNS1_3repE0EEENS1_30default_config_static_selectorELNS0_4arch9wavefront6targetE0EEEvSK_
; %bb.0:
	.section	.rodata,"a",@progbits
	.p2align	6, 0x0
	.amdhsa_kernel _ZN7rocprim17ROCPRIM_400000_NS6detail17trampoline_kernelINS0_14default_configENS1_22reduce_config_selectorIN6thrust23THRUST_200600_302600_NS5tupleIblNS6_9null_typeES8_S8_S8_S8_S8_S8_S8_EEEEZNS1_11reduce_implILb1ES3_PS9_SC_S9_NS6_11hip_rocprim9__find_if7functorIS9_EEEE10hipError_tPvRmT1_T2_T3_mT4_P12ihipStream_tbEUlT_E0_NS1_11comp_targetILNS1_3genE2ELNS1_11target_archE906ELNS1_3gpuE6ELNS1_3repE0EEENS1_30default_config_static_selectorELNS0_4arch9wavefront6targetE0EEEvSK_
		.amdhsa_group_segment_fixed_size 0
		.amdhsa_private_segment_fixed_size 0
		.amdhsa_kernarg_size 72
		.amdhsa_user_sgpr_count 15
		.amdhsa_user_sgpr_dispatch_ptr 0
		.amdhsa_user_sgpr_queue_ptr 0
		.amdhsa_user_sgpr_kernarg_segment_ptr 1
		.amdhsa_user_sgpr_dispatch_id 0
		.amdhsa_user_sgpr_private_segment_size 0
		.amdhsa_wavefront_size32 1
		.amdhsa_uses_dynamic_stack 0
		.amdhsa_enable_private_segment 0
		.amdhsa_system_sgpr_workgroup_id_x 1
		.amdhsa_system_sgpr_workgroup_id_y 0
		.amdhsa_system_sgpr_workgroup_id_z 0
		.amdhsa_system_sgpr_workgroup_info 0
		.amdhsa_system_vgpr_workitem_id 0
		.amdhsa_next_free_vgpr 1
		.amdhsa_next_free_sgpr 1
		.amdhsa_reserve_vcc 0
		.amdhsa_float_round_mode_32 0
		.amdhsa_float_round_mode_16_64 0
		.amdhsa_float_denorm_mode_32 3
		.amdhsa_float_denorm_mode_16_64 3
		.amdhsa_dx10_clamp 1
		.amdhsa_ieee_mode 1
		.amdhsa_fp16_overflow 0
		.amdhsa_workgroup_processor_mode 1
		.amdhsa_memory_ordered 1
		.amdhsa_forward_progress 0
		.amdhsa_shared_vgpr_count 0
		.amdhsa_exception_fp_ieee_invalid_op 0
		.amdhsa_exception_fp_denorm_src 0
		.amdhsa_exception_fp_ieee_div_zero 0
		.amdhsa_exception_fp_ieee_overflow 0
		.amdhsa_exception_fp_ieee_underflow 0
		.amdhsa_exception_fp_ieee_inexact 0
		.amdhsa_exception_int_div_zero 0
	.end_amdhsa_kernel
	.section	.text._ZN7rocprim17ROCPRIM_400000_NS6detail17trampoline_kernelINS0_14default_configENS1_22reduce_config_selectorIN6thrust23THRUST_200600_302600_NS5tupleIblNS6_9null_typeES8_S8_S8_S8_S8_S8_S8_EEEEZNS1_11reduce_implILb1ES3_PS9_SC_S9_NS6_11hip_rocprim9__find_if7functorIS9_EEEE10hipError_tPvRmT1_T2_T3_mT4_P12ihipStream_tbEUlT_E0_NS1_11comp_targetILNS1_3genE2ELNS1_11target_archE906ELNS1_3gpuE6ELNS1_3repE0EEENS1_30default_config_static_selectorELNS0_4arch9wavefront6targetE0EEEvSK_,"axG",@progbits,_ZN7rocprim17ROCPRIM_400000_NS6detail17trampoline_kernelINS0_14default_configENS1_22reduce_config_selectorIN6thrust23THRUST_200600_302600_NS5tupleIblNS6_9null_typeES8_S8_S8_S8_S8_S8_S8_EEEEZNS1_11reduce_implILb1ES3_PS9_SC_S9_NS6_11hip_rocprim9__find_if7functorIS9_EEEE10hipError_tPvRmT1_T2_T3_mT4_P12ihipStream_tbEUlT_E0_NS1_11comp_targetILNS1_3genE2ELNS1_11target_archE906ELNS1_3gpuE6ELNS1_3repE0EEENS1_30default_config_static_selectorELNS0_4arch9wavefront6targetE0EEEvSK_,comdat
.Lfunc_end412:
	.size	_ZN7rocprim17ROCPRIM_400000_NS6detail17trampoline_kernelINS0_14default_configENS1_22reduce_config_selectorIN6thrust23THRUST_200600_302600_NS5tupleIblNS6_9null_typeES8_S8_S8_S8_S8_S8_S8_EEEEZNS1_11reduce_implILb1ES3_PS9_SC_S9_NS6_11hip_rocprim9__find_if7functorIS9_EEEE10hipError_tPvRmT1_T2_T3_mT4_P12ihipStream_tbEUlT_E0_NS1_11comp_targetILNS1_3genE2ELNS1_11target_archE906ELNS1_3gpuE6ELNS1_3repE0EEENS1_30default_config_static_selectorELNS0_4arch9wavefront6targetE0EEEvSK_, .Lfunc_end412-_ZN7rocprim17ROCPRIM_400000_NS6detail17trampoline_kernelINS0_14default_configENS1_22reduce_config_selectorIN6thrust23THRUST_200600_302600_NS5tupleIblNS6_9null_typeES8_S8_S8_S8_S8_S8_S8_EEEEZNS1_11reduce_implILb1ES3_PS9_SC_S9_NS6_11hip_rocprim9__find_if7functorIS9_EEEE10hipError_tPvRmT1_T2_T3_mT4_P12ihipStream_tbEUlT_E0_NS1_11comp_targetILNS1_3genE2ELNS1_11target_archE906ELNS1_3gpuE6ELNS1_3repE0EEENS1_30default_config_static_selectorELNS0_4arch9wavefront6targetE0EEEvSK_
                                        ; -- End function
	.section	.AMDGPU.csdata,"",@progbits
; Kernel info:
; codeLenInByte = 0
; NumSgprs: 0
; NumVgprs: 0
; ScratchSize: 0
; MemoryBound: 0
; FloatMode: 240
; IeeeMode: 1
; LDSByteSize: 0 bytes/workgroup (compile time only)
; SGPRBlocks: 0
; VGPRBlocks: 0
; NumSGPRsForWavesPerEU: 1
; NumVGPRsForWavesPerEU: 1
; Occupancy: 16
; WaveLimiterHint : 0
; COMPUTE_PGM_RSRC2:SCRATCH_EN: 0
; COMPUTE_PGM_RSRC2:USER_SGPR: 15
; COMPUTE_PGM_RSRC2:TRAP_HANDLER: 0
; COMPUTE_PGM_RSRC2:TGID_X_EN: 1
; COMPUTE_PGM_RSRC2:TGID_Y_EN: 0
; COMPUTE_PGM_RSRC2:TGID_Z_EN: 0
; COMPUTE_PGM_RSRC2:TIDIG_COMP_CNT: 0
	.section	.text._ZN7rocprim17ROCPRIM_400000_NS6detail17trampoline_kernelINS0_14default_configENS1_22reduce_config_selectorIN6thrust23THRUST_200600_302600_NS5tupleIblNS6_9null_typeES8_S8_S8_S8_S8_S8_S8_EEEEZNS1_11reduce_implILb1ES3_PS9_SC_S9_NS6_11hip_rocprim9__find_if7functorIS9_EEEE10hipError_tPvRmT1_T2_T3_mT4_P12ihipStream_tbEUlT_E0_NS1_11comp_targetILNS1_3genE10ELNS1_11target_archE1201ELNS1_3gpuE5ELNS1_3repE0EEENS1_30default_config_static_selectorELNS0_4arch9wavefront6targetE0EEEvSK_,"axG",@progbits,_ZN7rocprim17ROCPRIM_400000_NS6detail17trampoline_kernelINS0_14default_configENS1_22reduce_config_selectorIN6thrust23THRUST_200600_302600_NS5tupleIblNS6_9null_typeES8_S8_S8_S8_S8_S8_S8_EEEEZNS1_11reduce_implILb1ES3_PS9_SC_S9_NS6_11hip_rocprim9__find_if7functorIS9_EEEE10hipError_tPvRmT1_T2_T3_mT4_P12ihipStream_tbEUlT_E0_NS1_11comp_targetILNS1_3genE10ELNS1_11target_archE1201ELNS1_3gpuE5ELNS1_3repE0EEENS1_30default_config_static_selectorELNS0_4arch9wavefront6targetE0EEEvSK_,comdat
	.protected	_ZN7rocprim17ROCPRIM_400000_NS6detail17trampoline_kernelINS0_14default_configENS1_22reduce_config_selectorIN6thrust23THRUST_200600_302600_NS5tupleIblNS6_9null_typeES8_S8_S8_S8_S8_S8_S8_EEEEZNS1_11reduce_implILb1ES3_PS9_SC_S9_NS6_11hip_rocprim9__find_if7functorIS9_EEEE10hipError_tPvRmT1_T2_T3_mT4_P12ihipStream_tbEUlT_E0_NS1_11comp_targetILNS1_3genE10ELNS1_11target_archE1201ELNS1_3gpuE5ELNS1_3repE0EEENS1_30default_config_static_selectorELNS0_4arch9wavefront6targetE0EEEvSK_ ; -- Begin function _ZN7rocprim17ROCPRIM_400000_NS6detail17trampoline_kernelINS0_14default_configENS1_22reduce_config_selectorIN6thrust23THRUST_200600_302600_NS5tupleIblNS6_9null_typeES8_S8_S8_S8_S8_S8_S8_EEEEZNS1_11reduce_implILb1ES3_PS9_SC_S9_NS6_11hip_rocprim9__find_if7functorIS9_EEEE10hipError_tPvRmT1_T2_T3_mT4_P12ihipStream_tbEUlT_E0_NS1_11comp_targetILNS1_3genE10ELNS1_11target_archE1201ELNS1_3gpuE5ELNS1_3repE0EEENS1_30default_config_static_selectorELNS0_4arch9wavefront6targetE0EEEvSK_
	.globl	_ZN7rocprim17ROCPRIM_400000_NS6detail17trampoline_kernelINS0_14default_configENS1_22reduce_config_selectorIN6thrust23THRUST_200600_302600_NS5tupleIblNS6_9null_typeES8_S8_S8_S8_S8_S8_S8_EEEEZNS1_11reduce_implILb1ES3_PS9_SC_S9_NS6_11hip_rocprim9__find_if7functorIS9_EEEE10hipError_tPvRmT1_T2_T3_mT4_P12ihipStream_tbEUlT_E0_NS1_11comp_targetILNS1_3genE10ELNS1_11target_archE1201ELNS1_3gpuE5ELNS1_3repE0EEENS1_30default_config_static_selectorELNS0_4arch9wavefront6targetE0EEEvSK_
	.p2align	8
	.type	_ZN7rocprim17ROCPRIM_400000_NS6detail17trampoline_kernelINS0_14default_configENS1_22reduce_config_selectorIN6thrust23THRUST_200600_302600_NS5tupleIblNS6_9null_typeES8_S8_S8_S8_S8_S8_S8_EEEEZNS1_11reduce_implILb1ES3_PS9_SC_S9_NS6_11hip_rocprim9__find_if7functorIS9_EEEE10hipError_tPvRmT1_T2_T3_mT4_P12ihipStream_tbEUlT_E0_NS1_11comp_targetILNS1_3genE10ELNS1_11target_archE1201ELNS1_3gpuE5ELNS1_3repE0EEENS1_30default_config_static_selectorELNS0_4arch9wavefront6targetE0EEEvSK_,@function
_ZN7rocprim17ROCPRIM_400000_NS6detail17trampoline_kernelINS0_14default_configENS1_22reduce_config_selectorIN6thrust23THRUST_200600_302600_NS5tupleIblNS6_9null_typeES8_S8_S8_S8_S8_S8_S8_EEEEZNS1_11reduce_implILb1ES3_PS9_SC_S9_NS6_11hip_rocprim9__find_if7functorIS9_EEEE10hipError_tPvRmT1_T2_T3_mT4_P12ihipStream_tbEUlT_E0_NS1_11comp_targetILNS1_3genE10ELNS1_11target_archE1201ELNS1_3gpuE5ELNS1_3repE0EEENS1_30default_config_static_selectorELNS0_4arch9wavefront6targetE0EEEvSK_: ; @_ZN7rocprim17ROCPRIM_400000_NS6detail17trampoline_kernelINS0_14default_configENS1_22reduce_config_selectorIN6thrust23THRUST_200600_302600_NS5tupleIblNS6_9null_typeES8_S8_S8_S8_S8_S8_S8_EEEEZNS1_11reduce_implILb1ES3_PS9_SC_S9_NS6_11hip_rocprim9__find_if7functorIS9_EEEE10hipError_tPvRmT1_T2_T3_mT4_P12ihipStream_tbEUlT_E0_NS1_11comp_targetILNS1_3genE10ELNS1_11target_archE1201ELNS1_3gpuE5ELNS1_3repE0EEENS1_30default_config_static_selectorELNS0_4arch9wavefront6targetE0EEEvSK_
; %bb.0:
	.section	.rodata,"a",@progbits
	.p2align	6, 0x0
	.amdhsa_kernel _ZN7rocprim17ROCPRIM_400000_NS6detail17trampoline_kernelINS0_14default_configENS1_22reduce_config_selectorIN6thrust23THRUST_200600_302600_NS5tupleIblNS6_9null_typeES8_S8_S8_S8_S8_S8_S8_EEEEZNS1_11reduce_implILb1ES3_PS9_SC_S9_NS6_11hip_rocprim9__find_if7functorIS9_EEEE10hipError_tPvRmT1_T2_T3_mT4_P12ihipStream_tbEUlT_E0_NS1_11comp_targetILNS1_3genE10ELNS1_11target_archE1201ELNS1_3gpuE5ELNS1_3repE0EEENS1_30default_config_static_selectorELNS0_4arch9wavefront6targetE0EEEvSK_
		.amdhsa_group_segment_fixed_size 0
		.amdhsa_private_segment_fixed_size 0
		.amdhsa_kernarg_size 72
		.amdhsa_user_sgpr_count 15
		.amdhsa_user_sgpr_dispatch_ptr 0
		.amdhsa_user_sgpr_queue_ptr 0
		.amdhsa_user_sgpr_kernarg_segment_ptr 1
		.amdhsa_user_sgpr_dispatch_id 0
		.amdhsa_user_sgpr_private_segment_size 0
		.amdhsa_wavefront_size32 1
		.amdhsa_uses_dynamic_stack 0
		.amdhsa_enable_private_segment 0
		.amdhsa_system_sgpr_workgroup_id_x 1
		.amdhsa_system_sgpr_workgroup_id_y 0
		.amdhsa_system_sgpr_workgroup_id_z 0
		.amdhsa_system_sgpr_workgroup_info 0
		.amdhsa_system_vgpr_workitem_id 0
		.amdhsa_next_free_vgpr 1
		.amdhsa_next_free_sgpr 1
		.amdhsa_reserve_vcc 0
		.amdhsa_float_round_mode_32 0
		.amdhsa_float_round_mode_16_64 0
		.amdhsa_float_denorm_mode_32 3
		.amdhsa_float_denorm_mode_16_64 3
		.amdhsa_dx10_clamp 1
		.amdhsa_ieee_mode 1
		.amdhsa_fp16_overflow 0
		.amdhsa_workgroup_processor_mode 1
		.amdhsa_memory_ordered 1
		.amdhsa_forward_progress 0
		.amdhsa_shared_vgpr_count 0
		.amdhsa_exception_fp_ieee_invalid_op 0
		.amdhsa_exception_fp_denorm_src 0
		.amdhsa_exception_fp_ieee_div_zero 0
		.amdhsa_exception_fp_ieee_overflow 0
		.amdhsa_exception_fp_ieee_underflow 0
		.amdhsa_exception_fp_ieee_inexact 0
		.amdhsa_exception_int_div_zero 0
	.end_amdhsa_kernel
	.section	.text._ZN7rocprim17ROCPRIM_400000_NS6detail17trampoline_kernelINS0_14default_configENS1_22reduce_config_selectorIN6thrust23THRUST_200600_302600_NS5tupleIblNS6_9null_typeES8_S8_S8_S8_S8_S8_S8_EEEEZNS1_11reduce_implILb1ES3_PS9_SC_S9_NS6_11hip_rocprim9__find_if7functorIS9_EEEE10hipError_tPvRmT1_T2_T3_mT4_P12ihipStream_tbEUlT_E0_NS1_11comp_targetILNS1_3genE10ELNS1_11target_archE1201ELNS1_3gpuE5ELNS1_3repE0EEENS1_30default_config_static_selectorELNS0_4arch9wavefront6targetE0EEEvSK_,"axG",@progbits,_ZN7rocprim17ROCPRIM_400000_NS6detail17trampoline_kernelINS0_14default_configENS1_22reduce_config_selectorIN6thrust23THRUST_200600_302600_NS5tupleIblNS6_9null_typeES8_S8_S8_S8_S8_S8_S8_EEEEZNS1_11reduce_implILb1ES3_PS9_SC_S9_NS6_11hip_rocprim9__find_if7functorIS9_EEEE10hipError_tPvRmT1_T2_T3_mT4_P12ihipStream_tbEUlT_E0_NS1_11comp_targetILNS1_3genE10ELNS1_11target_archE1201ELNS1_3gpuE5ELNS1_3repE0EEENS1_30default_config_static_selectorELNS0_4arch9wavefront6targetE0EEEvSK_,comdat
.Lfunc_end413:
	.size	_ZN7rocprim17ROCPRIM_400000_NS6detail17trampoline_kernelINS0_14default_configENS1_22reduce_config_selectorIN6thrust23THRUST_200600_302600_NS5tupleIblNS6_9null_typeES8_S8_S8_S8_S8_S8_S8_EEEEZNS1_11reduce_implILb1ES3_PS9_SC_S9_NS6_11hip_rocprim9__find_if7functorIS9_EEEE10hipError_tPvRmT1_T2_T3_mT4_P12ihipStream_tbEUlT_E0_NS1_11comp_targetILNS1_3genE10ELNS1_11target_archE1201ELNS1_3gpuE5ELNS1_3repE0EEENS1_30default_config_static_selectorELNS0_4arch9wavefront6targetE0EEEvSK_, .Lfunc_end413-_ZN7rocprim17ROCPRIM_400000_NS6detail17trampoline_kernelINS0_14default_configENS1_22reduce_config_selectorIN6thrust23THRUST_200600_302600_NS5tupleIblNS6_9null_typeES8_S8_S8_S8_S8_S8_S8_EEEEZNS1_11reduce_implILb1ES3_PS9_SC_S9_NS6_11hip_rocprim9__find_if7functorIS9_EEEE10hipError_tPvRmT1_T2_T3_mT4_P12ihipStream_tbEUlT_E0_NS1_11comp_targetILNS1_3genE10ELNS1_11target_archE1201ELNS1_3gpuE5ELNS1_3repE0EEENS1_30default_config_static_selectorELNS0_4arch9wavefront6targetE0EEEvSK_
                                        ; -- End function
	.section	.AMDGPU.csdata,"",@progbits
; Kernel info:
; codeLenInByte = 0
; NumSgprs: 0
; NumVgprs: 0
; ScratchSize: 0
; MemoryBound: 0
; FloatMode: 240
; IeeeMode: 1
; LDSByteSize: 0 bytes/workgroup (compile time only)
; SGPRBlocks: 0
; VGPRBlocks: 0
; NumSGPRsForWavesPerEU: 1
; NumVGPRsForWavesPerEU: 1
; Occupancy: 16
; WaveLimiterHint : 0
; COMPUTE_PGM_RSRC2:SCRATCH_EN: 0
; COMPUTE_PGM_RSRC2:USER_SGPR: 15
; COMPUTE_PGM_RSRC2:TRAP_HANDLER: 0
; COMPUTE_PGM_RSRC2:TGID_X_EN: 1
; COMPUTE_PGM_RSRC2:TGID_Y_EN: 0
; COMPUTE_PGM_RSRC2:TGID_Z_EN: 0
; COMPUTE_PGM_RSRC2:TIDIG_COMP_CNT: 0
	.section	.text._ZN7rocprim17ROCPRIM_400000_NS6detail17trampoline_kernelINS0_14default_configENS1_22reduce_config_selectorIN6thrust23THRUST_200600_302600_NS5tupleIblNS6_9null_typeES8_S8_S8_S8_S8_S8_S8_EEEEZNS1_11reduce_implILb1ES3_PS9_SC_S9_NS6_11hip_rocprim9__find_if7functorIS9_EEEE10hipError_tPvRmT1_T2_T3_mT4_P12ihipStream_tbEUlT_E0_NS1_11comp_targetILNS1_3genE10ELNS1_11target_archE1200ELNS1_3gpuE4ELNS1_3repE0EEENS1_30default_config_static_selectorELNS0_4arch9wavefront6targetE0EEEvSK_,"axG",@progbits,_ZN7rocprim17ROCPRIM_400000_NS6detail17trampoline_kernelINS0_14default_configENS1_22reduce_config_selectorIN6thrust23THRUST_200600_302600_NS5tupleIblNS6_9null_typeES8_S8_S8_S8_S8_S8_S8_EEEEZNS1_11reduce_implILb1ES3_PS9_SC_S9_NS6_11hip_rocprim9__find_if7functorIS9_EEEE10hipError_tPvRmT1_T2_T3_mT4_P12ihipStream_tbEUlT_E0_NS1_11comp_targetILNS1_3genE10ELNS1_11target_archE1200ELNS1_3gpuE4ELNS1_3repE0EEENS1_30default_config_static_selectorELNS0_4arch9wavefront6targetE0EEEvSK_,comdat
	.protected	_ZN7rocprim17ROCPRIM_400000_NS6detail17trampoline_kernelINS0_14default_configENS1_22reduce_config_selectorIN6thrust23THRUST_200600_302600_NS5tupleIblNS6_9null_typeES8_S8_S8_S8_S8_S8_S8_EEEEZNS1_11reduce_implILb1ES3_PS9_SC_S9_NS6_11hip_rocprim9__find_if7functorIS9_EEEE10hipError_tPvRmT1_T2_T3_mT4_P12ihipStream_tbEUlT_E0_NS1_11comp_targetILNS1_3genE10ELNS1_11target_archE1200ELNS1_3gpuE4ELNS1_3repE0EEENS1_30default_config_static_selectorELNS0_4arch9wavefront6targetE0EEEvSK_ ; -- Begin function _ZN7rocprim17ROCPRIM_400000_NS6detail17trampoline_kernelINS0_14default_configENS1_22reduce_config_selectorIN6thrust23THRUST_200600_302600_NS5tupleIblNS6_9null_typeES8_S8_S8_S8_S8_S8_S8_EEEEZNS1_11reduce_implILb1ES3_PS9_SC_S9_NS6_11hip_rocprim9__find_if7functorIS9_EEEE10hipError_tPvRmT1_T2_T3_mT4_P12ihipStream_tbEUlT_E0_NS1_11comp_targetILNS1_3genE10ELNS1_11target_archE1200ELNS1_3gpuE4ELNS1_3repE0EEENS1_30default_config_static_selectorELNS0_4arch9wavefront6targetE0EEEvSK_
	.globl	_ZN7rocprim17ROCPRIM_400000_NS6detail17trampoline_kernelINS0_14default_configENS1_22reduce_config_selectorIN6thrust23THRUST_200600_302600_NS5tupleIblNS6_9null_typeES8_S8_S8_S8_S8_S8_S8_EEEEZNS1_11reduce_implILb1ES3_PS9_SC_S9_NS6_11hip_rocprim9__find_if7functorIS9_EEEE10hipError_tPvRmT1_T2_T3_mT4_P12ihipStream_tbEUlT_E0_NS1_11comp_targetILNS1_3genE10ELNS1_11target_archE1200ELNS1_3gpuE4ELNS1_3repE0EEENS1_30default_config_static_selectorELNS0_4arch9wavefront6targetE0EEEvSK_
	.p2align	8
	.type	_ZN7rocprim17ROCPRIM_400000_NS6detail17trampoline_kernelINS0_14default_configENS1_22reduce_config_selectorIN6thrust23THRUST_200600_302600_NS5tupleIblNS6_9null_typeES8_S8_S8_S8_S8_S8_S8_EEEEZNS1_11reduce_implILb1ES3_PS9_SC_S9_NS6_11hip_rocprim9__find_if7functorIS9_EEEE10hipError_tPvRmT1_T2_T3_mT4_P12ihipStream_tbEUlT_E0_NS1_11comp_targetILNS1_3genE10ELNS1_11target_archE1200ELNS1_3gpuE4ELNS1_3repE0EEENS1_30default_config_static_selectorELNS0_4arch9wavefront6targetE0EEEvSK_,@function
_ZN7rocprim17ROCPRIM_400000_NS6detail17trampoline_kernelINS0_14default_configENS1_22reduce_config_selectorIN6thrust23THRUST_200600_302600_NS5tupleIblNS6_9null_typeES8_S8_S8_S8_S8_S8_S8_EEEEZNS1_11reduce_implILb1ES3_PS9_SC_S9_NS6_11hip_rocprim9__find_if7functorIS9_EEEE10hipError_tPvRmT1_T2_T3_mT4_P12ihipStream_tbEUlT_E0_NS1_11comp_targetILNS1_3genE10ELNS1_11target_archE1200ELNS1_3gpuE4ELNS1_3repE0EEENS1_30default_config_static_selectorELNS0_4arch9wavefront6targetE0EEEvSK_: ; @_ZN7rocprim17ROCPRIM_400000_NS6detail17trampoline_kernelINS0_14default_configENS1_22reduce_config_selectorIN6thrust23THRUST_200600_302600_NS5tupleIblNS6_9null_typeES8_S8_S8_S8_S8_S8_S8_EEEEZNS1_11reduce_implILb1ES3_PS9_SC_S9_NS6_11hip_rocprim9__find_if7functorIS9_EEEE10hipError_tPvRmT1_T2_T3_mT4_P12ihipStream_tbEUlT_E0_NS1_11comp_targetILNS1_3genE10ELNS1_11target_archE1200ELNS1_3gpuE4ELNS1_3repE0EEENS1_30default_config_static_selectorELNS0_4arch9wavefront6targetE0EEEvSK_
; %bb.0:
	.section	.rodata,"a",@progbits
	.p2align	6, 0x0
	.amdhsa_kernel _ZN7rocprim17ROCPRIM_400000_NS6detail17trampoline_kernelINS0_14default_configENS1_22reduce_config_selectorIN6thrust23THRUST_200600_302600_NS5tupleIblNS6_9null_typeES8_S8_S8_S8_S8_S8_S8_EEEEZNS1_11reduce_implILb1ES3_PS9_SC_S9_NS6_11hip_rocprim9__find_if7functorIS9_EEEE10hipError_tPvRmT1_T2_T3_mT4_P12ihipStream_tbEUlT_E0_NS1_11comp_targetILNS1_3genE10ELNS1_11target_archE1200ELNS1_3gpuE4ELNS1_3repE0EEENS1_30default_config_static_selectorELNS0_4arch9wavefront6targetE0EEEvSK_
		.amdhsa_group_segment_fixed_size 0
		.amdhsa_private_segment_fixed_size 0
		.amdhsa_kernarg_size 72
		.amdhsa_user_sgpr_count 15
		.amdhsa_user_sgpr_dispatch_ptr 0
		.amdhsa_user_sgpr_queue_ptr 0
		.amdhsa_user_sgpr_kernarg_segment_ptr 1
		.amdhsa_user_sgpr_dispatch_id 0
		.amdhsa_user_sgpr_private_segment_size 0
		.amdhsa_wavefront_size32 1
		.amdhsa_uses_dynamic_stack 0
		.amdhsa_enable_private_segment 0
		.amdhsa_system_sgpr_workgroup_id_x 1
		.amdhsa_system_sgpr_workgroup_id_y 0
		.amdhsa_system_sgpr_workgroup_id_z 0
		.amdhsa_system_sgpr_workgroup_info 0
		.amdhsa_system_vgpr_workitem_id 0
		.amdhsa_next_free_vgpr 1
		.amdhsa_next_free_sgpr 1
		.amdhsa_reserve_vcc 0
		.amdhsa_float_round_mode_32 0
		.amdhsa_float_round_mode_16_64 0
		.amdhsa_float_denorm_mode_32 3
		.amdhsa_float_denorm_mode_16_64 3
		.amdhsa_dx10_clamp 1
		.amdhsa_ieee_mode 1
		.amdhsa_fp16_overflow 0
		.amdhsa_workgroup_processor_mode 1
		.amdhsa_memory_ordered 1
		.amdhsa_forward_progress 0
		.amdhsa_shared_vgpr_count 0
		.amdhsa_exception_fp_ieee_invalid_op 0
		.amdhsa_exception_fp_denorm_src 0
		.amdhsa_exception_fp_ieee_div_zero 0
		.amdhsa_exception_fp_ieee_overflow 0
		.amdhsa_exception_fp_ieee_underflow 0
		.amdhsa_exception_fp_ieee_inexact 0
		.amdhsa_exception_int_div_zero 0
	.end_amdhsa_kernel
	.section	.text._ZN7rocprim17ROCPRIM_400000_NS6detail17trampoline_kernelINS0_14default_configENS1_22reduce_config_selectorIN6thrust23THRUST_200600_302600_NS5tupleIblNS6_9null_typeES8_S8_S8_S8_S8_S8_S8_EEEEZNS1_11reduce_implILb1ES3_PS9_SC_S9_NS6_11hip_rocprim9__find_if7functorIS9_EEEE10hipError_tPvRmT1_T2_T3_mT4_P12ihipStream_tbEUlT_E0_NS1_11comp_targetILNS1_3genE10ELNS1_11target_archE1200ELNS1_3gpuE4ELNS1_3repE0EEENS1_30default_config_static_selectorELNS0_4arch9wavefront6targetE0EEEvSK_,"axG",@progbits,_ZN7rocprim17ROCPRIM_400000_NS6detail17trampoline_kernelINS0_14default_configENS1_22reduce_config_selectorIN6thrust23THRUST_200600_302600_NS5tupleIblNS6_9null_typeES8_S8_S8_S8_S8_S8_S8_EEEEZNS1_11reduce_implILb1ES3_PS9_SC_S9_NS6_11hip_rocprim9__find_if7functorIS9_EEEE10hipError_tPvRmT1_T2_T3_mT4_P12ihipStream_tbEUlT_E0_NS1_11comp_targetILNS1_3genE10ELNS1_11target_archE1200ELNS1_3gpuE4ELNS1_3repE0EEENS1_30default_config_static_selectorELNS0_4arch9wavefront6targetE0EEEvSK_,comdat
.Lfunc_end414:
	.size	_ZN7rocprim17ROCPRIM_400000_NS6detail17trampoline_kernelINS0_14default_configENS1_22reduce_config_selectorIN6thrust23THRUST_200600_302600_NS5tupleIblNS6_9null_typeES8_S8_S8_S8_S8_S8_S8_EEEEZNS1_11reduce_implILb1ES3_PS9_SC_S9_NS6_11hip_rocprim9__find_if7functorIS9_EEEE10hipError_tPvRmT1_T2_T3_mT4_P12ihipStream_tbEUlT_E0_NS1_11comp_targetILNS1_3genE10ELNS1_11target_archE1200ELNS1_3gpuE4ELNS1_3repE0EEENS1_30default_config_static_selectorELNS0_4arch9wavefront6targetE0EEEvSK_, .Lfunc_end414-_ZN7rocprim17ROCPRIM_400000_NS6detail17trampoline_kernelINS0_14default_configENS1_22reduce_config_selectorIN6thrust23THRUST_200600_302600_NS5tupleIblNS6_9null_typeES8_S8_S8_S8_S8_S8_S8_EEEEZNS1_11reduce_implILb1ES3_PS9_SC_S9_NS6_11hip_rocprim9__find_if7functorIS9_EEEE10hipError_tPvRmT1_T2_T3_mT4_P12ihipStream_tbEUlT_E0_NS1_11comp_targetILNS1_3genE10ELNS1_11target_archE1200ELNS1_3gpuE4ELNS1_3repE0EEENS1_30default_config_static_selectorELNS0_4arch9wavefront6targetE0EEEvSK_
                                        ; -- End function
	.section	.AMDGPU.csdata,"",@progbits
; Kernel info:
; codeLenInByte = 0
; NumSgprs: 0
; NumVgprs: 0
; ScratchSize: 0
; MemoryBound: 0
; FloatMode: 240
; IeeeMode: 1
; LDSByteSize: 0 bytes/workgroup (compile time only)
; SGPRBlocks: 0
; VGPRBlocks: 0
; NumSGPRsForWavesPerEU: 1
; NumVGPRsForWavesPerEU: 1
; Occupancy: 16
; WaveLimiterHint : 0
; COMPUTE_PGM_RSRC2:SCRATCH_EN: 0
; COMPUTE_PGM_RSRC2:USER_SGPR: 15
; COMPUTE_PGM_RSRC2:TRAP_HANDLER: 0
; COMPUTE_PGM_RSRC2:TGID_X_EN: 1
; COMPUTE_PGM_RSRC2:TGID_Y_EN: 0
; COMPUTE_PGM_RSRC2:TGID_Z_EN: 0
; COMPUTE_PGM_RSRC2:TIDIG_COMP_CNT: 0
	.section	.text._ZN7rocprim17ROCPRIM_400000_NS6detail17trampoline_kernelINS0_14default_configENS1_22reduce_config_selectorIN6thrust23THRUST_200600_302600_NS5tupleIblNS6_9null_typeES8_S8_S8_S8_S8_S8_S8_EEEEZNS1_11reduce_implILb1ES3_PS9_SC_S9_NS6_11hip_rocprim9__find_if7functorIS9_EEEE10hipError_tPvRmT1_T2_T3_mT4_P12ihipStream_tbEUlT_E0_NS1_11comp_targetILNS1_3genE9ELNS1_11target_archE1100ELNS1_3gpuE3ELNS1_3repE0EEENS1_30default_config_static_selectorELNS0_4arch9wavefront6targetE0EEEvSK_,"axG",@progbits,_ZN7rocprim17ROCPRIM_400000_NS6detail17trampoline_kernelINS0_14default_configENS1_22reduce_config_selectorIN6thrust23THRUST_200600_302600_NS5tupleIblNS6_9null_typeES8_S8_S8_S8_S8_S8_S8_EEEEZNS1_11reduce_implILb1ES3_PS9_SC_S9_NS6_11hip_rocprim9__find_if7functorIS9_EEEE10hipError_tPvRmT1_T2_T3_mT4_P12ihipStream_tbEUlT_E0_NS1_11comp_targetILNS1_3genE9ELNS1_11target_archE1100ELNS1_3gpuE3ELNS1_3repE0EEENS1_30default_config_static_selectorELNS0_4arch9wavefront6targetE0EEEvSK_,comdat
	.protected	_ZN7rocprim17ROCPRIM_400000_NS6detail17trampoline_kernelINS0_14default_configENS1_22reduce_config_selectorIN6thrust23THRUST_200600_302600_NS5tupleIblNS6_9null_typeES8_S8_S8_S8_S8_S8_S8_EEEEZNS1_11reduce_implILb1ES3_PS9_SC_S9_NS6_11hip_rocprim9__find_if7functorIS9_EEEE10hipError_tPvRmT1_T2_T3_mT4_P12ihipStream_tbEUlT_E0_NS1_11comp_targetILNS1_3genE9ELNS1_11target_archE1100ELNS1_3gpuE3ELNS1_3repE0EEENS1_30default_config_static_selectorELNS0_4arch9wavefront6targetE0EEEvSK_ ; -- Begin function _ZN7rocprim17ROCPRIM_400000_NS6detail17trampoline_kernelINS0_14default_configENS1_22reduce_config_selectorIN6thrust23THRUST_200600_302600_NS5tupleIblNS6_9null_typeES8_S8_S8_S8_S8_S8_S8_EEEEZNS1_11reduce_implILb1ES3_PS9_SC_S9_NS6_11hip_rocprim9__find_if7functorIS9_EEEE10hipError_tPvRmT1_T2_T3_mT4_P12ihipStream_tbEUlT_E0_NS1_11comp_targetILNS1_3genE9ELNS1_11target_archE1100ELNS1_3gpuE3ELNS1_3repE0EEENS1_30default_config_static_selectorELNS0_4arch9wavefront6targetE0EEEvSK_
	.globl	_ZN7rocprim17ROCPRIM_400000_NS6detail17trampoline_kernelINS0_14default_configENS1_22reduce_config_selectorIN6thrust23THRUST_200600_302600_NS5tupleIblNS6_9null_typeES8_S8_S8_S8_S8_S8_S8_EEEEZNS1_11reduce_implILb1ES3_PS9_SC_S9_NS6_11hip_rocprim9__find_if7functorIS9_EEEE10hipError_tPvRmT1_T2_T3_mT4_P12ihipStream_tbEUlT_E0_NS1_11comp_targetILNS1_3genE9ELNS1_11target_archE1100ELNS1_3gpuE3ELNS1_3repE0EEENS1_30default_config_static_selectorELNS0_4arch9wavefront6targetE0EEEvSK_
	.p2align	8
	.type	_ZN7rocprim17ROCPRIM_400000_NS6detail17trampoline_kernelINS0_14default_configENS1_22reduce_config_selectorIN6thrust23THRUST_200600_302600_NS5tupleIblNS6_9null_typeES8_S8_S8_S8_S8_S8_S8_EEEEZNS1_11reduce_implILb1ES3_PS9_SC_S9_NS6_11hip_rocprim9__find_if7functorIS9_EEEE10hipError_tPvRmT1_T2_T3_mT4_P12ihipStream_tbEUlT_E0_NS1_11comp_targetILNS1_3genE9ELNS1_11target_archE1100ELNS1_3gpuE3ELNS1_3repE0EEENS1_30default_config_static_selectorELNS0_4arch9wavefront6targetE0EEEvSK_,@function
_ZN7rocprim17ROCPRIM_400000_NS6detail17trampoline_kernelINS0_14default_configENS1_22reduce_config_selectorIN6thrust23THRUST_200600_302600_NS5tupleIblNS6_9null_typeES8_S8_S8_S8_S8_S8_S8_EEEEZNS1_11reduce_implILb1ES3_PS9_SC_S9_NS6_11hip_rocprim9__find_if7functorIS9_EEEE10hipError_tPvRmT1_T2_T3_mT4_P12ihipStream_tbEUlT_E0_NS1_11comp_targetILNS1_3genE9ELNS1_11target_archE1100ELNS1_3gpuE3ELNS1_3repE0EEENS1_30default_config_static_selectorELNS0_4arch9wavefront6targetE0EEEvSK_: ; @_ZN7rocprim17ROCPRIM_400000_NS6detail17trampoline_kernelINS0_14default_configENS1_22reduce_config_selectorIN6thrust23THRUST_200600_302600_NS5tupleIblNS6_9null_typeES8_S8_S8_S8_S8_S8_S8_EEEEZNS1_11reduce_implILb1ES3_PS9_SC_S9_NS6_11hip_rocprim9__find_if7functorIS9_EEEE10hipError_tPvRmT1_T2_T3_mT4_P12ihipStream_tbEUlT_E0_NS1_11comp_targetILNS1_3genE9ELNS1_11target_archE1100ELNS1_3gpuE3ELNS1_3repE0EEENS1_30default_config_static_selectorELNS0_4arch9wavefront6targetE0EEEvSK_
; %bb.0:
	s_mov_b32 s16, s15
	s_clause 0x1
	s_load_b256 s[4:11], s[0:1], 0x0
	s_load_b128 s[12:15], s[0:1], 0x20
	s_mov_b32 s19, 0
	s_delay_alu instid0(SALU_CYCLE_1) | instskip(SKIP_2) | instid1(SALU_CYCLE_1)
	s_mov_b32 s17, s19
	s_waitcnt lgkmcnt(0)
	s_lshl_b64 s[2:3], s[6:7], 4
	s_add_u32 s4, s4, s2
	s_addc_u32 s5, s5, s3
	s_lshl_b32 s18, s16, 10
	s_lshr_b64 s[6:7], s[8:9], 10
	s_lshl_b64 s[2:3], s[18:19], 4
	s_delay_alu instid0(SALU_CYCLE_1)
	s_add_u32 s4, s4, s2
	s_addc_u32 s5, s5, s3
	s_cmp_lg_u64 s[6:7], s[16:17]
	s_cbranch_scc0 .LBB415_18
; %bb.1:
	v_lshlrev_b32_e32 v1, 4, v0
	s_mov_b32 s3, exec_lo
	s_delay_alu instid0(VALU_DEP_1) | instskip(NEXT) | instid1(VALU_DEP_1)
	v_add_co_u32 v7, s2, s4, v1
	v_add_co_ci_u32_e64 v8, null, s5, 0, s2
	global_load_u8 v11, v1, s[4:5]
	v_add_co_u32 v1, vcc_lo, 0x1000, v7
	v_add_co_ci_u32_e32 v2, vcc_lo, 0, v8, vcc_lo
	v_add_co_u32 v12, vcc_lo, v7, 0x2000
	v_add_co_ci_u32_e32 v13, vcc_lo, 0, v8, vcc_lo
	;; [unrolled: 2-line block ×4, first 2 shown]
	s_clause 0x5
	global_load_u8 v10, v[12:13], off
	global_load_b64 v[5:6], v[1:2], off offset:8
	global_load_b64 v[3:4], v[3:4], off offset:8
	global_load_u8 v9, v[14:15], off
	global_load_u8 v12, v[12:13], off offset:-4096
	global_load_b64 v[1:2], v[14:15], off offset:8
	s_waitcnt vmcnt(6)
	v_and_b32_e32 v13, 1, v11
	s_delay_alu instid0(VALU_DEP_1)
	v_cmpx_eq_u32_e32 1, v13
	s_cbranch_execz .LBB415_3
; %bb.2:
	global_load_b64 v[7:8], v[7:8], off offset:8
	s_waitcnt vmcnt(2)
	v_and_b32_e32 v12, 1, v12
	s_delay_alu instid0(VALU_DEP_1) | instskip(NEXT) | instid1(VALU_DEP_1)
	v_cmp_eq_u32_e64 s2, 1, v12
	v_cndmask_b32_e64 v12, v11, 1, s2
	s_waitcnt vmcnt(0)
	v_cmp_lt_i64_e32 vcc_lo, v[5:6], v[7:8]
	v_cndmask_b32_e32 v6, v8, v6, vcc_lo
	s_and_b32 vcc_lo, s2, vcc_lo
	v_cndmask_b32_e32 v5, v7, v5, vcc_lo
	s_delay_alu instid0(VALU_DEP_2)
	v_cndmask_b32_e64 v6, v8, v6, s2
.LBB415_3:
	s_or_b32 exec_lo, exec_lo, s3
	s_waitcnt vmcnt(5)
	v_and_b32_e32 v7, 1, v10
	s_waitcnt vmcnt(3)
	v_cmp_lt_i64_e32 vcc_lo, v[3:4], v[5:6]
	s_delay_alu instid0(VALU_DEP_2) | instskip(SKIP_2) | instid1(VALU_DEP_2)
	v_cmp_eq_u32_e64 s2, 1, v7
	s_waitcnt vmcnt(1)
	v_and_b32_e32 v7, 1, v12
	v_cndmask_b32_e64 v8, v12, 1, s2
	s_and_b32 vcc_lo, s2, vcc_lo
	s_delay_alu instid0(VALU_DEP_2) | instskip(SKIP_1) | instid1(VALU_DEP_2)
	v_cmp_eq_u32_e64 s2, 1, v7
	v_dual_cndmask_b32 v5, v5, v3 :: v_dual_cndmask_b32 v6, v6, v4
	v_cndmask_b32_e64 v7, v10, v8, s2
	v_and_b32_e32 v8, 1, v9
	s_delay_alu instid0(VALU_DEP_3) | instskip(NEXT) | instid1(VALU_DEP_4)
	v_cndmask_b32_e64 v3, v3, v5, s2
	v_cndmask_b32_e64 v4, v4, v6, s2
	s_delay_alu instid0(VALU_DEP_4) | instskip(NEXT) | instid1(VALU_DEP_4)
	v_and_b32_e32 v5, 1, v7
	v_cmp_eq_u32_e32 vcc_lo, 1, v8
	s_waitcnt vmcnt(0)
	s_delay_alu instid0(VALU_DEP_3) | instskip(NEXT) | instid1(VALU_DEP_3)
	v_cmp_lt_i64_e64 s3, v[1:2], v[3:4]
	v_cmp_eq_u32_e64 s2, 1, v5
	v_cndmask_b32_e64 v7, v7, 1, vcc_lo
	s_delay_alu instid0(VALU_DEP_3) | instskip(NEXT) | instid1(VALU_DEP_1)
	s_and_b32 vcc_lo, vcc_lo, s3
	v_cndmask_b32_e64 v7, v9, v7, s2
	s_delay_alu instid0(VALU_DEP_1) | instskip(NEXT) | instid1(VALU_DEP_1)
	v_dual_cndmask_b32 v4, v4, v2 :: v_dual_and_b32 v5, 0xff, v7
	v_cndmask_b32_e64 v2, v2, v4, s2
	v_and_b32_e32 v7, 1, v7
	s_delay_alu instid0(VALU_DEP_3) | instskip(SKIP_1) | instid1(VALU_DEP_4)
	v_mov_b32_dpp v6, v5 quad_perm:[1,0,3,2] row_mask:0xf bank_mask:0xf
	v_cndmask_b32_e32 v3, v3, v1, vcc_lo
	v_mov_b32_dpp v4, v2 quad_perm:[1,0,3,2] row_mask:0xf bank_mask:0xf
	s_delay_alu instid0(VALU_DEP_4) | instskip(NEXT) | instid1(VALU_DEP_4)
	v_cmp_eq_u32_e64 s3, 1, v7
	v_and_b32_e32 v8, 1, v6
	s_delay_alu instid0(VALU_DEP_4) | instskip(SKIP_1) | instid1(VALU_DEP_1)
	v_cndmask_b32_e64 v1, v1, v3, s2
	s_mov_b32 s2, exec_lo
	v_mov_b32_dpp v3, v1 quad_perm:[1,0,3,2] row_mask:0xf bank_mask:0xf
	s_delay_alu instid0(VALU_DEP_3)
	v_cmpx_eq_u32_e32 1, v8
	s_xor_b32 s6, exec_lo, s2
; %bb.4:
	v_cndmask_b32_e64 v5, v6, 1, s3
	s_delay_alu instid0(VALU_DEP_3) | instskip(NEXT) | instid1(VALU_DEP_2)
	v_cmp_lt_i64_e32 vcc_lo, v[1:2], v[3:4]
	v_and_b32_e32 v6, 1, v5
	v_and_b32_e32 v5, 0xff, v5
	s_and_b32 vcc_lo, s3, vcc_lo
	s_and_not1_b32 s3, s3, exec_lo
	v_dual_cndmask_b32 v2, v4, v2 :: v_dual_cndmask_b32 v1, v3, v1
	v_cmp_eq_u32_e64 s2, 1, v6
	s_delay_alu instid0(VALU_DEP_1) | instskip(NEXT) | instid1(SALU_CYCLE_1)
	s_and_b32 s2, s2, exec_lo
	s_or_b32 s3, s3, s2
; %bb.5:
	s_or_b32 exec_lo, exec_lo, s6
	v_mov_b32_dpp v6, v5 quad_perm:[2,3,0,1] row_mask:0xf bank_mask:0xf
	v_mov_b32_dpp v3, v1 quad_perm:[2,3,0,1] row_mask:0xf bank_mask:0xf
	;; [unrolled: 1-line block ×3, first 2 shown]
	s_mov_b32 s6, exec_lo
	s_delay_alu instid0(VALU_DEP_3) | instskip(NEXT) | instid1(VALU_DEP_1)
	v_and_b32_e32 v7, 1, v6
	v_cmpx_eq_u32_e32 1, v7
; %bb.6:
	v_cndmask_b32_e64 v5, v6, 1, s3
	v_cmp_lt_i64_e32 vcc_lo, v[1:2], v[3:4]
	s_delay_alu instid0(VALU_DEP_2)
	v_and_b32_e32 v6, 1, v5
	v_and_b32_e32 v5, 0xff, v5
	s_and_b32 vcc_lo, s3, vcc_lo
	s_and_not1_b32 s3, s3, exec_lo
	v_dual_cndmask_b32 v2, v4, v2 :: v_dual_cndmask_b32 v1, v3, v1
	v_cmp_eq_u32_e64 s2, 1, v6
	s_delay_alu instid0(VALU_DEP_1) | instskip(NEXT) | instid1(SALU_CYCLE_1)
	s_and_b32 s2, s2, exec_lo
	s_or_b32 s3, s3, s2
; %bb.7:
	s_or_b32 exec_lo, exec_lo, s6
	v_mov_b32_dpp v6, v5 row_ror:4 row_mask:0xf bank_mask:0xf
	v_mov_b32_dpp v3, v1 row_ror:4 row_mask:0xf bank_mask:0xf
	;; [unrolled: 1-line block ×3, first 2 shown]
	s_mov_b32 s6, exec_lo
	s_delay_alu instid0(VALU_DEP_3) | instskip(NEXT) | instid1(VALU_DEP_1)
	v_and_b32_e32 v7, 1, v6
	v_cmpx_eq_u32_e32 1, v7
; %bb.8:
	v_cndmask_b32_e64 v5, v6, 1, s3
	v_cmp_lt_i64_e32 vcc_lo, v[1:2], v[3:4]
	s_delay_alu instid0(VALU_DEP_2)
	v_and_b32_e32 v6, 1, v5
	v_and_b32_e32 v5, 0xff, v5
	s_and_b32 vcc_lo, s3, vcc_lo
	s_and_not1_b32 s3, s3, exec_lo
	v_dual_cndmask_b32 v2, v4, v2 :: v_dual_cndmask_b32 v1, v3, v1
	v_cmp_eq_u32_e64 s2, 1, v6
	s_delay_alu instid0(VALU_DEP_1) | instskip(NEXT) | instid1(SALU_CYCLE_1)
	s_and_b32 s2, s2, exec_lo
	s_or_b32 s3, s3, s2
; %bb.9:
	s_or_b32 exec_lo, exec_lo, s6
	v_mov_b32_dpp v6, v5 row_ror:8 row_mask:0xf bank_mask:0xf
	v_mov_b32_dpp v3, v1 row_ror:8 row_mask:0xf bank_mask:0xf
	;; [unrolled: 1-line block ×3, first 2 shown]
	s_mov_b32 s6, exec_lo
	s_delay_alu instid0(VALU_DEP_3) | instskip(NEXT) | instid1(VALU_DEP_1)
	v_and_b32_e32 v7, 1, v6
	v_cmpx_eq_u32_e32 1, v7
; %bb.10:
	v_cndmask_b32_e64 v5, v6, 1, s3
	v_cmp_lt_i64_e32 vcc_lo, v[1:2], v[3:4]
	s_delay_alu instid0(VALU_DEP_2)
	v_and_b32_e32 v6, 1, v5
	v_and_b32_e32 v5, 0xff, v5
	s_and_b32 vcc_lo, s3, vcc_lo
	s_and_not1_b32 s3, s3, exec_lo
	v_dual_cndmask_b32 v2, v4, v2 :: v_dual_cndmask_b32 v1, v3, v1
	v_cmp_eq_u32_e64 s2, 1, v6
	s_delay_alu instid0(VALU_DEP_1) | instskip(NEXT) | instid1(SALU_CYCLE_1)
	s_and_b32 s2, s2, exec_lo
	s_or_b32 s3, s3, s2
; %bb.11:
	s_or_b32 exec_lo, exec_lo, s6
	ds_swizzle_b32 v6, v5 offset:swizzle(BROADCAST,32,15)
	ds_swizzle_b32 v3, v1 offset:swizzle(BROADCAST,32,15)
	;; [unrolled: 1-line block ×3, first 2 shown]
	s_mov_b32 s2, exec_lo
	s_waitcnt lgkmcnt(2)
	v_and_b32_e32 v7, 1, v6
	s_delay_alu instid0(VALU_DEP_1)
	v_cmpx_eq_u32_e32 1, v7
	s_cbranch_execz .LBB415_13
; %bb.12:
	s_waitcnt lgkmcnt(0)
	v_cmp_lt_i64_e32 vcc_lo, v[1:2], v[3:4]
	v_and_b32_e32 v5, 0xff, v6
	s_delay_alu instid0(VALU_DEP_1)
	v_cndmask_b32_e64 v5, v5, 1, s3
	s_and_b32 vcc_lo, s3, vcc_lo
	v_dual_cndmask_b32 v1, v3, v1 :: v_dual_cndmask_b32 v2, v4, v2
.LBB415_13:
	s_or_b32 exec_lo, exec_lo, s2
	s_waitcnt lgkmcnt(1)
	v_mov_b32_e32 v3, 0
	s_mov_b32 s2, exec_lo
	ds_bpermute_b32 v6, v3, v5 offset:124
	ds_bpermute_b32 v1, v3, v1 offset:124
	;; [unrolled: 1-line block ×3, first 2 shown]
	v_mbcnt_lo_u32_b32 v3, -1, 0
	s_delay_alu instid0(VALU_DEP_1)
	v_cmpx_eq_u32_e32 0, v3
	s_cbranch_execz .LBB415_15
; %bb.14:
	s_waitcnt lgkmcnt(3)
	v_lshrrev_b32_e32 v4, 1, v0
	s_delay_alu instid0(VALU_DEP_1)
	v_and_b32_e32 v4, 0x70, v4
	s_waitcnt lgkmcnt(2)
	ds_store_b8 v4, v6
	s_waitcnt lgkmcnt(1)
	ds_store_b64 v4, v[1:2] offset:8
.LBB415_15:
	s_or_b32 exec_lo, exec_lo, s2
	s_delay_alu instid0(SALU_CYCLE_1)
	s_mov_b32 s6, exec_lo
	s_waitcnt lgkmcnt(0)
	s_barrier
	buffer_gl0_inv
	v_cmpx_gt_u32_e32 32, v0
	s_cbranch_execz .LBB415_17
; %bb.16:
	v_and_b32_e32 v6, 7, v3
	s_delay_alu instid0(VALU_DEP_1)
	v_lshlrev_b32_e32 v1, 4, v6
	v_cmp_ne_u32_e32 vcc_lo, 7, v6
	ds_load_u8 v7, v1
	ds_load_b64 v[1:2], v1 offset:8
	v_add_co_ci_u32_e32 v4, vcc_lo, 0, v3, vcc_lo
	v_cmp_gt_u32_e32 vcc_lo, 6, v6
	s_delay_alu instid0(VALU_DEP_2)
	v_lshlrev_b32_e32 v5, 2, v4
	v_cndmask_b32_e64 v10, 0, 1, vcc_lo
	s_waitcnt lgkmcnt(1)
	v_and_b32_e32 v4, 0xff, v7
	v_and_b32_e32 v11, 1, v7
	ds_bpermute_b32 v8, v5, v4
	s_waitcnt lgkmcnt(1)
	ds_bpermute_b32 v4, v5, v1
	ds_bpermute_b32 v5, v5, v2
	v_cmp_eq_u32_e64 s3, 1, v11
	s_waitcnt lgkmcnt(2)
	v_and_b32_e32 v9, 1, v8
	s_waitcnt lgkmcnt(0)
	v_cmp_lt_i64_e64 s2, v[4:5], v[1:2]
	s_delay_alu instid0(VALU_DEP_2) | instskip(SKIP_2) | instid1(VALU_DEP_4)
	v_cmp_eq_u32_e32 vcc_lo, 1, v9
	v_lshlrev_b32_e32 v9, 1, v10
	v_cndmask_b32_e64 v7, v7, 1, vcc_lo
	s_and_b32 vcc_lo, vcc_lo, s2
	v_dual_cndmask_b32 v1, v1, v4 :: v_dual_cndmask_b32 v2, v2, v5
	s_delay_alu instid0(VALU_DEP_2) | instskip(SKIP_2) | instid1(VALU_DEP_4)
	v_cndmask_b32_e64 v7, v8, v7, s3
	v_add_lshl_u32 v8, v9, v3, 2
	v_cmp_gt_u32_e32 vcc_lo, 4, v6
	v_cndmask_b32_e64 v1, v4, v1, s3
	v_cndmask_b32_e64 v2, v5, v2, s3
	v_and_b32_e32 v9, 0xff, v7
	v_and_b32_e32 v10, 1, v7
	v_cndmask_b32_e64 v6, 0, 1, vcc_lo
	ds_bpermute_b32 v4, v8, v1
	ds_bpermute_b32 v5, v8, v2
	;; [unrolled: 1-line block ×3, first 2 shown]
	v_cmp_eq_u32_e64 s3, 1, v10
	s_waitcnt lgkmcnt(1)
	v_cmp_lt_i64_e64 s2, v[4:5], v[1:2]
	s_waitcnt lgkmcnt(0)
	v_and_b32_e32 v8, 1, v9
	s_delay_alu instid0(VALU_DEP_1) | instskip(SKIP_1) | instid1(VALU_DEP_4)
	v_cmp_eq_u32_e32 vcc_lo, 1, v8
	v_cndmask_b32_e64 v7, v7, 1, vcc_lo
	s_and_b32 vcc_lo, vcc_lo, s2
	v_dual_cndmask_b32 v1, v1, v4 :: v_dual_cndmask_b32 v2, v2, v5
	s_delay_alu instid0(VALU_DEP_2) | instskip(NEXT) | instid1(VALU_DEP_2)
	v_cndmask_b32_e64 v7, v9, v7, s3
	v_cndmask_b32_e64 v1, v4, v1, s3
	v_lshlrev_b32_e32 v6, 2, v6
	s_delay_alu instid0(VALU_DEP_4) | instskip(NEXT) | instid1(VALU_DEP_2)
	v_cndmask_b32_e64 v2, v5, v2, s3
	v_add_lshl_u32 v6, v6, v3, 2
	v_and_b32_e32 v3, 0xff, v7
	ds_bpermute_b32 v4, v6, v2
	ds_bpermute_b32 v5, v6, v3
	;; [unrolled: 1-line block ×3, first 2 shown]
	s_waitcnt lgkmcnt(1)
	v_and_b32_e32 v6, 1, v5
	s_waitcnt lgkmcnt(0)
	v_cmp_lt_i64_e32 vcc_lo, v[3:4], v[1:2]
	s_delay_alu instid0(VALU_DEP_2) | instskip(SKIP_1) | instid1(VALU_DEP_2)
	v_cmp_eq_u32_e64 s2, 1, v6
	v_and_b32_e32 v6, 1, v7
	v_cndmask_b32_e64 v7, v7, 1, s2
	s_and_b32 vcc_lo, s2, vcc_lo
	s_delay_alu instid0(VALU_DEP_2) | instskip(SKIP_1) | instid1(VALU_DEP_2)
	v_cmp_eq_u32_e64 s2, 1, v6
	v_dual_cndmask_b32 v1, v1, v3 :: v_dual_cndmask_b32 v2, v2, v4
	v_cndmask_b32_e64 v5, v5, v7, s2
	s_delay_alu instid0(VALU_DEP_2) | instskip(NEXT) | instid1(VALU_DEP_3)
	v_cndmask_b32_e64 v1, v3, v1, s2
	v_cndmask_b32_e64 v2, v4, v2, s2
	s_delay_alu instid0(VALU_DEP_3)
	v_and_b32_e32 v6, 0xff, v5
.LBB415_17:
	s_or_b32 exec_lo, exec_lo, s6
	s_load_b64 s[6:7], s[0:1], 0x38
	s_branch .LBB415_51
.LBB415_18:
                                        ; implicit-def: $vgpr1_vgpr2
                                        ; implicit-def: $vgpr6
	s_load_b64 s[6:7], s[0:1], 0x38
	s_cbranch_execz .LBB415_51
; %bb.19:
	v_mov_b32_e32 v5, 0
	v_dual_mov_b32 v6, 0 :: v_dual_mov_b32 v11, 0
	s_delay_alu instid0(VALU_DEP_2) | instskip(SKIP_2) | instid1(VALU_DEP_3)
	v_mov_b32_e32 v1, v5
	v_mov_b32_e32 v9, 0
	s_sub_i32 s18, s8, s18
	v_mov_b32_e32 v2, v6
	s_mov_b32 s2, exec_lo
	v_cmpx_gt_u32_e64 s18, v0
; %bb.20:
	v_lshlrev_b32_e32 v1, 4, v0
	s_clause 0x1
	global_load_u8 v9, v1, s[4:5]
	global_load_b64 v[1:2], v1, s[4:5] offset:8
; %bb.21:
	s_or_b32 exec_lo, exec_lo, s2
	v_or_b32_e32 v3, 0x100, v0
	s_delay_alu instid0(VALU_DEP_1) | instskip(NEXT) | instid1(VALU_DEP_1)
	v_cmp_gt_u32_e64 s3, s18, v3
	s_and_saveexec_b32 s2, s3
; %bb.22:
	v_lshlrev_b32_e32 v3, 4, v3
	s_clause 0x1
	global_load_u8 v11, v3, s[4:5]
	global_load_b64 v[5:6], v3, s[4:5] offset:8
; %bb.23:
	s_or_b32 exec_lo, exec_lo, s2
	v_dual_mov_b32 v3, 0 :: v_dual_mov_b32 v10, 0
	v_mov_b32_e32 v4, 0
	v_or_b32_e32 v13, 0x200, v0
	v_mov_b32_e32 v12, 0
	s_delay_alu instid0(VALU_DEP_3) | instskip(NEXT) | instid1(VALU_DEP_3)
	v_dual_mov_b32 v8, v4 :: v_dual_mov_b32 v7, v3
	v_cmp_gt_u32_e64 s2, s18, v13
	s_delay_alu instid0(VALU_DEP_1)
	s_and_saveexec_b32 s19, s2
; %bb.24:
	v_lshlrev_b32_e32 v7, 4, v13
	s_clause 0x1
	global_load_u8 v12, v7, s[4:5]
	global_load_b64 v[7:8], v7, s[4:5] offset:8
; %bb.25:
	s_or_b32 exec_lo, exec_lo, s19
	v_or_b32_e32 v13, 0x300, v0
	s_delay_alu instid0(VALU_DEP_1)
	v_cmp_gt_u32_e32 vcc_lo, s18, v13
	s_and_saveexec_b32 s19, vcc_lo
	s_cbranch_execnz .LBB415_54
; %bb.26:
	s_or_b32 exec_lo, exec_lo, s19
	s_and_saveexec_b32 s5, s3
	s_cbranch_execnz .LBB415_55
.LBB415_27:
	s_or_b32 exec_lo, exec_lo, s5
	s_and_saveexec_b32 s4, s2
	s_cbranch_execnz .LBB415_56
.LBB415_28:
	s_or_b32 exec_lo, exec_lo, s4
	s_and_saveexec_b32 s3, vcc_lo
	s_cbranch_execz .LBB415_30
.LBB415_29:
	s_waitcnt vmcnt(0)
	v_and_b32_e32 v5, 1, v10
	v_cmp_lt_i64_e32 vcc_lo, v[3:4], v[1:2]
	s_delay_alu instid0(VALU_DEP_2) | instskip(NEXT) | instid1(VALU_DEP_1)
	v_cmp_eq_u32_e64 s2, 1, v5
	s_and_b32 vcc_lo, s2, vcc_lo
	v_cndmask_b32_e64 v6, v9, 1, s2
	v_dual_cndmask_b32 v2, v2, v4 :: v_dual_and_b32 v5, 1, v9
	v_cndmask_b32_e32 v1, v1, v3, vcc_lo
	s_delay_alu instid0(VALU_DEP_2) | instskip(NEXT) | instid1(VALU_DEP_3)
	v_cmp_eq_u32_e32 vcc_lo, 1, v5
	v_cndmask_b32_e32 v2, v4, v2, vcc_lo
	v_cndmask_b32_e32 v9, v10, v6, vcc_lo
	s_delay_alu instid0(VALU_DEP_4)
	v_cndmask_b32_e32 v1, v3, v1, vcc_lo
.LBB415_30:
	s_or_b32 exec_lo, exec_lo, s3
	s_waitcnt vmcnt(0)
	v_mbcnt_lo_u32_b32 v5, -1, 0
	v_and_b32_e32 v7, 0xe0, v0
	s_min_u32 s3, s18, 0x100
	v_and_b32_e32 v6, 0xff, v9
	s_delay_alu instid0(VALU_DEP_3) | instskip(NEXT) | instid1(VALU_DEP_3)
	v_cmp_ne_u32_e32 vcc_lo, 31, v5
	v_sub_nc_u32_e64 v8, s3, v7 clamp
	v_add_nc_u32_e32 v7, 1, v5
	v_add_co_ci_u32_e32 v3, vcc_lo, 0, v5, vcc_lo
	s_delay_alu instid0(VALU_DEP_2) | instskip(NEXT) | instid1(VALU_DEP_2)
	v_cmp_lt_u32_e32 vcc_lo, v7, v8
	v_dual_mov_b32 v7, v6 :: v_dual_lshlrev_b32 v4, 2, v3
	ds_bpermute_b32 v10, v4, v6
	ds_bpermute_b32 v3, v4, v1
	;; [unrolled: 1-line block ×3, first 2 shown]
	s_and_saveexec_b32 s2, vcc_lo
	s_delay_alu instid0(SALU_CYCLE_1)
	s_xor_b32 s4, exec_lo, s2
	s_cbranch_execz .LBB415_32
; %bb.31:
	s_waitcnt lgkmcnt(0)
	v_and_b32_e32 v7, 1, v10
	v_cmp_lt_i64_e32 vcc_lo, v[3:4], v[1:2]
	s_delay_alu instid0(VALU_DEP_2) | instskip(SKIP_1) | instid1(VALU_DEP_2)
	v_cmp_eq_u32_e64 s2, 1, v7
	v_and_b32_e32 v7, 1, v9
	v_cndmask_b32_e64 v6, v6, 1, s2
	s_and_b32 vcc_lo, s2, vcc_lo
	s_delay_alu instid0(VALU_DEP_2) | instskip(SKIP_1) | instid1(VALU_DEP_2)
	v_cmp_eq_u32_e64 s2, 1, v7
	v_dual_cndmask_b32 v2, v2, v4 :: v_dual_cndmask_b32 v1, v1, v3
	v_cndmask_b32_e64 v7, v10, v6, s2
	s_delay_alu instid0(VALU_DEP_2) | instskip(NEXT) | instid1(VALU_DEP_3)
	v_cndmask_b32_e64 v2, v4, v2, s2
	v_cndmask_b32_e64 v1, v3, v1, s2
	s_delay_alu instid0(VALU_DEP_3)
	v_and_b32_e32 v6, 0xff, v7
.LBB415_32:
	s_or_b32 exec_lo, exec_lo, s4
	v_cmp_gt_u32_e32 vcc_lo, 30, v5
	s_waitcnt lgkmcnt(0)
	v_add_nc_u32_e32 v10, 2, v5
	s_mov_b32 s4, exec_lo
	v_cndmask_b32_e64 v3, 0, 1, vcc_lo
	s_delay_alu instid0(VALU_DEP_1) | instskip(NEXT) | instid1(VALU_DEP_1)
	v_lshlrev_b32_e32 v3, 1, v3
	v_add_lshl_u32 v4, v3, v5, 2
	ds_bpermute_b32 v9, v4, v6
	ds_bpermute_b32 v3, v4, v1
	ds_bpermute_b32 v4, v4, v2
	v_cmpx_lt_u32_e64 v10, v8
	s_cbranch_execz .LBB415_34
; %bb.33:
	s_waitcnt lgkmcnt(2)
	v_and_b32_e32 v6, 1, v9
	s_waitcnt lgkmcnt(0)
	v_cmp_lt_i64_e32 vcc_lo, v[3:4], v[1:2]
	s_delay_alu instid0(VALU_DEP_2) | instskip(SKIP_1) | instid1(VALU_DEP_2)
	v_cmp_eq_u32_e64 s2, 1, v6
	v_and_b32_e32 v6, 1, v7
	v_cndmask_b32_e64 v7, v7, 1, s2
	s_and_b32 vcc_lo, s2, vcc_lo
	s_delay_alu instid0(VALU_DEP_2) | instskip(SKIP_1) | instid1(VALU_DEP_2)
	v_cmp_eq_u32_e64 s2, 1, v6
	v_dual_cndmask_b32 v1, v1, v3 :: v_dual_cndmask_b32 v2, v2, v4
	v_cndmask_b32_e64 v7, v9, v7, s2
	s_delay_alu instid0(VALU_DEP_2) | instskip(NEXT) | instid1(VALU_DEP_3)
	v_cndmask_b32_e64 v1, v3, v1, s2
	v_cndmask_b32_e64 v2, v4, v2, s2
	s_delay_alu instid0(VALU_DEP_3)
	v_and_b32_e32 v6, 0xff, v7
.LBB415_34:
	s_or_b32 exec_lo, exec_lo, s4
	v_cmp_gt_u32_e32 vcc_lo, 28, v5
	v_add_nc_u32_e32 v10, 4, v5
	s_mov_b32 s4, exec_lo
	s_waitcnt lgkmcnt(1)
	v_cndmask_b32_e64 v3, 0, 1, vcc_lo
	s_delay_alu instid0(VALU_DEP_1) | instskip(SKIP_1) | instid1(VALU_DEP_1)
	v_lshlrev_b32_e32 v3, 2, v3
	s_waitcnt lgkmcnt(0)
	v_add_lshl_u32 v4, v3, v5, 2
	ds_bpermute_b32 v9, v4, v6
	ds_bpermute_b32 v3, v4, v1
	ds_bpermute_b32 v4, v4, v2
	v_cmpx_lt_u32_e64 v10, v8
	s_cbranch_execz .LBB415_36
; %bb.35:
	s_waitcnt lgkmcnt(2)
	v_and_b32_e32 v6, 1, v9
	s_waitcnt lgkmcnt(0)
	v_cmp_lt_i64_e32 vcc_lo, v[3:4], v[1:2]
	s_delay_alu instid0(VALU_DEP_2) | instskip(SKIP_1) | instid1(VALU_DEP_2)
	v_cmp_eq_u32_e64 s2, 1, v6
	v_and_b32_e32 v6, 1, v7
	v_cndmask_b32_e64 v7, v7, 1, s2
	s_and_b32 vcc_lo, s2, vcc_lo
	s_delay_alu instid0(VALU_DEP_2) | instskip(SKIP_1) | instid1(VALU_DEP_2)
	v_cmp_eq_u32_e64 s2, 1, v6
	v_dual_cndmask_b32 v1, v1, v3 :: v_dual_cndmask_b32 v2, v2, v4
	v_cndmask_b32_e64 v7, v9, v7, s2
	s_delay_alu instid0(VALU_DEP_2) | instskip(NEXT) | instid1(VALU_DEP_3)
	v_cndmask_b32_e64 v1, v3, v1, s2
	v_cndmask_b32_e64 v2, v4, v2, s2
	s_delay_alu instid0(VALU_DEP_3)
	v_and_b32_e32 v6, 0xff, v7
.LBB415_36:
	s_or_b32 exec_lo, exec_lo, s4
	v_cmp_gt_u32_e32 vcc_lo, 24, v5
	v_add_nc_u32_e32 v10, 8, v5
	s_mov_b32 s4, exec_lo
	s_waitcnt lgkmcnt(1)
	v_cndmask_b32_e64 v3, 0, 1, vcc_lo
	s_delay_alu instid0(VALU_DEP_1) | instskip(SKIP_1) | instid1(VALU_DEP_1)
	v_lshlrev_b32_e32 v3, 3, v3
	s_waitcnt lgkmcnt(0)
	;; [unrolled: 35-line block ×3, first 2 shown]
	v_add_lshl_u32 v4, v3, v5, 2
	ds_bpermute_b32 v9, v4, v6
	ds_bpermute_b32 v3, v4, v1
	;; [unrolled: 1-line block ×3, first 2 shown]
	v_cmpx_lt_u32_e64 v10, v8
	s_cbranch_execz .LBB415_40
; %bb.39:
	s_waitcnt lgkmcnt(2)
	v_and_b32_e32 v6, 1, v9
	s_waitcnt lgkmcnt(0)
	v_cmp_lt_i64_e32 vcc_lo, v[3:4], v[1:2]
	s_delay_alu instid0(VALU_DEP_2) | instskip(SKIP_1) | instid1(VALU_DEP_2)
	v_cmp_eq_u32_e64 s2, 1, v6
	v_and_b32_e32 v6, 1, v7
	v_cndmask_b32_e64 v7, v7, 1, s2
	s_and_b32 vcc_lo, s2, vcc_lo
	s_delay_alu instid0(VALU_DEP_2) | instskip(SKIP_1) | instid1(VALU_DEP_2)
	v_cmp_eq_u32_e64 s2, 1, v6
	v_dual_cndmask_b32 v1, v1, v3 :: v_dual_cndmask_b32 v2, v2, v4
	v_cndmask_b32_e64 v7, v9, v7, s2
	s_delay_alu instid0(VALU_DEP_2) | instskip(NEXT) | instid1(VALU_DEP_3)
	v_cndmask_b32_e64 v1, v3, v1, s2
	v_cndmask_b32_e64 v2, v4, v2, s2
	s_delay_alu instid0(VALU_DEP_3)
	v_and_b32_e32 v6, 0xff, v7
.LBB415_40:
	s_or_b32 exec_lo, exec_lo, s4
	s_delay_alu instid0(SALU_CYCLE_1)
	s_mov_b32 s2, exec_lo
	v_cmpx_eq_u32_e32 0, v5
	s_cbranch_execz .LBB415_42
; %bb.41:
	s_waitcnt lgkmcnt(1)
	v_lshrrev_b32_e32 v3, 1, v0
	s_delay_alu instid0(VALU_DEP_1)
	v_and_b32_e32 v3, 0x70, v3
	ds_store_b8 v3, v7 offset:128
	ds_store_b64 v3, v[1:2] offset:136
.LBB415_42:
	s_or_b32 exec_lo, exec_lo, s2
	s_delay_alu instid0(SALU_CYCLE_1)
	s_mov_b32 s4, exec_lo
	s_waitcnt lgkmcnt(0)
	s_barrier
	buffer_gl0_inv
	v_cmpx_gt_u32_e32 8, v0
	s_cbranch_execz .LBB415_50
; %bb.43:
	v_lshlrev_b32_e32 v1, 4, v5
	v_and_b32_e32 v8, 7, v5
	s_add_i32 s3, s3, 31
	s_mov_b32 s5, exec_lo
	s_lshr_b32 s3, s3, 5
	ds_load_u8 v7, v1 offset:128
	ds_load_b64 v[1:2], v1 offset:136
	v_cmp_ne_u32_e32 vcc_lo, 7, v8
	v_add_nc_u32_e32 v10, 1, v8
	v_add_co_ci_u32_e32 v3, vcc_lo, 0, v5, vcc_lo
	s_delay_alu instid0(VALU_DEP_1)
	v_lshlrev_b32_e32 v4, 2, v3
	s_waitcnt lgkmcnt(1)
	v_and_b32_e32 v6, 0xff, v7
	s_waitcnt lgkmcnt(0)
	ds_bpermute_b32 v3, v4, v1
	ds_bpermute_b32 v9, v4, v6
	;; [unrolled: 1-line block ×3, first 2 shown]
	v_cmpx_gt_u32_e64 s3, v10
	s_cbranch_execz .LBB415_45
; %bb.44:
	s_waitcnt lgkmcnt(1)
	v_and_b32_e32 v6, 1, v9
	s_waitcnt lgkmcnt(0)
	v_cmp_lt_i64_e32 vcc_lo, v[3:4], v[1:2]
	s_delay_alu instid0(VALU_DEP_2) | instskip(SKIP_1) | instid1(VALU_DEP_2)
	v_cmp_eq_u32_e64 s2, 1, v6
	v_and_b32_e32 v6, 1, v7
	v_cndmask_b32_e64 v7, v7, 1, s2
	s_and_b32 vcc_lo, s2, vcc_lo
	s_delay_alu instid0(VALU_DEP_2) | instskip(SKIP_1) | instid1(VALU_DEP_2)
	v_cmp_eq_u32_e64 s2, 1, v6
	v_dual_cndmask_b32 v1, v1, v3 :: v_dual_cndmask_b32 v2, v2, v4
	v_cndmask_b32_e64 v7, v9, v7, s2
	s_delay_alu instid0(VALU_DEP_2) | instskip(NEXT) | instid1(VALU_DEP_3)
	v_cndmask_b32_e64 v1, v3, v1, s2
	v_cndmask_b32_e64 v2, v4, v2, s2
	s_delay_alu instid0(VALU_DEP_3)
	v_and_b32_e32 v6, 0xff, v7
.LBB415_45:
	s_or_b32 exec_lo, exec_lo, s5
	v_cmp_gt_u32_e32 vcc_lo, 6, v8
	v_add_nc_u32_e32 v10, 2, v8
	s_mov_b32 s5, exec_lo
	s_waitcnt lgkmcnt(2)
	v_cndmask_b32_e64 v3, 0, 1, vcc_lo
	s_delay_alu instid0(VALU_DEP_1) | instskip(SKIP_1) | instid1(VALU_DEP_1)
	v_lshlrev_b32_e32 v3, 1, v3
	s_waitcnt lgkmcnt(0)
	v_add_lshl_u32 v4, v3, v5, 2
	ds_bpermute_b32 v9, v4, v6
	ds_bpermute_b32 v3, v4, v1
	;; [unrolled: 1-line block ×3, first 2 shown]
	v_cmpx_gt_u32_e64 s3, v10
	s_cbranch_execz .LBB415_47
; %bb.46:
	s_waitcnt lgkmcnt(2)
	v_and_b32_e32 v6, 1, v9
	s_waitcnt lgkmcnt(0)
	v_cmp_lt_i64_e32 vcc_lo, v[3:4], v[1:2]
	s_delay_alu instid0(VALU_DEP_2) | instskip(SKIP_1) | instid1(VALU_DEP_2)
	v_cmp_eq_u32_e64 s2, 1, v6
	v_and_b32_e32 v6, 1, v7
	v_cndmask_b32_e64 v7, v7, 1, s2
	s_and_b32 vcc_lo, s2, vcc_lo
	s_delay_alu instid0(VALU_DEP_2) | instskip(SKIP_1) | instid1(VALU_DEP_2)
	v_cmp_eq_u32_e64 s2, 1, v6
	v_dual_cndmask_b32 v1, v1, v3 :: v_dual_cndmask_b32 v2, v2, v4
	v_cndmask_b32_e64 v7, v9, v7, s2
	s_delay_alu instid0(VALU_DEP_2) | instskip(NEXT) | instid1(VALU_DEP_3)
	v_cndmask_b32_e64 v1, v3, v1, s2
	v_cndmask_b32_e64 v2, v4, v2, s2
	s_delay_alu instid0(VALU_DEP_3)
	v_and_b32_e32 v6, 0xff, v7
.LBB415_47:
	s_or_b32 exec_lo, exec_lo, s5
	v_cmp_gt_u32_e32 vcc_lo, 4, v8
	v_add_nc_u32_e32 v8, 4, v8
	s_waitcnt lgkmcnt(1)
	v_cndmask_b32_e64 v3, 0, 1, vcc_lo
	s_delay_alu instid0(VALU_DEP_2) | instskip(NEXT) | instid1(VALU_DEP_2)
	v_cmp_gt_u32_e32 vcc_lo, s3, v8
	v_lshlrev_b32_e32 v3, 2, v3
	s_waitcnt lgkmcnt(0)
	s_delay_alu instid0(VALU_DEP_1)
	v_add_lshl_u32 v4, v3, v5, 2
	ds_bpermute_b32 v5, v4, v6
	ds_bpermute_b32 v3, v4, v1
	;; [unrolled: 1-line block ×3, first 2 shown]
	s_and_saveexec_b32 s3, vcc_lo
	s_cbranch_execz .LBB415_49
; %bb.48:
	s_waitcnt lgkmcnt(2)
	v_and_b32_e32 v6, 1, v5
	s_waitcnt lgkmcnt(0)
	v_cmp_lt_i64_e32 vcc_lo, v[3:4], v[1:2]
	s_delay_alu instid0(VALU_DEP_2) | instskip(SKIP_1) | instid1(VALU_DEP_2)
	v_cmp_eq_u32_e64 s2, 1, v6
	v_and_b32_e32 v6, 1, v7
	v_cndmask_b32_e64 v7, v7, 1, s2
	s_and_b32 vcc_lo, s2, vcc_lo
	s_delay_alu instid0(VALU_DEP_2) | instskip(SKIP_1) | instid1(VALU_DEP_2)
	v_cmp_eq_u32_e64 s2, 1, v6
	v_dual_cndmask_b32 v1, v1, v3 :: v_dual_cndmask_b32 v2, v2, v4
	v_cndmask_b32_e64 v5, v5, v7, s2
	s_delay_alu instid0(VALU_DEP_2) | instskip(NEXT) | instid1(VALU_DEP_3)
	v_cndmask_b32_e64 v1, v3, v1, s2
	v_cndmask_b32_e64 v2, v4, v2, s2
	s_delay_alu instid0(VALU_DEP_3)
	v_and_b32_e32 v6, 0xff, v5
.LBB415_49:
	s_or_b32 exec_lo, exec_lo, s3
.LBB415_50:
	s_delay_alu instid0(SALU_CYCLE_1)
	s_or_b32 exec_lo, exec_lo, s4
.LBB415_51:
	s_load_b32 s0, s[0:1], 0x30
	s_mov_b32 s1, exec_lo
	v_cmpx_eq_u32_e32 0, v0
	s_cbranch_execz .LBB415_53
; %bb.52:
	s_mul_i32 s1, s14, s13
	s_mul_hi_u32 s2, s14, s12
	s_mul_i32 s3, s15, s12
	s_add_i32 s1, s2, s1
	s_mul_i32 s2, s14, s12
	s_add_i32 s3, s1, s3
	v_mov_b32_e32 v0, 0
	s_lshl_b64 s[2:3], s[2:3], 4
	s_delay_alu instid0(SALU_CYCLE_1)
	s_add_u32 s1, s10, s2
	s_addc_u32 s4, s11, s3
	s_cmp_eq_u64 s[8:9], 0
	s_cselect_b32 s5, -1, 0
	s_lshl_b64 s[2:3], s[16:17], 4
	s_waitcnt lgkmcnt(0)
	v_cndmask_b32_e64 v3, v6, s0, s5
	v_cndmask_b32_e64 v2, v2, s7, s5
	;; [unrolled: 1-line block ×3, first 2 shown]
	s_add_u32 s0, s1, s2
	s_addc_u32 s1, s4, s3
	s_clause 0x1
	global_store_b8 v0, v3, s[0:1]
	global_store_b64 v0, v[1:2], s[0:1] offset:8
.LBB415_53:
	s_nop 0
	s_sendmsg sendmsg(MSG_DEALLOC_VGPRS)
	s_endpgm
.LBB415_54:
	v_lshlrev_b32_e32 v3, 4, v13
	s_clause 0x1
	global_load_u8 v10, v3, s[4:5]
	global_load_b64 v[3:4], v3, s[4:5] offset:8
	s_or_b32 exec_lo, exec_lo, s19
	s_and_saveexec_b32 s5, s3
	s_cbranch_execz .LBB415_27
.LBB415_55:
	s_waitcnt vmcnt(1)
	v_and_b32_e32 v13, 1, v11
	s_waitcnt vmcnt(0)
	v_cmp_lt_i64_e64 s3, v[5:6], v[1:2]
	s_delay_alu instid0(VALU_DEP_2) | instskip(SKIP_1) | instid1(VALU_DEP_2)
	v_cmp_eq_u32_e64 s4, 1, v13
	v_and_b32_e32 v13, 1, v9
	s_and_b32 s3, s4, s3
	v_cndmask_b32_e64 v9, v9, 1, s4
	v_cndmask_b32_e64 v1, v1, v5, s3
	;; [unrolled: 1-line block ×3, first 2 shown]
	v_cmp_eq_u32_e64 s3, 1, v13
	s_delay_alu instid0(VALU_DEP_1) | instskip(NEXT) | instid1(VALU_DEP_3)
	v_cndmask_b32_e64 v9, v11, v9, s3
	v_cndmask_b32_e64 v2, v6, v2, s3
	;; [unrolled: 1-line block ×3, first 2 shown]
	s_or_b32 exec_lo, exec_lo, s5
	s_and_saveexec_b32 s4, s2
	s_cbranch_execz .LBB415_28
.LBB415_56:
	s_waitcnt vmcnt(0)
	v_and_b32_e32 v5, 1, v12
	v_cmp_lt_i64_e64 s2, v[7:8], v[1:2]
	s_delay_alu instid0(VALU_DEP_2) | instskip(SKIP_1) | instid1(VALU_DEP_2)
	v_cmp_eq_u32_e64 s3, 1, v5
	v_and_b32_e32 v5, 1, v9
	s_and_b32 s2, s3, s2
	v_cndmask_b32_e64 v6, v9, 1, s3
	v_cndmask_b32_e64 v1, v1, v7, s2
	;; [unrolled: 1-line block ×3, first 2 shown]
	v_cmp_eq_u32_e64 s2, 1, v5
	s_delay_alu instid0(VALU_DEP_1) | instskip(NEXT) | instid1(VALU_DEP_3)
	v_cndmask_b32_e64 v9, v12, v6, s2
	v_cndmask_b32_e64 v2, v8, v2, s2
	;; [unrolled: 1-line block ×3, first 2 shown]
	s_or_b32 exec_lo, exec_lo, s4
	s_and_saveexec_b32 s3, vcc_lo
	s_cbranch_execnz .LBB415_29
	s_branch .LBB415_30
	.section	.rodata,"a",@progbits
	.p2align	6, 0x0
	.amdhsa_kernel _ZN7rocprim17ROCPRIM_400000_NS6detail17trampoline_kernelINS0_14default_configENS1_22reduce_config_selectorIN6thrust23THRUST_200600_302600_NS5tupleIblNS6_9null_typeES8_S8_S8_S8_S8_S8_S8_EEEEZNS1_11reduce_implILb1ES3_PS9_SC_S9_NS6_11hip_rocprim9__find_if7functorIS9_EEEE10hipError_tPvRmT1_T2_T3_mT4_P12ihipStream_tbEUlT_E0_NS1_11comp_targetILNS1_3genE9ELNS1_11target_archE1100ELNS1_3gpuE3ELNS1_3repE0EEENS1_30default_config_static_selectorELNS0_4arch9wavefront6targetE0EEEvSK_
		.amdhsa_group_segment_fixed_size 256
		.amdhsa_private_segment_fixed_size 0
		.amdhsa_kernarg_size 72
		.amdhsa_user_sgpr_count 15
		.amdhsa_user_sgpr_dispatch_ptr 0
		.amdhsa_user_sgpr_queue_ptr 0
		.amdhsa_user_sgpr_kernarg_segment_ptr 1
		.amdhsa_user_sgpr_dispatch_id 0
		.amdhsa_user_sgpr_private_segment_size 0
		.amdhsa_wavefront_size32 1
		.amdhsa_uses_dynamic_stack 0
		.amdhsa_enable_private_segment 0
		.amdhsa_system_sgpr_workgroup_id_x 1
		.amdhsa_system_sgpr_workgroup_id_y 0
		.amdhsa_system_sgpr_workgroup_id_z 0
		.amdhsa_system_sgpr_workgroup_info 0
		.amdhsa_system_vgpr_workitem_id 0
		.amdhsa_next_free_vgpr 16
		.amdhsa_next_free_sgpr 20
		.amdhsa_reserve_vcc 1
		.amdhsa_float_round_mode_32 0
		.amdhsa_float_round_mode_16_64 0
		.amdhsa_float_denorm_mode_32 3
		.amdhsa_float_denorm_mode_16_64 3
		.amdhsa_dx10_clamp 1
		.amdhsa_ieee_mode 1
		.amdhsa_fp16_overflow 0
		.amdhsa_workgroup_processor_mode 1
		.amdhsa_memory_ordered 1
		.amdhsa_forward_progress 0
		.amdhsa_shared_vgpr_count 0
		.amdhsa_exception_fp_ieee_invalid_op 0
		.amdhsa_exception_fp_denorm_src 0
		.amdhsa_exception_fp_ieee_div_zero 0
		.amdhsa_exception_fp_ieee_overflow 0
		.amdhsa_exception_fp_ieee_underflow 0
		.amdhsa_exception_fp_ieee_inexact 0
		.amdhsa_exception_int_div_zero 0
	.end_amdhsa_kernel
	.section	.text._ZN7rocprim17ROCPRIM_400000_NS6detail17trampoline_kernelINS0_14default_configENS1_22reduce_config_selectorIN6thrust23THRUST_200600_302600_NS5tupleIblNS6_9null_typeES8_S8_S8_S8_S8_S8_S8_EEEEZNS1_11reduce_implILb1ES3_PS9_SC_S9_NS6_11hip_rocprim9__find_if7functorIS9_EEEE10hipError_tPvRmT1_T2_T3_mT4_P12ihipStream_tbEUlT_E0_NS1_11comp_targetILNS1_3genE9ELNS1_11target_archE1100ELNS1_3gpuE3ELNS1_3repE0EEENS1_30default_config_static_selectorELNS0_4arch9wavefront6targetE0EEEvSK_,"axG",@progbits,_ZN7rocprim17ROCPRIM_400000_NS6detail17trampoline_kernelINS0_14default_configENS1_22reduce_config_selectorIN6thrust23THRUST_200600_302600_NS5tupleIblNS6_9null_typeES8_S8_S8_S8_S8_S8_S8_EEEEZNS1_11reduce_implILb1ES3_PS9_SC_S9_NS6_11hip_rocprim9__find_if7functorIS9_EEEE10hipError_tPvRmT1_T2_T3_mT4_P12ihipStream_tbEUlT_E0_NS1_11comp_targetILNS1_3genE9ELNS1_11target_archE1100ELNS1_3gpuE3ELNS1_3repE0EEENS1_30default_config_static_selectorELNS0_4arch9wavefront6targetE0EEEvSK_,comdat
.Lfunc_end415:
	.size	_ZN7rocprim17ROCPRIM_400000_NS6detail17trampoline_kernelINS0_14default_configENS1_22reduce_config_selectorIN6thrust23THRUST_200600_302600_NS5tupleIblNS6_9null_typeES8_S8_S8_S8_S8_S8_S8_EEEEZNS1_11reduce_implILb1ES3_PS9_SC_S9_NS6_11hip_rocprim9__find_if7functorIS9_EEEE10hipError_tPvRmT1_T2_T3_mT4_P12ihipStream_tbEUlT_E0_NS1_11comp_targetILNS1_3genE9ELNS1_11target_archE1100ELNS1_3gpuE3ELNS1_3repE0EEENS1_30default_config_static_selectorELNS0_4arch9wavefront6targetE0EEEvSK_, .Lfunc_end415-_ZN7rocprim17ROCPRIM_400000_NS6detail17trampoline_kernelINS0_14default_configENS1_22reduce_config_selectorIN6thrust23THRUST_200600_302600_NS5tupleIblNS6_9null_typeES8_S8_S8_S8_S8_S8_S8_EEEEZNS1_11reduce_implILb1ES3_PS9_SC_S9_NS6_11hip_rocprim9__find_if7functorIS9_EEEE10hipError_tPvRmT1_T2_T3_mT4_P12ihipStream_tbEUlT_E0_NS1_11comp_targetILNS1_3genE9ELNS1_11target_archE1100ELNS1_3gpuE3ELNS1_3repE0EEENS1_30default_config_static_selectorELNS0_4arch9wavefront6targetE0EEEvSK_
                                        ; -- End function
	.section	.AMDGPU.csdata,"",@progbits
; Kernel info:
; codeLenInByte = 4120
; NumSgprs: 22
; NumVgprs: 16
; ScratchSize: 0
; MemoryBound: 0
; FloatMode: 240
; IeeeMode: 1
; LDSByteSize: 256 bytes/workgroup (compile time only)
; SGPRBlocks: 2
; VGPRBlocks: 1
; NumSGPRsForWavesPerEU: 22
; NumVGPRsForWavesPerEU: 16
; Occupancy: 16
; WaveLimiterHint : 1
; COMPUTE_PGM_RSRC2:SCRATCH_EN: 0
; COMPUTE_PGM_RSRC2:USER_SGPR: 15
; COMPUTE_PGM_RSRC2:TRAP_HANDLER: 0
; COMPUTE_PGM_RSRC2:TGID_X_EN: 1
; COMPUTE_PGM_RSRC2:TGID_Y_EN: 0
; COMPUTE_PGM_RSRC2:TGID_Z_EN: 0
; COMPUTE_PGM_RSRC2:TIDIG_COMP_CNT: 0
	.section	.text._ZN7rocprim17ROCPRIM_400000_NS6detail17trampoline_kernelINS0_14default_configENS1_22reduce_config_selectorIN6thrust23THRUST_200600_302600_NS5tupleIblNS6_9null_typeES8_S8_S8_S8_S8_S8_S8_EEEEZNS1_11reduce_implILb1ES3_PS9_SC_S9_NS6_11hip_rocprim9__find_if7functorIS9_EEEE10hipError_tPvRmT1_T2_T3_mT4_P12ihipStream_tbEUlT_E0_NS1_11comp_targetILNS1_3genE8ELNS1_11target_archE1030ELNS1_3gpuE2ELNS1_3repE0EEENS1_30default_config_static_selectorELNS0_4arch9wavefront6targetE0EEEvSK_,"axG",@progbits,_ZN7rocprim17ROCPRIM_400000_NS6detail17trampoline_kernelINS0_14default_configENS1_22reduce_config_selectorIN6thrust23THRUST_200600_302600_NS5tupleIblNS6_9null_typeES8_S8_S8_S8_S8_S8_S8_EEEEZNS1_11reduce_implILb1ES3_PS9_SC_S9_NS6_11hip_rocprim9__find_if7functorIS9_EEEE10hipError_tPvRmT1_T2_T3_mT4_P12ihipStream_tbEUlT_E0_NS1_11comp_targetILNS1_3genE8ELNS1_11target_archE1030ELNS1_3gpuE2ELNS1_3repE0EEENS1_30default_config_static_selectorELNS0_4arch9wavefront6targetE0EEEvSK_,comdat
	.protected	_ZN7rocprim17ROCPRIM_400000_NS6detail17trampoline_kernelINS0_14default_configENS1_22reduce_config_selectorIN6thrust23THRUST_200600_302600_NS5tupleIblNS6_9null_typeES8_S8_S8_S8_S8_S8_S8_EEEEZNS1_11reduce_implILb1ES3_PS9_SC_S9_NS6_11hip_rocprim9__find_if7functorIS9_EEEE10hipError_tPvRmT1_T2_T3_mT4_P12ihipStream_tbEUlT_E0_NS1_11comp_targetILNS1_3genE8ELNS1_11target_archE1030ELNS1_3gpuE2ELNS1_3repE0EEENS1_30default_config_static_selectorELNS0_4arch9wavefront6targetE0EEEvSK_ ; -- Begin function _ZN7rocprim17ROCPRIM_400000_NS6detail17trampoline_kernelINS0_14default_configENS1_22reduce_config_selectorIN6thrust23THRUST_200600_302600_NS5tupleIblNS6_9null_typeES8_S8_S8_S8_S8_S8_S8_EEEEZNS1_11reduce_implILb1ES3_PS9_SC_S9_NS6_11hip_rocprim9__find_if7functorIS9_EEEE10hipError_tPvRmT1_T2_T3_mT4_P12ihipStream_tbEUlT_E0_NS1_11comp_targetILNS1_3genE8ELNS1_11target_archE1030ELNS1_3gpuE2ELNS1_3repE0EEENS1_30default_config_static_selectorELNS0_4arch9wavefront6targetE0EEEvSK_
	.globl	_ZN7rocprim17ROCPRIM_400000_NS6detail17trampoline_kernelINS0_14default_configENS1_22reduce_config_selectorIN6thrust23THRUST_200600_302600_NS5tupleIblNS6_9null_typeES8_S8_S8_S8_S8_S8_S8_EEEEZNS1_11reduce_implILb1ES3_PS9_SC_S9_NS6_11hip_rocprim9__find_if7functorIS9_EEEE10hipError_tPvRmT1_T2_T3_mT4_P12ihipStream_tbEUlT_E0_NS1_11comp_targetILNS1_3genE8ELNS1_11target_archE1030ELNS1_3gpuE2ELNS1_3repE0EEENS1_30default_config_static_selectorELNS0_4arch9wavefront6targetE0EEEvSK_
	.p2align	8
	.type	_ZN7rocprim17ROCPRIM_400000_NS6detail17trampoline_kernelINS0_14default_configENS1_22reduce_config_selectorIN6thrust23THRUST_200600_302600_NS5tupleIblNS6_9null_typeES8_S8_S8_S8_S8_S8_S8_EEEEZNS1_11reduce_implILb1ES3_PS9_SC_S9_NS6_11hip_rocprim9__find_if7functorIS9_EEEE10hipError_tPvRmT1_T2_T3_mT4_P12ihipStream_tbEUlT_E0_NS1_11comp_targetILNS1_3genE8ELNS1_11target_archE1030ELNS1_3gpuE2ELNS1_3repE0EEENS1_30default_config_static_selectorELNS0_4arch9wavefront6targetE0EEEvSK_,@function
_ZN7rocprim17ROCPRIM_400000_NS6detail17trampoline_kernelINS0_14default_configENS1_22reduce_config_selectorIN6thrust23THRUST_200600_302600_NS5tupleIblNS6_9null_typeES8_S8_S8_S8_S8_S8_S8_EEEEZNS1_11reduce_implILb1ES3_PS9_SC_S9_NS6_11hip_rocprim9__find_if7functorIS9_EEEE10hipError_tPvRmT1_T2_T3_mT4_P12ihipStream_tbEUlT_E0_NS1_11comp_targetILNS1_3genE8ELNS1_11target_archE1030ELNS1_3gpuE2ELNS1_3repE0EEENS1_30default_config_static_selectorELNS0_4arch9wavefront6targetE0EEEvSK_: ; @_ZN7rocprim17ROCPRIM_400000_NS6detail17trampoline_kernelINS0_14default_configENS1_22reduce_config_selectorIN6thrust23THRUST_200600_302600_NS5tupleIblNS6_9null_typeES8_S8_S8_S8_S8_S8_S8_EEEEZNS1_11reduce_implILb1ES3_PS9_SC_S9_NS6_11hip_rocprim9__find_if7functorIS9_EEEE10hipError_tPvRmT1_T2_T3_mT4_P12ihipStream_tbEUlT_E0_NS1_11comp_targetILNS1_3genE8ELNS1_11target_archE1030ELNS1_3gpuE2ELNS1_3repE0EEENS1_30default_config_static_selectorELNS0_4arch9wavefront6targetE0EEEvSK_
; %bb.0:
	.section	.rodata,"a",@progbits
	.p2align	6, 0x0
	.amdhsa_kernel _ZN7rocprim17ROCPRIM_400000_NS6detail17trampoline_kernelINS0_14default_configENS1_22reduce_config_selectorIN6thrust23THRUST_200600_302600_NS5tupleIblNS6_9null_typeES8_S8_S8_S8_S8_S8_S8_EEEEZNS1_11reduce_implILb1ES3_PS9_SC_S9_NS6_11hip_rocprim9__find_if7functorIS9_EEEE10hipError_tPvRmT1_T2_T3_mT4_P12ihipStream_tbEUlT_E0_NS1_11comp_targetILNS1_3genE8ELNS1_11target_archE1030ELNS1_3gpuE2ELNS1_3repE0EEENS1_30default_config_static_selectorELNS0_4arch9wavefront6targetE0EEEvSK_
		.amdhsa_group_segment_fixed_size 0
		.amdhsa_private_segment_fixed_size 0
		.amdhsa_kernarg_size 72
		.amdhsa_user_sgpr_count 15
		.amdhsa_user_sgpr_dispatch_ptr 0
		.amdhsa_user_sgpr_queue_ptr 0
		.amdhsa_user_sgpr_kernarg_segment_ptr 1
		.amdhsa_user_sgpr_dispatch_id 0
		.amdhsa_user_sgpr_private_segment_size 0
		.amdhsa_wavefront_size32 1
		.amdhsa_uses_dynamic_stack 0
		.amdhsa_enable_private_segment 0
		.amdhsa_system_sgpr_workgroup_id_x 1
		.amdhsa_system_sgpr_workgroup_id_y 0
		.amdhsa_system_sgpr_workgroup_id_z 0
		.amdhsa_system_sgpr_workgroup_info 0
		.amdhsa_system_vgpr_workitem_id 0
		.amdhsa_next_free_vgpr 1
		.amdhsa_next_free_sgpr 1
		.amdhsa_reserve_vcc 0
		.amdhsa_float_round_mode_32 0
		.amdhsa_float_round_mode_16_64 0
		.amdhsa_float_denorm_mode_32 3
		.amdhsa_float_denorm_mode_16_64 3
		.amdhsa_dx10_clamp 1
		.amdhsa_ieee_mode 1
		.amdhsa_fp16_overflow 0
		.amdhsa_workgroup_processor_mode 1
		.amdhsa_memory_ordered 1
		.amdhsa_forward_progress 0
		.amdhsa_shared_vgpr_count 0
		.amdhsa_exception_fp_ieee_invalid_op 0
		.amdhsa_exception_fp_denorm_src 0
		.amdhsa_exception_fp_ieee_div_zero 0
		.amdhsa_exception_fp_ieee_overflow 0
		.amdhsa_exception_fp_ieee_underflow 0
		.amdhsa_exception_fp_ieee_inexact 0
		.amdhsa_exception_int_div_zero 0
	.end_amdhsa_kernel
	.section	.text._ZN7rocprim17ROCPRIM_400000_NS6detail17trampoline_kernelINS0_14default_configENS1_22reduce_config_selectorIN6thrust23THRUST_200600_302600_NS5tupleIblNS6_9null_typeES8_S8_S8_S8_S8_S8_S8_EEEEZNS1_11reduce_implILb1ES3_PS9_SC_S9_NS6_11hip_rocprim9__find_if7functorIS9_EEEE10hipError_tPvRmT1_T2_T3_mT4_P12ihipStream_tbEUlT_E0_NS1_11comp_targetILNS1_3genE8ELNS1_11target_archE1030ELNS1_3gpuE2ELNS1_3repE0EEENS1_30default_config_static_selectorELNS0_4arch9wavefront6targetE0EEEvSK_,"axG",@progbits,_ZN7rocprim17ROCPRIM_400000_NS6detail17trampoline_kernelINS0_14default_configENS1_22reduce_config_selectorIN6thrust23THRUST_200600_302600_NS5tupleIblNS6_9null_typeES8_S8_S8_S8_S8_S8_S8_EEEEZNS1_11reduce_implILb1ES3_PS9_SC_S9_NS6_11hip_rocprim9__find_if7functorIS9_EEEE10hipError_tPvRmT1_T2_T3_mT4_P12ihipStream_tbEUlT_E0_NS1_11comp_targetILNS1_3genE8ELNS1_11target_archE1030ELNS1_3gpuE2ELNS1_3repE0EEENS1_30default_config_static_selectorELNS0_4arch9wavefront6targetE0EEEvSK_,comdat
.Lfunc_end416:
	.size	_ZN7rocprim17ROCPRIM_400000_NS6detail17trampoline_kernelINS0_14default_configENS1_22reduce_config_selectorIN6thrust23THRUST_200600_302600_NS5tupleIblNS6_9null_typeES8_S8_S8_S8_S8_S8_S8_EEEEZNS1_11reduce_implILb1ES3_PS9_SC_S9_NS6_11hip_rocprim9__find_if7functorIS9_EEEE10hipError_tPvRmT1_T2_T3_mT4_P12ihipStream_tbEUlT_E0_NS1_11comp_targetILNS1_3genE8ELNS1_11target_archE1030ELNS1_3gpuE2ELNS1_3repE0EEENS1_30default_config_static_selectorELNS0_4arch9wavefront6targetE0EEEvSK_, .Lfunc_end416-_ZN7rocprim17ROCPRIM_400000_NS6detail17trampoline_kernelINS0_14default_configENS1_22reduce_config_selectorIN6thrust23THRUST_200600_302600_NS5tupleIblNS6_9null_typeES8_S8_S8_S8_S8_S8_S8_EEEEZNS1_11reduce_implILb1ES3_PS9_SC_S9_NS6_11hip_rocprim9__find_if7functorIS9_EEEE10hipError_tPvRmT1_T2_T3_mT4_P12ihipStream_tbEUlT_E0_NS1_11comp_targetILNS1_3genE8ELNS1_11target_archE1030ELNS1_3gpuE2ELNS1_3repE0EEENS1_30default_config_static_selectorELNS0_4arch9wavefront6targetE0EEEvSK_
                                        ; -- End function
	.section	.AMDGPU.csdata,"",@progbits
; Kernel info:
; codeLenInByte = 0
; NumSgprs: 0
; NumVgprs: 0
; ScratchSize: 0
; MemoryBound: 0
; FloatMode: 240
; IeeeMode: 1
; LDSByteSize: 0 bytes/workgroup (compile time only)
; SGPRBlocks: 0
; VGPRBlocks: 0
; NumSGPRsForWavesPerEU: 1
; NumVGPRsForWavesPerEU: 1
; Occupancy: 16
; WaveLimiterHint : 0
; COMPUTE_PGM_RSRC2:SCRATCH_EN: 0
; COMPUTE_PGM_RSRC2:USER_SGPR: 15
; COMPUTE_PGM_RSRC2:TRAP_HANDLER: 0
; COMPUTE_PGM_RSRC2:TGID_X_EN: 1
; COMPUTE_PGM_RSRC2:TGID_Y_EN: 0
; COMPUTE_PGM_RSRC2:TGID_Z_EN: 0
; COMPUTE_PGM_RSRC2:TIDIG_COMP_CNT: 0
	.section	.text._ZN7rocprim17ROCPRIM_400000_NS6detail17trampoline_kernelINS0_14default_configENS1_22reduce_config_selectorIN6thrust23THRUST_200600_302600_NS5tupleIblNS6_9null_typeES8_S8_S8_S8_S8_S8_S8_EEEEZNS1_11reduce_implILb1ES3_PS9_SC_S9_NS6_11hip_rocprim9__find_if7functorIS9_EEEE10hipError_tPvRmT1_T2_T3_mT4_P12ihipStream_tbEUlT_E1_NS1_11comp_targetILNS1_3genE0ELNS1_11target_archE4294967295ELNS1_3gpuE0ELNS1_3repE0EEENS1_30default_config_static_selectorELNS0_4arch9wavefront6targetE0EEEvSK_,"axG",@progbits,_ZN7rocprim17ROCPRIM_400000_NS6detail17trampoline_kernelINS0_14default_configENS1_22reduce_config_selectorIN6thrust23THRUST_200600_302600_NS5tupleIblNS6_9null_typeES8_S8_S8_S8_S8_S8_S8_EEEEZNS1_11reduce_implILb1ES3_PS9_SC_S9_NS6_11hip_rocprim9__find_if7functorIS9_EEEE10hipError_tPvRmT1_T2_T3_mT4_P12ihipStream_tbEUlT_E1_NS1_11comp_targetILNS1_3genE0ELNS1_11target_archE4294967295ELNS1_3gpuE0ELNS1_3repE0EEENS1_30default_config_static_selectorELNS0_4arch9wavefront6targetE0EEEvSK_,comdat
	.protected	_ZN7rocprim17ROCPRIM_400000_NS6detail17trampoline_kernelINS0_14default_configENS1_22reduce_config_selectorIN6thrust23THRUST_200600_302600_NS5tupleIblNS6_9null_typeES8_S8_S8_S8_S8_S8_S8_EEEEZNS1_11reduce_implILb1ES3_PS9_SC_S9_NS6_11hip_rocprim9__find_if7functorIS9_EEEE10hipError_tPvRmT1_T2_T3_mT4_P12ihipStream_tbEUlT_E1_NS1_11comp_targetILNS1_3genE0ELNS1_11target_archE4294967295ELNS1_3gpuE0ELNS1_3repE0EEENS1_30default_config_static_selectorELNS0_4arch9wavefront6targetE0EEEvSK_ ; -- Begin function _ZN7rocprim17ROCPRIM_400000_NS6detail17trampoline_kernelINS0_14default_configENS1_22reduce_config_selectorIN6thrust23THRUST_200600_302600_NS5tupleIblNS6_9null_typeES8_S8_S8_S8_S8_S8_S8_EEEEZNS1_11reduce_implILb1ES3_PS9_SC_S9_NS6_11hip_rocprim9__find_if7functorIS9_EEEE10hipError_tPvRmT1_T2_T3_mT4_P12ihipStream_tbEUlT_E1_NS1_11comp_targetILNS1_3genE0ELNS1_11target_archE4294967295ELNS1_3gpuE0ELNS1_3repE0EEENS1_30default_config_static_selectorELNS0_4arch9wavefront6targetE0EEEvSK_
	.globl	_ZN7rocprim17ROCPRIM_400000_NS6detail17trampoline_kernelINS0_14default_configENS1_22reduce_config_selectorIN6thrust23THRUST_200600_302600_NS5tupleIblNS6_9null_typeES8_S8_S8_S8_S8_S8_S8_EEEEZNS1_11reduce_implILb1ES3_PS9_SC_S9_NS6_11hip_rocprim9__find_if7functorIS9_EEEE10hipError_tPvRmT1_T2_T3_mT4_P12ihipStream_tbEUlT_E1_NS1_11comp_targetILNS1_3genE0ELNS1_11target_archE4294967295ELNS1_3gpuE0ELNS1_3repE0EEENS1_30default_config_static_selectorELNS0_4arch9wavefront6targetE0EEEvSK_
	.p2align	8
	.type	_ZN7rocprim17ROCPRIM_400000_NS6detail17trampoline_kernelINS0_14default_configENS1_22reduce_config_selectorIN6thrust23THRUST_200600_302600_NS5tupleIblNS6_9null_typeES8_S8_S8_S8_S8_S8_S8_EEEEZNS1_11reduce_implILb1ES3_PS9_SC_S9_NS6_11hip_rocprim9__find_if7functorIS9_EEEE10hipError_tPvRmT1_T2_T3_mT4_P12ihipStream_tbEUlT_E1_NS1_11comp_targetILNS1_3genE0ELNS1_11target_archE4294967295ELNS1_3gpuE0ELNS1_3repE0EEENS1_30default_config_static_selectorELNS0_4arch9wavefront6targetE0EEEvSK_,@function
_ZN7rocprim17ROCPRIM_400000_NS6detail17trampoline_kernelINS0_14default_configENS1_22reduce_config_selectorIN6thrust23THRUST_200600_302600_NS5tupleIblNS6_9null_typeES8_S8_S8_S8_S8_S8_S8_EEEEZNS1_11reduce_implILb1ES3_PS9_SC_S9_NS6_11hip_rocprim9__find_if7functorIS9_EEEE10hipError_tPvRmT1_T2_T3_mT4_P12ihipStream_tbEUlT_E1_NS1_11comp_targetILNS1_3genE0ELNS1_11target_archE4294967295ELNS1_3gpuE0ELNS1_3repE0EEENS1_30default_config_static_selectorELNS0_4arch9wavefront6targetE0EEEvSK_: ; @_ZN7rocprim17ROCPRIM_400000_NS6detail17trampoline_kernelINS0_14default_configENS1_22reduce_config_selectorIN6thrust23THRUST_200600_302600_NS5tupleIblNS6_9null_typeES8_S8_S8_S8_S8_S8_S8_EEEEZNS1_11reduce_implILb1ES3_PS9_SC_S9_NS6_11hip_rocprim9__find_if7functorIS9_EEEE10hipError_tPvRmT1_T2_T3_mT4_P12ihipStream_tbEUlT_E1_NS1_11comp_targetILNS1_3genE0ELNS1_11target_archE4294967295ELNS1_3gpuE0ELNS1_3repE0EEENS1_30default_config_static_selectorELNS0_4arch9wavefront6targetE0EEEvSK_
; %bb.0:
	.section	.rodata,"a",@progbits
	.p2align	6, 0x0
	.amdhsa_kernel _ZN7rocprim17ROCPRIM_400000_NS6detail17trampoline_kernelINS0_14default_configENS1_22reduce_config_selectorIN6thrust23THRUST_200600_302600_NS5tupleIblNS6_9null_typeES8_S8_S8_S8_S8_S8_S8_EEEEZNS1_11reduce_implILb1ES3_PS9_SC_S9_NS6_11hip_rocprim9__find_if7functorIS9_EEEE10hipError_tPvRmT1_T2_T3_mT4_P12ihipStream_tbEUlT_E1_NS1_11comp_targetILNS1_3genE0ELNS1_11target_archE4294967295ELNS1_3gpuE0ELNS1_3repE0EEENS1_30default_config_static_selectorELNS0_4arch9wavefront6targetE0EEEvSK_
		.amdhsa_group_segment_fixed_size 0
		.amdhsa_private_segment_fixed_size 0
		.amdhsa_kernarg_size 56
		.amdhsa_user_sgpr_count 15
		.amdhsa_user_sgpr_dispatch_ptr 0
		.amdhsa_user_sgpr_queue_ptr 0
		.amdhsa_user_sgpr_kernarg_segment_ptr 1
		.amdhsa_user_sgpr_dispatch_id 0
		.amdhsa_user_sgpr_private_segment_size 0
		.amdhsa_wavefront_size32 1
		.amdhsa_uses_dynamic_stack 0
		.amdhsa_enable_private_segment 0
		.amdhsa_system_sgpr_workgroup_id_x 1
		.amdhsa_system_sgpr_workgroup_id_y 0
		.amdhsa_system_sgpr_workgroup_id_z 0
		.amdhsa_system_sgpr_workgroup_info 0
		.amdhsa_system_vgpr_workitem_id 0
		.amdhsa_next_free_vgpr 1
		.amdhsa_next_free_sgpr 1
		.amdhsa_reserve_vcc 0
		.amdhsa_float_round_mode_32 0
		.amdhsa_float_round_mode_16_64 0
		.amdhsa_float_denorm_mode_32 3
		.amdhsa_float_denorm_mode_16_64 3
		.amdhsa_dx10_clamp 1
		.amdhsa_ieee_mode 1
		.amdhsa_fp16_overflow 0
		.amdhsa_workgroup_processor_mode 1
		.amdhsa_memory_ordered 1
		.amdhsa_forward_progress 0
		.amdhsa_shared_vgpr_count 0
		.amdhsa_exception_fp_ieee_invalid_op 0
		.amdhsa_exception_fp_denorm_src 0
		.amdhsa_exception_fp_ieee_div_zero 0
		.amdhsa_exception_fp_ieee_overflow 0
		.amdhsa_exception_fp_ieee_underflow 0
		.amdhsa_exception_fp_ieee_inexact 0
		.amdhsa_exception_int_div_zero 0
	.end_amdhsa_kernel
	.section	.text._ZN7rocprim17ROCPRIM_400000_NS6detail17trampoline_kernelINS0_14default_configENS1_22reduce_config_selectorIN6thrust23THRUST_200600_302600_NS5tupleIblNS6_9null_typeES8_S8_S8_S8_S8_S8_S8_EEEEZNS1_11reduce_implILb1ES3_PS9_SC_S9_NS6_11hip_rocprim9__find_if7functorIS9_EEEE10hipError_tPvRmT1_T2_T3_mT4_P12ihipStream_tbEUlT_E1_NS1_11comp_targetILNS1_3genE0ELNS1_11target_archE4294967295ELNS1_3gpuE0ELNS1_3repE0EEENS1_30default_config_static_selectorELNS0_4arch9wavefront6targetE0EEEvSK_,"axG",@progbits,_ZN7rocprim17ROCPRIM_400000_NS6detail17trampoline_kernelINS0_14default_configENS1_22reduce_config_selectorIN6thrust23THRUST_200600_302600_NS5tupleIblNS6_9null_typeES8_S8_S8_S8_S8_S8_S8_EEEEZNS1_11reduce_implILb1ES3_PS9_SC_S9_NS6_11hip_rocprim9__find_if7functorIS9_EEEE10hipError_tPvRmT1_T2_T3_mT4_P12ihipStream_tbEUlT_E1_NS1_11comp_targetILNS1_3genE0ELNS1_11target_archE4294967295ELNS1_3gpuE0ELNS1_3repE0EEENS1_30default_config_static_selectorELNS0_4arch9wavefront6targetE0EEEvSK_,comdat
.Lfunc_end417:
	.size	_ZN7rocprim17ROCPRIM_400000_NS6detail17trampoline_kernelINS0_14default_configENS1_22reduce_config_selectorIN6thrust23THRUST_200600_302600_NS5tupleIblNS6_9null_typeES8_S8_S8_S8_S8_S8_S8_EEEEZNS1_11reduce_implILb1ES3_PS9_SC_S9_NS6_11hip_rocprim9__find_if7functorIS9_EEEE10hipError_tPvRmT1_T2_T3_mT4_P12ihipStream_tbEUlT_E1_NS1_11comp_targetILNS1_3genE0ELNS1_11target_archE4294967295ELNS1_3gpuE0ELNS1_3repE0EEENS1_30default_config_static_selectorELNS0_4arch9wavefront6targetE0EEEvSK_, .Lfunc_end417-_ZN7rocprim17ROCPRIM_400000_NS6detail17trampoline_kernelINS0_14default_configENS1_22reduce_config_selectorIN6thrust23THRUST_200600_302600_NS5tupleIblNS6_9null_typeES8_S8_S8_S8_S8_S8_S8_EEEEZNS1_11reduce_implILb1ES3_PS9_SC_S9_NS6_11hip_rocprim9__find_if7functorIS9_EEEE10hipError_tPvRmT1_T2_T3_mT4_P12ihipStream_tbEUlT_E1_NS1_11comp_targetILNS1_3genE0ELNS1_11target_archE4294967295ELNS1_3gpuE0ELNS1_3repE0EEENS1_30default_config_static_selectorELNS0_4arch9wavefront6targetE0EEEvSK_
                                        ; -- End function
	.section	.AMDGPU.csdata,"",@progbits
; Kernel info:
; codeLenInByte = 0
; NumSgprs: 0
; NumVgprs: 0
; ScratchSize: 0
; MemoryBound: 0
; FloatMode: 240
; IeeeMode: 1
; LDSByteSize: 0 bytes/workgroup (compile time only)
; SGPRBlocks: 0
; VGPRBlocks: 0
; NumSGPRsForWavesPerEU: 1
; NumVGPRsForWavesPerEU: 1
; Occupancy: 16
; WaveLimiterHint : 0
; COMPUTE_PGM_RSRC2:SCRATCH_EN: 0
; COMPUTE_PGM_RSRC2:USER_SGPR: 15
; COMPUTE_PGM_RSRC2:TRAP_HANDLER: 0
; COMPUTE_PGM_RSRC2:TGID_X_EN: 1
; COMPUTE_PGM_RSRC2:TGID_Y_EN: 0
; COMPUTE_PGM_RSRC2:TGID_Z_EN: 0
; COMPUTE_PGM_RSRC2:TIDIG_COMP_CNT: 0
	.section	.text._ZN7rocprim17ROCPRIM_400000_NS6detail17trampoline_kernelINS0_14default_configENS1_22reduce_config_selectorIN6thrust23THRUST_200600_302600_NS5tupleIblNS6_9null_typeES8_S8_S8_S8_S8_S8_S8_EEEEZNS1_11reduce_implILb1ES3_PS9_SC_S9_NS6_11hip_rocprim9__find_if7functorIS9_EEEE10hipError_tPvRmT1_T2_T3_mT4_P12ihipStream_tbEUlT_E1_NS1_11comp_targetILNS1_3genE5ELNS1_11target_archE942ELNS1_3gpuE9ELNS1_3repE0EEENS1_30default_config_static_selectorELNS0_4arch9wavefront6targetE0EEEvSK_,"axG",@progbits,_ZN7rocprim17ROCPRIM_400000_NS6detail17trampoline_kernelINS0_14default_configENS1_22reduce_config_selectorIN6thrust23THRUST_200600_302600_NS5tupleIblNS6_9null_typeES8_S8_S8_S8_S8_S8_S8_EEEEZNS1_11reduce_implILb1ES3_PS9_SC_S9_NS6_11hip_rocprim9__find_if7functorIS9_EEEE10hipError_tPvRmT1_T2_T3_mT4_P12ihipStream_tbEUlT_E1_NS1_11comp_targetILNS1_3genE5ELNS1_11target_archE942ELNS1_3gpuE9ELNS1_3repE0EEENS1_30default_config_static_selectorELNS0_4arch9wavefront6targetE0EEEvSK_,comdat
	.protected	_ZN7rocprim17ROCPRIM_400000_NS6detail17trampoline_kernelINS0_14default_configENS1_22reduce_config_selectorIN6thrust23THRUST_200600_302600_NS5tupleIblNS6_9null_typeES8_S8_S8_S8_S8_S8_S8_EEEEZNS1_11reduce_implILb1ES3_PS9_SC_S9_NS6_11hip_rocprim9__find_if7functorIS9_EEEE10hipError_tPvRmT1_T2_T3_mT4_P12ihipStream_tbEUlT_E1_NS1_11comp_targetILNS1_3genE5ELNS1_11target_archE942ELNS1_3gpuE9ELNS1_3repE0EEENS1_30default_config_static_selectorELNS0_4arch9wavefront6targetE0EEEvSK_ ; -- Begin function _ZN7rocprim17ROCPRIM_400000_NS6detail17trampoline_kernelINS0_14default_configENS1_22reduce_config_selectorIN6thrust23THRUST_200600_302600_NS5tupleIblNS6_9null_typeES8_S8_S8_S8_S8_S8_S8_EEEEZNS1_11reduce_implILb1ES3_PS9_SC_S9_NS6_11hip_rocprim9__find_if7functorIS9_EEEE10hipError_tPvRmT1_T2_T3_mT4_P12ihipStream_tbEUlT_E1_NS1_11comp_targetILNS1_3genE5ELNS1_11target_archE942ELNS1_3gpuE9ELNS1_3repE0EEENS1_30default_config_static_selectorELNS0_4arch9wavefront6targetE0EEEvSK_
	.globl	_ZN7rocprim17ROCPRIM_400000_NS6detail17trampoline_kernelINS0_14default_configENS1_22reduce_config_selectorIN6thrust23THRUST_200600_302600_NS5tupleIblNS6_9null_typeES8_S8_S8_S8_S8_S8_S8_EEEEZNS1_11reduce_implILb1ES3_PS9_SC_S9_NS6_11hip_rocprim9__find_if7functorIS9_EEEE10hipError_tPvRmT1_T2_T3_mT4_P12ihipStream_tbEUlT_E1_NS1_11comp_targetILNS1_3genE5ELNS1_11target_archE942ELNS1_3gpuE9ELNS1_3repE0EEENS1_30default_config_static_selectorELNS0_4arch9wavefront6targetE0EEEvSK_
	.p2align	8
	.type	_ZN7rocprim17ROCPRIM_400000_NS6detail17trampoline_kernelINS0_14default_configENS1_22reduce_config_selectorIN6thrust23THRUST_200600_302600_NS5tupleIblNS6_9null_typeES8_S8_S8_S8_S8_S8_S8_EEEEZNS1_11reduce_implILb1ES3_PS9_SC_S9_NS6_11hip_rocprim9__find_if7functorIS9_EEEE10hipError_tPvRmT1_T2_T3_mT4_P12ihipStream_tbEUlT_E1_NS1_11comp_targetILNS1_3genE5ELNS1_11target_archE942ELNS1_3gpuE9ELNS1_3repE0EEENS1_30default_config_static_selectorELNS0_4arch9wavefront6targetE0EEEvSK_,@function
_ZN7rocprim17ROCPRIM_400000_NS6detail17trampoline_kernelINS0_14default_configENS1_22reduce_config_selectorIN6thrust23THRUST_200600_302600_NS5tupleIblNS6_9null_typeES8_S8_S8_S8_S8_S8_S8_EEEEZNS1_11reduce_implILb1ES3_PS9_SC_S9_NS6_11hip_rocprim9__find_if7functorIS9_EEEE10hipError_tPvRmT1_T2_T3_mT4_P12ihipStream_tbEUlT_E1_NS1_11comp_targetILNS1_3genE5ELNS1_11target_archE942ELNS1_3gpuE9ELNS1_3repE0EEENS1_30default_config_static_selectorELNS0_4arch9wavefront6targetE0EEEvSK_: ; @_ZN7rocprim17ROCPRIM_400000_NS6detail17trampoline_kernelINS0_14default_configENS1_22reduce_config_selectorIN6thrust23THRUST_200600_302600_NS5tupleIblNS6_9null_typeES8_S8_S8_S8_S8_S8_S8_EEEEZNS1_11reduce_implILb1ES3_PS9_SC_S9_NS6_11hip_rocprim9__find_if7functorIS9_EEEE10hipError_tPvRmT1_T2_T3_mT4_P12ihipStream_tbEUlT_E1_NS1_11comp_targetILNS1_3genE5ELNS1_11target_archE942ELNS1_3gpuE9ELNS1_3repE0EEENS1_30default_config_static_selectorELNS0_4arch9wavefront6targetE0EEEvSK_
; %bb.0:
	.section	.rodata,"a",@progbits
	.p2align	6, 0x0
	.amdhsa_kernel _ZN7rocprim17ROCPRIM_400000_NS6detail17trampoline_kernelINS0_14default_configENS1_22reduce_config_selectorIN6thrust23THRUST_200600_302600_NS5tupleIblNS6_9null_typeES8_S8_S8_S8_S8_S8_S8_EEEEZNS1_11reduce_implILb1ES3_PS9_SC_S9_NS6_11hip_rocprim9__find_if7functorIS9_EEEE10hipError_tPvRmT1_T2_T3_mT4_P12ihipStream_tbEUlT_E1_NS1_11comp_targetILNS1_3genE5ELNS1_11target_archE942ELNS1_3gpuE9ELNS1_3repE0EEENS1_30default_config_static_selectorELNS0_4arch9wavefront6targetE0EEEvSK_
		.amdhsa_group_segment_fixed_size 0
		.amdhsa_private_segment_fixed_size 0
		.amdhsa_kernarg_size 56
		.amdhsa_user_sgpr_count 15
		.amdhsa_user_sgpr_dispatch_ptr 0
		.amdhsa_user_sgpr_queue_ptr 0
		.amdhsa_user_sgpr_kernarg_segment_ptr 1
		.amdhsa_user_sgpr_dispatch_id 0
		.amdhsa_user_sgpr_private_segment_size 0
		.amdhsa_wavefront_size32 1
		.amdhsa_uses_dynamic_stack 0
		.amdhsa_enable_private_segment 0
		.amdhsa_system_sgpr_workgroup_id_x 1
		.amdhsa_system_sgpr_workgroup_id_y 0
		.amdhsa_system_sgpr_workgroup_id_z 0
		.amdhsa_system_sgpr_workgroup_info 0
		.amdhsa_system_vgpr_workitem_id 0
		.amdhsa_next_free_vgpr 1
		.amdhsa_next_free_sgpr 1
		.amdhsa_reserve_vcc 0
		.amdhsa_float_round_mode_32 0
		.amdhsa_float_round_mode_16_64 0
		.amdhsa_float_denorm_mode_32 3
		.amdhsa_float_denorm_mode_16_64 3
		.amdhsa_dx10_clamp 1
		.amdhsa_ieee_mode 1
		.amdhsa_fp16_overflow 0
		.amdhsa_workgroup_processor_mode 1
		.amdhsa_memory_ordered 1
		.amdhsa_forward_progress 0
		.amdhsa_shared_vgpr_count 0
		.amdhsa_exception_fp_ieee_invalid_op 0
		.amdhsa_exception_fp_denorm_src 0
		.amdhsa_exception_fp_ieee_div_zero 0
		.amdhsa_exception_fp_ieee_overflow 0
		.amdhsa_exception_fp_ieee_underflow 0
		.amdhsa_exception_fp_ieee_inexact 0
		.amdhsa_exception_int_div_zero 0
	.end_amdhsa_kernel
	.section	.text._ZN7rocprim17ROCPRIM_400000_NS6detail17trampoline_kernelINS0_14default_configENS1_22reduce_config_selectorIN6thrust23THRUST_200600_302600_NS5tupleIblNS6_9null_typeES8_S8_S8_S8_S8_S8_S8_EEEEZNS1_11reduce_implILb1ES3_PS9_SC_S9_NS6_11hip_rocprim9__find_if7functorIS9_EEEE10hipError_tPvRmT1_T2_T3_mT4_P12ihipStream_tbEUlT_E1_NS1_11comp_targetILNS1_3genE5ELNS1_11target_archE942ELNS1_3gpuE9ELNS1_3repE0EEENS1_30default_config_static_selectorELNS0_4arch9wavefront6targetE0EEEvSK_,"axG",@progbits,_ZN7rocprim17ROCPRIM_400000_NS6detail17trampoline_kernelINS0_14default_configENS1_22reduce_config_selectorIN6thrust23THRUST_200600_302600_NS5tupleIblNS6_9null_typeES8_S8_S8_S8_S8_S8_S8_EEEEZNS1_11reduce_implILb1ES3_PS9_SC_S9_NS6_11hip_rocprim9__find_if7functorIS9_EEEE10hipError_tPvRmT1_T2_T3_mT4_P12ihipStream_tbEUlT_E1_NS1_11comp_targetILNS1_3genE5ELNS1_11target_archE942ELNS1_3gpuE9ELNS1_3repE0EEENS1_30default_config_static_selectorELNS0_4arch9wavefront6targetE0EEEvSK_,comdat
.Lfunc_end418:
	.size	_ZN7rocprim17ROCPRIM_400000_NS6detail17trampoline_kernelINS0_14default_configENS1_22reduce_config_selectorIN6thrust23THRUST_200600_302600_NS5tupleIblNS6_9null_typeES8_S8_S8_S8_S8_S8_S8_EEEEZNS1_11reduce_implILb1ES3_PS9_SC_S9_NS6_11hip_rocprim9__find_if7functorIS9_EEEE10hipError_tPvRmT1_T2_T3_mT4_P12ihipStream_tbEUlT_E1_NS1_11comp_targetILNS1_3genE5ELNS1_11target_archE942ELNS1_3gpuE9ELNS1_3repE0EEENS1_30default_config_static_selectorELNS0_4arch9wavefront6targetE0EEEvSK_, .Lfunc_end418-_ZN7rocprim17ROCPRIM_400000_NS6detail17trampoline_kernelINS0_14default_configENS1_22reduce_config_selectorIN6thrust23THRUST_200600_302600_NS5tupleIblNS6_9null_typeES8_S8_S8_S8_S8_S8_S8_EEEEZNS1_11reduce_implILb1ES3_PS9_SC_S9_NS6_11hip_rocprim9__find_if7functorIS9_EEEE10hipError_tPvRmT1_T2_T3_mT4_P12ihipStream_tbEUlT_E1_NS1_11comp_targetILNS1_3genE5ELNS1_11target_archE942ELNS1_3gpuE9ELNS1_3repE0EEENS1_30default_config_static_selectorELNS0_4arch9wavefront6targetE0EEEvSK_
                                        ; -- End function
	.section	.AMDGPU.csdata,"",@progbits
; Kernel info:
; codeLenInByte = 0
; NumSgprs: 0
; NumVgprs: 0
; ScratchSize: 0
; MemoryBound: 0
; FloatMode: 240
; IeeeMode: 1
; LDSByteSize: 0 bytes/workgroup (compile time only)
; SGPRBlocks: 0
; VGPRBlocks: 0
; NumSGPRsForWavesPerEU: 1
; NumVGPRsForWavesPerEU: 1
; Occupancy: 16
; WaveLimiterHint : 0
; COMPUTE_PGM_RSRC2:SCRATCH_EN: 0
; COMPUTE_PGM_RSRC2:USER_SGPR: 15
; COMPUTE_PGM_RSRC2:TRAP_HANDLER: 0
; COMPUTE_PGM_RSRC2:TGID_X_EN: 1
; COMPUTE_PGM_RSRC2:TGID_Y_EN: 0
; COMPUTE_PGM_RSRC2:TGID_Z_EN: 0
; COMPUTE_PGM_RSRC2:TIDIG_COMP_CNT: 0
	.section	.text._ZN7rocprim17ROCPRIM_400000_NS6detail17trampoline_kernelINS0_14default_configENS1_22reduce_config_selectorIN6thrust23THRUST_200600_302600_NS5tupleIblNS6_9null_typeES8_S8_S8_S8_S8_S8_S8_EEEEZNS1_11reduce_implILb1ES3_PS9_SC_S9_NS6_11hip_rocprim9__find_if7functorIS9_EEEE10hipError_tPvRmT1_T2_T3_mT4_P12ihipStream_tbEUlT_E1_NS1_11comp_targetILNS1_3genE4ELNS1_11target_archE910ELNS1_3gpuE8ELNS1_3repE0EEENS1_30default_config_static_selectorELNS0_4arch9wavefront6targetE0EEEvSK_,"axG",@progbits,_ZN7rocprim17ROCPRIM_400000_NS6detail17trampoline_kernelINS0_14default_configENS1_22reduce_config_selectorIN6thrust23THRUST_200600_302600_NS5tupleIblNS6_9null_typeES8_S8_S8_S8_S8_S8_S8_EEEEZNS1_11reduce_implILb1ES3_PS9_SC_S9_NS6_11hip_rocprim9__find_if7functorIS9_EEEE10hipError_tPvRmT1_T2_T3_mT4_P12ihipStream_tbEUlT_E1_NS1_11comp_targetILNS1_3genE4ELNS1_11target_archE910ELNS1_3gpuE8ELNS1_3repE0EEENS1_30default_config_static_selectorELNS0_4arch9wavefront6targetE0EEEvSK_,comdat
	.protected	_ZN7rocprim17ROCPRIM_400000_NS6detail17trampoline_kernelINS0_14default_configENS1_22reduce_config_selectorIN6thrust23THRUST_200600_302600_NS5tupleIblNS6_9null_typeES8_S8_S8_S8_S8_S8_S8_EEEEZNS1_11reduce_implILb1ES3_PS9_SC_S9_NS6_11hip_rocprim9__find_if7functorIS9_EEEE10hipError_tPvRmT1_T2_T3_mT4_P12ihipStream_tbEUlT_E1_NS1_11comp_targetILNS1_3genE4ELNS1_11target_archE910ELNS1_3gpuE8ELNS1_3repE0EEENS1_30default_config_static_selectorELNS0_4arch9wavefront6targetE0EEEvSK_ ; -- Begin function _ZN7rocprim17ROCPRIM_400000_NS6detail17trampoline_kernelINS0_14default_configENS1_22reduce_config_selectorIN6thrust23THRUST_200600_302600_NS5tupleIblNS6_9null_typeES8_S8_S8_S8_S8_S8_S8_EEEEZNS1_11reduce_implILb1ES3_PS9_SC_S9_NS6_11hip_rocprim9__find_if7functorIS9_EEEE10hipError_tPvRmT1_T2_T3_mT4_P12ihipStream_tbEUlT_E1_NS1_11comp_targetILNS1_3genE4ELNS1_11target_archE910ELNS1_3gpuE8ELNS1_3repE0EEENS1_30default_config_static_selectorELNS0_4arch9wavefront6targetE0EEEvSK_
	.globl	_ZN7rocprim17ROCPRIM_400000_NS6detail17trampoline_kernelINS0_14default_configENS1_22reduce_config_selectorIN6thrust23THRUST_200600_302600_NS5tupleIblNS6_9null_typeES8_S8_S8_S8_S8_S8_S8_EEEEZNS1_11reduce_implILb1ES3_PS9_SC_S9_NS6_11hip_rocprim9__find_if7functorIS9_EEEE10hipError_tPvRmT1_T2_T3_mT4_P12ihipStream_tbEUlT_E1_NS1_11comp_targetILNS1_3genE4ELNS1_11target_archE910ELNS1_3gpuE8ELNS1_3repE0EEENS1_30default_config_static_selectorELNS0_4arch9wavefront6targetE0EEEvSK_
	.p2align	8
	.type	_ZN7rocprim17ROCPRIM_400000_NS6detail17trampoline_kernelINS0_14default_configENS1_22reduce_config_selectorIN6thrust23THRUST_200600_302600_NS5tupleIblNS6_9null_typeES8_S8_S8_S8_S8_S8_S8_EEEEZNS1_11reduce_implILb1ES3_PS9_SC_S9_NS6_11hip_rocprim9__find_if7functorIS9_EEEE10hipError_tPvRmT1_T2_T3_mT4_P12ihipStream_tbEUlT_E1_NS1_11comp_targetILNS1_3genE4ELNS1_11target_archE910ELNS1_3gpuE8ELNS1_3repE0EEENS1_30default_config_static_selectorELNS0_4arch9wavefront6targetE0EEEvSK_,@function
_ZN7rocprim17ROCPRIM_400000_NS6detail17trampoline_kernelINS0_14default_configENS1_22reduce_config_selectorIN6thrust23THRUST_200600_302600_NS5tupleIblNS6_9null_typeES8_S8_S8_S8_S8_S8_S8_EEEEZNS1_11reduce_implILb1ES3_PS9_SC_S9_NS6_11hip_rocprim9__find_if7functorIS9_EEEE10hipError_tPvRmT1_T2_T3_mT4_P12ihipStream_tbEUlT_E1_NS1_11comp_targetILNS1_3genE4ELNS1_11target_archE910ELNS1_3gpuE8ELNS1_3repE0EEENS1_30default_config_static_selectorELNS0_4arch9wavefront6targetE0EEEvSK_: ; @_ZN7rocprim17ROCPRIM_400000_NS6detail17trampoline_kernelINS0_14default_configENS1_22reduce_config_selectorIN6thrust23THRUST_200600_302600_NS5tupleIblNS6_9null_typeES8_S8_S8_S8_S8_S8_S8_EEEEZNS1_11reduce_implILb1ES3_PS9_SC_S9_NS6_11hip_rocprim9__find_if7functorIS9_EEEE10hipError_tPvRmT1_T2_T3_mT4_P12ihipStream_tbEUlT_E1_NS1_11comp_targetILNS1_3genE4ELNS1_11target_archE910ELNS1_3gpuE8ELNS1_3repE0EEENS1_30default_config_static_selectorELNS0_4arch9wavefront6targetE0EEEvSK_
; %bb.0:
	.section	.rodata,"a",@progbits
	.p2align	6, 0x0
	.amdhsa_kernel _ZN7rocprim17ROCPRIM_400000_NS6detail17trampoline_kernelINS0_14default_configENS1_22reduce_config_selectorIN6thrust23THRUST_200600_302600_NS5tupleIblNS6_9null_typeES8_S8_S8_S8_S8_S8_S8_EEEEZNS1_11reduce_implILb1ES3_PS9_SC_S9_NS6_11hip_rocprim9__find_if7functorIS9_EEEE10hipError_tPvRmT1_T2_T3_mT4_P12ihipStream_tbEUlT_E1_NS1_11comp_targetILNS1_3genE4ELNS1_11target_archE910ELNS1_3gpuE8ELNS1_3repE0EEENS1_30default_config_static_selectorELNS0_4arch9wavefront6targetE0EEEvSK_
		.amdhsa_group_segment_fixed_size 0
		.amdhsa_private_segment_fixed_size 0
		.amdhsa_kernarg_size 56
		.amdhsa_user_sgpr_count 15
		.amdhsa_user_sgpr_dispatch_ptr 0
		.amdhsa_user_sgpr_queue_ptr 0
		.amdhsa_user_sgpr_kernarg_segment_ptr 1
		.amdhsa_user_sgpr_dispatch_id 0
		.amdhsa_user_sgpr_private_segment_size 0
		.amdhsa_wavefront_size32 1
		.amdhsa_uses_dynamic_stack 0
		.amdhsa_enable_private_segment 0
		.amdhsa_system_sgpr_workgroup_id_x 1
		.amdhsa_system_sgpr_workgroup_id_y 0
		.amdhsa_system_sgpr_workgroup_id_z 0
		.amdhsa_system_sgpr_workgroup_info 0
		.amdhsa_system_vgpr_workitem_id 0
		.amdhsa_next_free_vgpr 1
		.amdhsa_next_free_sgpr 1
		.amdhsa_reserve_vcc 0
		.amdhsa_float_round_mode_32 0
		.amdhsa_float_round_mode_16_64 0
		.amdhsa_float_denorm_mode_32 3
		.amdhsa_float_denorm_mode_16_64 3
		.amdhsa_dx10_clamp 1
		.amdhsa_ieee_mode 1
		.amdhsa_fp16_overflow 0
		.amdhsa_workgroup_processor_mode 1
		.amdhsa_memory_ordered 1
		.amdhsa_forward_progress 0
		.amdhsa_shared_vgpr_count 0
		.amdhsa_exception_fp_ieee_invalid_op 0
		.amdhsa_exception_fp_denorm_src 0
		.amdhsa_exception_fp_ieee_div_zero 0
		.amdhsa_exception_fp_ieee_overflow 0
		.amdhsa_exception_fp_ieee_underflow 0
		.amdhsa_exception_fp_ieee_inexact 0
		.amdhsa_exception_int_div_zero 0
	.end_amdhsa_kernel
	.section	.text._ZN7rocprim17ROCPRIM_400000_NS6detail17trampoline_kernelINS0_14default_configENS1_22reduce_config_selectorIN6thrust23THRUST_200600_302600_NS5tupleIblNS6_9null_typeES8_S8_S8_S8_S8_S8_S8_EEEEZNS1_11reduce_implILb1ES3_PS9_SC_S9_NS6_11hip_rocprim9__find_if7functorIS9_EEEE10hipError_tPvRmT1_T2_T3_mT4_P12ihipStream_tbEUlT_E1_NS1_11comp_targetILNS1_3genE4ELNS1_11target_archE910ELNS1_3gpuE8ELNS1_3repE0EEENS1_30default_config_static_selectorELNS0_4arch9wavefront6targetE0EEEvSK_,"axG",@progbits,_ZN7rocprim17ROCPRIM_400000_NS6detail17trampoline_kernelINS0_14default_configENS1_22reduce_config_selectorIN6thrust23THRUST_200600_302600_NS5tupleIblNS6_9null_typeES8_S8_S8_S8_S8_S8_S8_EEEEZNS1_11reduce_implILb1ES3_PS9_SC_S9_NS6_11hip_rocprim9__find_if7functorIS9_EEEE10hipError_tPvRmT1_T2_T3_mT4_P12ihipStream_tbEUlT_E1_NS1_11comp_targetILNS1_3genE4ELNS1_11target_archE910ELNS1_3gpuE8ELNS1_3repE0EEENS1_30default_config_static_selectorELNS0_4arch9wavefront6targetE0EEEvSK_,comdat
.Lfunc_end419:
	.size	_ZN7rocprim17ROCPRIM_400000_NS6detail17trampoline_kernelINS0_14default_configENS1_22reduce_config_selectorIN6thrust23THRUST_200600_302600_NS5tupleIblNS6_9null_typeES8_S8_S8_S8_S8_S8_S8_EEEEZNS1_11reduce_implILb1ES3_PS9_SC_S9_NS6_11hip_rocprim9__find_if7functorIS9_EEEE10hipError_tPvRmT1_T2_T3_mT4_P12ihipStream_tbEUlT_E1_NS1_11comp_targetILNS1_3genE4ELNS1_11target_archE910ELNS1_3gpuE8ELNS1_3repE0EEENS1_30default_config_static_selectorELNS0_4arch9wavefront6targetE0EEEvSK_, .Lfunc_end419-_ZN7rocprim17ROCPRIM_400000_NS6detail17trampoline_kernelINS0_14default_configENS1_22reduce_config_selectorIN6thrust23THRUST_200600_302600_NS5tupleIblNS6_9null_typeES8_S8_S8_S8_S8_S8_S8_EEEEZNS1_11reduce_implILb1ES3_PS9_SC_S9_NS6_11hip_rocprim9__find_if7functorIS9_EEEE10hipError_tPvRmT1_T2_T3_mT4_P12ihipStream_tbEUlT_E1_NS1_11comp_targetILNS1_3genE4ELNS1_11target_archE910ELNS1_3gpuE8ELNS1_3repE0EEENS1_30default_config_static_selectorELNS0_4arch9wavefront6targetE0EEEvSK_
                                        ; -- End function
	.section	.AMDGPU.csdata,"",@progbits
; Kernel info:
; codeLenInByte = 0
; NumSgprs: 0
; NumVgprs: 0
; ScratchSize: 0
; MemoryBound: 0
; FloatMode: 240
; IeeeMode: 1
; LDSByteSize: 0 bytes/workgroup (compile time only)
; SGPRBlocks: 0
; VGPRBlocks: 0
; NumSGPRsForWavesPerEU: 1
; NumVGPRsForWavesPerEU: 1
; Occupancy: 16
; WaveLimiterHint : 0
; COMPUTE_PGM_RSRC2:SCRATCH_EN: 0
; COMPUTE_PGM_RSRC2:USER_SGPR: 15
; COMPUTE_PGM_RSRC2:TRAP_HANDLER: 0
; COMPUTE_PGM_RSRC2:TGID_X_EN: 1
; COMPUTE_PGM_RSRC2:TGID_Y_EN: 0
; COMPUTE_PGM_RSRC2:TGID_Z_EN: 0
; COMPUTE_PGM_RSRC2:TIDIG_COMP_CNT: 0
	.section	.text._ZN7rocprim17ROCPRIM_400000_NS6detail17trampoline_kernelINS0_14default_configENS1_22reduce_config_selectorIN6thrust23THRUST_200600_302600_NS5tupleIblNS6_9null_typeES8_S8_S8_S8_S8_S8_S8_EEEEZNS1_11reduce_implILb1ES3_PS9_SC_S9_NS6_11hip_rocprim9__find_if7functorIS9_EEEE10hipError_tPvRmT1_T2_T3_mT4_P12ihipStream_tbEUlT_E1_NS1_11comp_targetILNS1_3genE3ELNS1_11target_archE908ELNS1_3gpuE7ELNS1_3repE0EEENS1_30default_config_static_selectorELNS0_4arch9wavefront6targetE0EEEvSK_,"axG",@progbits,_ZN7rocprim17ROCPRIM_400000_NS6detail17trampoline_kernelINS0_14default_configENS1_22reduce_config_selectorIN6thrust23THRUST_200600_302600_NS5tupleIblNS6_9null_typeES8_S8_S8_S8_S8_S8_S8_EEEEZNS1_11reduce_implILb1ES3_PS9_SC_S9_NS6_11hip_rocprim9__find_if7functorIS9_EEEE10hipError_tPvRmT1_T2_T3_mT4_P12ihipStream_tbEUlT_E1_NS1_11comp_targetILNS1_3genE3ELNS1_11target_archE908ELNS1_3gpuE7ELNS1_3repE0EEENS1_30default_config_static_selectorELNS0_4arch9wavefront6targetE0EEEvSK_,comdat
	.protected	_ZN7rocprim17ROCPRIM_400000_NS6detail17trampoline_kernelINS0_14default_configENS1_22reduce_config_selectorIN6thrust23THRUST_200600_302600_NS5tupleIblNS6_9null_typeES8_S8_S8_S8_S8_S8_S8_EEEEZNS1_11reduce_implILb1ES3_PS9_SC_S9_NS6_11hip_rocprim9__find_if7functorIS9_EEEE10hipError_tPvRmT1_T2_T3_mT4_P12ihipStream_tbEUlT_E1_NS1_11comp_targetILNS1_3genE3ELNS1_11target_archE908ELNS1_3gpuE7ELNS1_3repE0EEENS1_30default_config_static_selectorELNS0_4arch9wavefront6targetE0EEEvSK_ ; -- Begin function _ZN7rocprim17ROCPRIM_400000_NS6detail17trampoline_kernelINS0_14default_configENS1_22reduce_config_selectorIN6thrust23THRUST_200600_302600_NS5tupleIblNS6_9null_typeES8_S8_S8_S8_S8_S8_S8_EEEEZNS1_11reduce_implILb1ES3_PS9_SC_S9_NS6_11hip_rocprim9__find_if7functorIS9_EEEE10hipError_tPvRmT1_T2_T3_mT4_P12ihipStream_tbEUlT_E1_NS1_11comp_targetILNS1_3genE3ELNS1_11target_archE908ELNS1_3gpuE7ELNS1_3repE0EEENS1_30default_config_static_selectorELNS0_4arch9wavefront6targetE0EEEvSK_
	.globl	_ZN7rocprim17ROCPRIM_400000_NS6detail17trampoline_kernelINS0_14default_configENS1_22reduce_config_selectorIN6thrust23THRUST_200600_302600_NS5tupleIblNS6_9null_typeES8_S8_S8_S8_S8_S8_S8_EEEEZNS1_11reduce_implILb1ES3_PS9_SC_S9_NS6_11hip_rocprim9__find_if7functorIS9_EEEE10hipError_tPvRmT1_T2_T3_mT4_P12ihipStream_tbEUlT_E1_NS1_11comp_targetILNS1_3genE3ELNS1_11target_archE908ELNS1_3gpuE7ELNS1_3repE0EEENS1_30default_config_static_selectorELNS0_4arch9wavefront6targetE0EEEvSK_
	.p2align	8
	.type	_ZN7rocprim17ROCPRIM_400000_NS6detail17trampoline_kernelINS0_14default_configENS1_22reduce_config_selectorIN6thrust23THRUST_200600_302600_NS5tupleIblNS6_9null_typeES8_S8_S8_S8_S8_S8_S8_EEEEZNS1_11reduce_implILb1ES3_PS9_SC_S9_NS6_11hip_rocprim9__find_if7functorIS9_EEEE10hipError_tPvRmT1_T2_T3_mT4_P12ihipStream_tbEUlT_E1_NS1_11comp_targetILNS1_3genE3ELNS1_11target_archE908ELNS1_3gpuE7ELNS1_3repE0EEENS1_30default_config_static_selectorELNS0_4arch9wavefront6targetE0EEEvSK_,@function
_ZN7rocprim17ROCPRIM_400000_NS6detail17trampoline_kernelINS0_14default_configENS1_22reduce_config_selectorIN6thrust23THRUST_200600_302600_NS5tupleIblNS6_9null_typeES8_S8_S8_S8_S8_S8_S8_EEEEZNS1_11reduce_implILb1ES3_PS9_SC_S9_NS6_11hip_rocprim9__find_if7functorIS9_EEEE10hipError_tPvRmT1_T2_T3_mT4_P12ihipStream_tbEUlT_E1_NS1_11comp_targetILNS1_3genE3ELNS1_11target_archE908ELNS1_3gpuE7ELNS1_3repE0EEENS1_30default_config_static_selectorELNS0_4arch9wavefront6targetE0EEEvSK_: ; @_ZN7rocprim17ROCPRIM_400000_NS6detail17trampoline_kernelINS0_14default_configENS1_22reduce_config_selectorIN6thrust23THRUST_200600_302600_NS5tupleIblNS6_9null_typeES8_S8_S8_S8_S8_S8_S8_EEEEZNS1_11reduce_implILb1ES3_PS9_SC_S9_NS6_11hip_rocprim9__find_if7functorIS9_EEEE10hipError_tPvRmT1_T2_T3_mT4_P12ihipStream_tbEUlT_E1_NS1_11comp_targetILNS1_3genE3ELNS1_11target_archE908ELNS1_3gpuE7ELNS1_3repE0EEENS1_30default_config_static_selectorELNS0_4arch9wavefront6targetE0EEEvSK_
; %bb.0:
	.section	.rodata,"a",@progbits
	.p2align	6, 0x0
	.amdhsa_kernel _ZN7rocprim17ROCPRIM_400000_NS6detail17trampoline_kernelINS0_14default_configENS1_22reduce_config_selectorIN6thrust23THRUST_200600_302600_NS5tupleIblNS6_9null_typeES8_S8_S8_S8_S8_S8_S8_EEEEZNS1_11reduce_implILb1ES3_PS9_SC_S9_NS6_11hip_rocprim9__find_if7functorIS9_EEEE10hipError_tPvRmT1_T2_T3_mT4_P12ihipStream_tbEUlT_E1_NS1_11comp_targetILNS1_3genE3ELNS1_11target_archE908ELNS1_3gpuE7ELNS1_3repE0EEENS1_30default_config_static_selectorELNS0_4arch9wavefront6targetE0EEEvSK_
		.amdhsa_group_segment_fixed_size 0
		.amdhsa_private_segment_fixed_size 0
		.amdhsa_kernarg_size 56
		.amdhsa_user_sgpr_count 15
		.amdhsa_user_sgpr_dispatch_ptr 0
		.amdhsa_user_sgpr_queue_ptr 0
		.amdhsa_user_sgpr_kernarg_segment_ptr 1
		.amdhsa_user_sgpr_dispatch_id 0
		.amdhsa_user_sgpr_private_segment_size 0
		.amdhsa_wavefront_size32 1
		.amdhsa_uses_dynamic_stack 0
		.amdhsa_enable_private_segment 0
		.amdhsa_system_sgpr_workgroup_id_x 1
		.amdhsa_system_sgpr_workgroup_id_y 0
		.amdhsa_system_sgpr_workgroup_id_z 0
		.amdhsa_system_sgpr_workgroup_info 0
		.amdhsa_system_vgpr_workitem_id 0
		.amdhsa_next_free_vgpr 1
		.amdhsa_next_free_sgpr 1
		.amdhsa_reserve_vcc 0
		.amdhsa_float_round_mode_32 0
		.amdhsa_float_round_mode_16_64 0
		.amdhsa_float_denorm_mode_32 3
		.amdhsa_float_denorm_mode_16_64 3
		.amdhsa_dx10_clamp 1
		.amdhsa_ieee_mode 1
		.amdhsa_fp16_overflow 0
		.amdhsa_workgroup_processor_mode 1
		.amdhsa_memory_ordered 1
		.amdhsa_forward_progress 0
		.amdhsa_shared_vgpr_count 0
		.amdhsa_exception_fp_ieee_invalid_op 0
		.amdhsa_exception_fp_denorm_src 0
		.amdhsa_exception_fp_ieee_div_zero 0
		.amdhsa_exception_fp_ieee_overflow 0
		.amdhsa_exception_fp_ieee_underflow 0
		.amdhsa_exception_fp_ieee_inexact 0
		.amdhsa_exception_int_div_zero 0
	.end_amdhsa_kernel
	.section	.text._ZN7rocprim17ROCPRIM_400000_NS6detail17trampoline_kernelINS0_14default_configENS1_22reduce_config_selectorIN6thrust23THRUST_200600_302600_NS5tupleIblNS6_9null_typeES8_S8_S8_S8_S8_S8_S8_EEEEZNS1_11reduce_implILb1ES3_PS9_SC_S9_NS6_11hip_rocprim9__find_if7functorIS9_EEEE10hipError_tPvRmT1_T2_T3_mT4_P12ihipStream_tbEUlT_E1_NS1_11comp_targetILNS1_3genE3ELNS1_11target_archE908ELNS1_3gpuE7ELNS1_3repE0EEENS1_30default_config_static_selectorELNS0_4arch9wavefront6targetE0EEEvSK_,"axG",@progbits,_ZN7rocprim17ROCPRIM_400000_NS6detail17trampoline_kernelINS0_14default_configENS1_22reduce_config_selectorIN6thrust23THRUST_200600_302600_NS5tupleIblNS6_9null_typeES8_S8_S8_S8_S8_S8_S8_EEEEZNS1_11reduce_implILb1ES3_PS9_SC_S9_NS6_11hip_rocprim9__find_if7functorIS9_EEEE10hipError_tPvRmT1_T2_T3_mT4_P12ihipStream_tbEUlT_E1_NS1_11comp_targetILNS1_3genE3ELNS1_11target_archE908ELNS1_3gpuE7ELNS1_3repE0EEENS1_30default_config_static_selectorELNS0_4arch9wavefront6targetE0EEEvSK_,comdat
.Lfunc_end420:
	.size	_ZN7rocprim17ROCPRIM_400000_NS6detail17trampoline_kernelINS0_14default_configENS1_22reduce_config_selectorIN6thrust23THRUST_200600_302600_NS5tupleIblNS6_9null_typeES8_S8_S8_S8_S8_S8_S8_EEEEZNS1_11reduce_implILb1ES3_PS9_SC_S9_NS6_11hip_rocprim9__find_if7functorIS9_EEEE10hipError_tPvRmT1_T2_T3_mT4_P12ihipStream_tbEUlT_E1_NS1_11comp_targetILNS1_3genE3ELNS1_11target_archE908ELNS1_3gpuE7ELNS1_3repE0EEENS1_30default_config_static_selectorELNS0_4arch9wavefront6targetE0EEEvSK_, .Lfunc_end420-_ZN7rocprim17ROCPRIM_400000_NS6detail17trampoline_kernelINS0_14default_configENS1_22reduce_config_selectorIN6thrust23THRUST_200600_302600_NS5tupleIblNS6_9null_typeES8_S8_S8_S8_S8_S8_S8_EEEEZNS1_11reduce_implILb1ES3_PS9_SC_S9_NS6_11hip_rocprim9__find_if7functorIS9_EEEE10hipError_tPvRmT1_T2_T3_mT4_P12ihipStream_tbEUlT_E1_NS1_11comp_targetILNS1_3genE3ELNS1_11target_archE908ELNS1_3gpuE7ELNS1_3repE0EEENS1_30default_config_static_selectorELNS0_4arch9wavefront6targetE0EEEvSK_
                                        ; -- End function
	.section	.AMDGPU.csdata,"",@progbits
; Kernel info:
; codeLenInByte = 0
; NumSgprs: 0
; NumVgprs: 0
; ScratchSize: 0
; MemoryBound: 0
; FloatMode: 240
; IeeeMode: 1
; LDSByteSize: 0 bytes/workgroup (compile time only)
; SGPRBlocks: 0
; VGPRBlocks: 0
; NumSGPRsForWavesPerEU: 1
; NumVGPRsForWavesPerEU: 1
; Occupancy: 16
; WaveLimiterHint : 0
; COMPUTE_PGM_RSRC2:SCRATCH_EN: 0
; COMPUTE_PGM_RSRC2:USER_SGPR: 15
; COMPUTE_PGM_RSRC2:TRAP_HANDLER: 0
; COMPUTE_PGM_RSRC2:TGID_X_EN: 1
; COMPUTE_PGM_RSRC2:TGID_Y_EN: 0
; COMPUTE_PGM_RSRC2:TGID_Z_EN: 0
; COMPUTE_PGM_RSRC2:TIDIG_COMP_CNT: 0
	.section	.text._ZN7rocprim17ROCPRIM_400000_NS6detail17trampoline_kernelINS0_14default_configENS1_22reduce_config_selectorIN6thrust23THRUST_200600_302600_NS5tupleIblNS6_9null_typeES8_S8_S8_S8_S8_S8_S8_EEEEZNS1_11reduce_implILb1ES3_PS9_SC_S9_NS6_11hip_rocprim9__find_if7functorIS9_EEEE10hipError_tPvRmT1_T2_T3_mT4_P12ihipStream_tbEUlT_E1_NS1_11comp_targetILNS1_3genE2ELNS1_11target_archE906ELNS1_3gpuE6ELNS1_3repE0EEENS1_30default_config_static_selectorELNS0_4arch9wavefront6targetE0EEEvSK_,"axG",@progbits,_ZN7rocprim17ROCPRIM_400000_NS6detail17trampoline_kernelINS0_14default_configENS1_22reduce_config_selectorIN6thrust23THRUST_200600_302600_NS5tupleIblNS6_9null_typeES8_S8_S8_S8_S8_S8_S8_EEEEZNS1_11reduce_implILb1ES3_PS9_SC_S9_NS6_11hip_rocprim9__find_if7functorIS9_EEEE10hipError_tPvRmT1_T2_T3_mT4_P12ihipStream_tbEUlT_E1_NS1_11comp_targetILNS1_3genE2ELNS1_11target_archE906ELNS1_3gpuE6ELNS1_3repE0EEENS1_30default_config_static_selectorELNS0_4arch9wavefront6targetE0EEEvSK_,comdat
	.protected	_ZN7rocprim17ROCPRIM_400000_NS6detail17trampoline_kernelINS0_14default_configENS1_22reduce_config_selectorIN6thrust23THRUST_200600_302600_NS5tupleIblNS6_9null_typeES8_S8_S8_S8_S8_S8_S8_EEEEZNS1_11reduce_implILb1ES3_PS9_SC_S9_NS6_11hip_rocprim9__find_if7functorIS9_EEEE10hipError_tPvRmT1_T2_T3_mT4_P12ihipStream_tbEUlT_E1_NS1_11comp_targetILNS1_3genE2ELNS1_11target_archE906ELNS1_3gpuE6ELNS1_3repE0EEENS1_30default_config_static_selectorELNS0_4arch9wavefront6targetE0EEEvSK_ ; -- Begin function _ZN7rocprim17ROCPRIM_400000_NS6detail17trampoline_kernelINS0_14default_configENS1_22reduce_config_selectorIN6thrust23THRUST_200600_302600_NS5tupleIblNS6_9null_typeES8_S8_S8_S8_S8_S8_S8_EEEEZNS1_11reduce_implILb1ES3_PS9_SC_S9_NS6_11hip_rocprim9__find_if7functorIS9_EEEE10hipError_tPvRmT1_T2_T3_mT4_P12ihipStream_tbEUlT_E1_NS1_11comp_targetILNS1_3genE2ELNS1_11target_archE906ELNS1_3gpuE6ELNS1_3repE0EEENS1_30default_config_static_selectorELNS0_4arch9wavefront6targetE0EEEvSK_
	.globl	_ZN7rocprim17ROCPRIM_400000_NS6detail17trampoline_kernelINS0_14default_configENS1_22reduce_config_selectorIN6thrust23THRUST_200600_302600_NS5tupleIblNS6_9null_typeES8_S8_S8_S8_S8_S8_S8_EEEEZNS1_11reduce_implILb1ES3_PS9_SC_S9_NS6_11hip_rocprim9__find_if7functorIS9_EEEE10hipError_tPvRmT1_T2_T3_mT4_P12ihipStream_tbEUlT_E1_NS1_11comp_targetILNS1_3genE2ELNS1_11target_archE906ELNS1_3gpuE6ELNS1_3repE0EEENS1_30default_config_static_selectorELNS0_4arch9wavefront6targetE0EEEvSK_
	.p2align	8
	.type	_ZN7rocprim17ROCPRIM_400000_NS6detail17trampoline_kernelINS0_14default_configENS1_22reduce_config_selectorIN6thrust23THRUST_200600_302600_NS5tupleIblNS6_9null_typeES8_S8_S8_S8_S8_S8_S8_EEEEZNS1_11reduce_implILb1ES3_PS9_SC_S9_NS6_11hip_rocprim9__find_if7functorIS9_EEEE10hipError_tPvRmT1_T2_T3_mT4_P12ihipStream_tbEUlT_E1_NS1_11comp_targetILNS1_3genE2ELNS1_11target_archE906ELNS1_3gpuE6ELNS1_3repE0EEENS1_30default_config_static_selectorELNS0_4arch9wavefront6targetE0EEEvSK_,@function
_ZN7rocprim17ROCPRIM_400000_NS6detail17trampoline_kernelINS0_14default_configENS1_22reduce_config_selectorIN6thrust23THRUST_200600_302600_NS5tupleIblNS6_9null_typeES8_S8_S8_S8_S8_S8_S8_EEEEZNS1_11reduce_implILb1ES3_PS9_SC_S9_NS6_11hip_rocprim9__find_if7functorIS9_EEEE10hipError_tPvRmT1_T2_T3_mT4_P12ihipStream_tbEUlT_E1_NS1_11comp_targetILNS1_3genE2ELNS1_11target_archE906ELNS1_3gpuE6ELNS1_3repE0EEENS1_30default_config_static_selectorELNS0_4arch9wavefront6targetE0EEEvSK_: ; @_ZN7rocprim17ROCPRIM_400000_NS6detail17trampoline_kernelINS0_14default_configENS1_22reduce_config_selectorIN6thrust23THRUST_200600_302600_NS5tupleIblNS6_9null_typeES8_S8_S8_S8_S8_S8_S8_EEEEZNS1_11reduce_implILb1ES3_PS9_SC_S9_NS6_11hip_rocprim9__find_if7functorIS9_EEEE10hipError_tPvRmT1_T2_T3_mT4_P12ihipStream_tbEUlT_E1_NS1_11comp_targetILNS1_3genE2ELNS1_11target_archE906ELNS1_3gpuE6ELNS1_3repE0EEENS1_30default_config_static_selectorELNS0_4arch9wavefront6targetE0EEEvSK_
; %bb.0:
	.section	.rodata,"a",@progbits
	.p2align	6, 0x0
	.amdhsa_kernel _ZN7rocprim17ROCPRIM_400000_NS6detail17trampoline_kernelINS0_14default_configENS1_22reduce_config_selectorIN6thrust23THRUST_200600_302600_NS5tupleIblNS6_9null_typeES8_S8_S8_S8_S8_S8_S8_EEEEZNS1_11reduce_implILb1ES3_PS9_SC_S9_NS6_11hip_rocprim9__find_if7functorIS9_EEEE10hipError_tPvRmT1_T2_T3_mT4_P12ihipStream_tbEUlT_E1_NS1_11comp_targetILNS1_3genE2ELNS1_11target_archE906ELNS1_3gpuE6ELNS1_3repE0EEENS1_30default_config_static_selectorELNS0_4arch9wavefront6targetE0EEEvSK_
		.amdhsa_group_segment_fixed_size 0
		.amdhsa_private_segment_fixed_size 0
		.amdhsa_kernarg_size 56
		.amdhsa_user_sgpr_count 15
		.amdhsa_user_sgpr_dispatch_ptr 0
		.amdhsa_user_sgpr_queue_ptr 0
		.amdhsa_user_sgpr_kernarg_segment_ptr 1
		.amdhsa_user_sgpr_dispatch_id 0
		.amdhsa_user_sgpr_private_segment_size 0
		.amdhsa_wavefront_size32 1
		.amdhsa_uses_dynamic_stack 0
		.amdhsa_enable_private_segment 0
		.amdhsa_system_sgpr_workgroup_id_x 1
		.amdhsa_system_sgpr_workgroup_id_y 0
		.amdhsa_system_sgpr_workgroup_id_z 0
		.amdhsa_system_sgpr_workgroup_info 0
		.amdhsa_system_vgpr_workitem_id 0
		.amdhsa_next_free_vgpr 1
		.amdhsa_next_free_sgpr 1
		.amdhsa_reserve_vcc 0
		.amdhsa_float_round_mode_32 0
		.amdhsa_float_round_mode_16_64 0
		.amdhsa_float_denorm_mode_32 3
		.amdhsa_float_denorm_mode_16_64 3
		.amdhsa_dx10_clamp 1
		.amdhsa_ieee_mode 1
		.amdhsa_fp16_overflow 0
		.amdhsa_workgroup_processor_mode 1
		.amdhsa_memory_ordered 1
		.amdhsa_forward_progress 0
		.amdhsa_shared_vgpr_count 0
		.amdhsa_exception_fp_ieee_invalid_op 0
		.amdhsa_exception_fp_denorm_src 0
		.amdhsa_exception_fp_ieee_div_zero 0
		.amdhsa_exception_fp_ieee_overflow 0
		.amdhsa_exception_fp_ieee_underflow 0
		.amdhsa_exception_fp_ieee_inexact 0
		.amdhsa_exception_int_div_zero 0
	.end_amdhsa_kernel
	.section	.text._ZN7rocprim17ROCPRIM_400000_NS6detail17trampoline_kernelINS0_14default_configENS1_22reduce_config_selectorIN6thrust23THRUST_200600_302600_NS5tupleIblNS6_9null_typeES8_S8_S8_S8_S8_S8_S8_EEEEZNS1_11reduce_implILb1ES3_PS9_SC_S9_NS6_11hip_rocprim9__find_if7functorIS9_EEEE10hipError_tPvRmT1_T2_T3_mT4_P12ihipStream_tbEUlT_E1_NS1_11comp_targetILNS1_3genE2ELNS1_11target_archE906ELNS1_3gpuE6ELNS1_3repE0EEENS1_30default_config_static_selectorELNS0_4arch9wavefront6targetE0EEEvSK_,"axG",@progbits,_ZN7rocprim17ROCPRIM_400000_NS6detail17trampoline_kernelINS0_14default_configENS1_22reduce_config_selectorIN6thrust23THRUST_200600_302600_NS5tupleIblNS6_9null_typeES8_S8_S8_S8_S8_S8_S8_EEEEZNS1_11reduce_implILb1ES3_PS9_SC_S9_NS6_11hip_rocprim9__find_if7functorIS9_EEEE10hipError_tPvRmT1_T2_T3_mT4_P12ihipStream_tbEUlT_E1_NS1_11comp_targetILNS1_3genE2ELNS1_11target_archE906ELNS1_3gpuE6ELNS1_3repE0EEENS1_30default_config_static_selectorELNS0_4arch9wavefront6targetE0EEEvSK_,comdat
.Lfunc_end421:
	.size	_ZN7rocprim17ROCPRIM_400000_NS6detail17trampoline_kernelINS0_14default_configENS1_22reduce_config_selectorIN6thrust23THRUST_200600_302600_NS5tupleIblNS6_9null_typeES8_S8_S8_S8_S8_S8_S8_EEEEZNS1_11reduce_implILb1ES3_PS9_SC_S9_NS6_11hip_rocprim9__find_if7functorIS9_EEEE10hipError_tPvRmT1_T2_T3_mT4_P12ihipStream_tbEUlT_E1_NS1_11comp_targetILNS1_3genE2ELNS1_11target_archE906ELNS1_3gpuE6ELNS1_3repE0EEENS1_30default_config_static_selectorELNS0_4arch9wavefront6targetE0EEEvSK_, .Lfunc_end421-_ZN7rocprim17ROCPRIM_400000_NS6detail17trampoline_kernelINS0_14default_configENS1_22reduce_config_selectorIN6thrust23THRUST_200600_302600_NS5tupleIblNS6_9null_typeES8_S8_S8_S8_S8_S8_S8_EEEEZNS1_11reduce_implILb1ES3_PS9_SC_S9_NS6_11hip_rocprim9__find_if7functorIS9_EEEE10hipError_tPvRmT1_T2_T3_mT4_P12ihipStream_tbEUlT_E1_NS1_11comp_targetILNS1_3genE2ELNS1_11target_archE906ELNS1_3gpuE6ELNS1_3repE0EEENS1_30default_config_static_selectorELNS0_4arch9wavefront6targetE0EEEvSK_
                                        ; -- End function
	.section	.AMDGPU.csdata,"",@progbits
; Kernel info:
; codeLenInByte = 0
; NumSgprs: 0
; NumVgprs: 0
; ScratchSize: 0
; MemoryBound: 0
; FloatMode: 240
; IeeeMode: 1
; LDSByteSize: 0 bytes/workgroup (compile time only)
; SGPRBlocks: 0
; VGPRBlocks: 0
; NumSGPRsForWavesPerEU: 1
; NumVGPRsForWavesPerEU: 1
; Occupancy: 16
; WaveLimiterHint : 0
; COMPUTE_PGM_RSRC2:SCRATCH_EN: 0
; COMPUTE_PGM_RSRC2:USER_SGPR: 15
; COMPUTE_PGM_RSRC2:TRAP_HANDLER: 0
; COMPUTE_PGM_RSRC2:TGID_X_EN: 1
; COMPUTE_PGM_RSRC2:TGID_Y_EN: 0
; COMPUTE_PGM_RSRC2:TGID_Z_EN: 0
; COMPUTE_PGM_RSRC2:TIDIG_COMP_CNT: 0
	.section	.text._ZN7rocprim17ROCPRIM_400000_NS6detail17trampoline_kernelINS0_14default_configENS1_22reduce_config_selectorIN6thrust23THRUST_200600_302600_NS5tupleIblNS6_9null_typeES8_S8_S8_S8_S8_S8_S8_EEEEZNS1_11reduce_implILb1ES3_PS9_SC_S9_NS6_11hip_rocprim9__find_if7functorIS9_EEEE10hipError_tPvRmT1_T2_T3_mT4_P12ihipStream_tbEUlT_E1_NS1_11comp_targetILNS1_3genE10ELNS1_11target_archE1201ELNS1_3gpuE5ELNS1_3repE0EEENS1_30default_config_static_selectorELNS0_4arch9wavefront6targetE0EEEvSK_,"axG",@progbits,_ZN7rocprim17ROCPRIM_400000_NS6detail17trampoline_kernelINS0_14default_configENS1_22reduce_config_selectorIN6thrust23THRUST_200600_302600_NS5tupleIblNS6_9null_typeES8_S8_S8_S8_S8_S8_S8_EEEEZNS1_11reduce_implILb1ES3_PS9_SC_S9_NS6_11hip_rocprim9__find_if7functorIS9_EEEE10hipError_tPvRmT1_T2_T3_mT4_P12ihipStream_tbEUlT_E1_NS1_11comp_targetILNS1_3genE10ELNS1_11target_archE1201ELNS1_3gpuE5ELNS1_3repE0EEENS1_30default_config_static_selectorELNS0_4arch9wavefront6targetE0EEEvSK_,comdat
	.protected	_ZN7rocprim17ROCPRIM_400000_NS6detail17trampoline_kernelINS0_14default_configENS1_22reduce_config_selectorIN6thrust23THRUST_200600_302600_NS5tupleIblNS6_9null_typeES8_S8_S8_S8_S8_S8_S8_EEEEZNS1_11reduce_implILb1ES3_PS9_SC_S9_NS6_11hip_rocprim9__find_if7functorIS9_EEEE10hipError_tPvRmT1_T2_T3_mT4_P12ihipStream_tbEUlT_E1_NS1_11comp_targetILNS1_3genE10ELNS1_11target_archE1201ELNS1_3gpuE5ELNS1_3repE0EEENS1_30default_config_static_selectorELNS0_4arch9wavefront6targetE0EEEvSK_ ; -- Begin function _ZN7rocprim17ROCPRIM_400000_NS6detail17trampoline_kernelINS0_14default_configENS1_22reduce_config_selectorIN6thrust23THRUST_200600_302600_NS5tupleIblNS6_9null_typeES8_S8_S8_S8_S8_S8_S8_EEEEZNS1_11reduce_implILb1ES3_PS9_SC_S9_NS6_11hip_rocprim9__find_if7functorIS9_EEEE10hipError_tPvRmT1_T2_T3_mT4_P12ihipStream_tbEUlT_E1_NS1_11comp_targetILNS1_3genE10ELNS1_11target_archE1201ELNS1_3gpuE5ELNS1_3repE0EEENS1_30default_config_static_selectorELNS0_4arch9wavefront6targetE0EEEvSK_
	.globl	_ZN7rocprim17ROCPRIM_400000_NS6detail17trampoline_kernelINS0_14default_configENS1_22reduce_config_selectorIN6thrust23THRUST_200600_302600_NS5tupleIblNS6_9null_typeES8_S8_S8_S8_S8_S8_S8_EEEEZNS1_11reduce_implILb1ES3_PS9_SC_S9_NS6_11hip_rocprim9__find_if7functorIS9_EEEE10hipError_tPvRmT1_T2_T3_mT4_P12ihipStream_tbEUlT_E1_NS1_11comp_targetILNS1_3genE10ELNS1_11target_archE1201ELNS1_3gpuE5ELNS1_3repE0EEENS1_30default_config_static_selectorELNS0_4arch9wavefront6targetE0EEEvSK_
	.p2align	8
	.type	_ZN7rocprim17ROCPRIM_400000_NS6detail17trampoline_kernelINS0_14default_configENS1_22reduce_config_selectorIN6thrust23THRUST_200600_302600_NS5tupleIblNS6_9null_typeES8_S8_S8_S8_S8_S8_S8_EEEEZNS1_11reduce_implILb1ES3_PS9_SC_S9_NS6_11hip_rocprim9__find_if7functorIS9_EEEE10hipError_tPvRmT1_T2_T3_mT4_P12ihipStream_tbEUlT_E1_NS1_11comp_targetILNS1_3genE10ELNS1_11target_archE1201ELNS1_3gpuE5ELNS1_3repE0EEENS1_30default_config_static_selectorELNS0_4arch9wavefront6targetE0EEEvSK_,@function
_ZN7rocprim17ROCPRIM_400000_NS6detail17trampoline_kernelINS0_14default_configENS1_22reduce_config_selectorIN6thrust23THRUST_200600_302600_NS5tupleIblNS6_9null_typeES8_S8_S8_S8_S8_S8_S8_EEEEZNS1_11reduce_implILb1ES3_PS9_SC_S9_NS6_11hip_rocprim9__find_if7functorIS9_EEEE10hipError_tPvRmT1_T2_T3_mT4_P12ihipStream_tbEUlT_E1_NS1_11comp_targetILNS1_3genE10ELNS1_11target_archE1201ELNS1_3gpuE5ELNS1_3repE0EEENS1_30default_config_static_selectorELNS0_4arch9wavefront6targetE0EEEvSK_: ; @_ZN7rocprim17ROCPRIM_400000_NS6detail17trampoline_kernelINS0_14default_configENS1_22reduce_config_selectorIN6thrust23THRUST_200600_302600_NS5tupleIblNS6_9null_typeES8_S8_S8_S8_S8_S8_S8_EEEEZNS1_11reduce_implILb1ES3_PS9_SC_S9_NS6_11hip_rocprim9__find_if7functorIS9_EEEE10hipError_tPvRmT1_T2_T3_mT4_P12ihipStream_tbEUlT_E1_NS1_11comp_targetILNS1_3genE10ELNS1_11target_archE1201ELNS1_3gpuE5ELNS1_3repE0EEENS1_30default_config_static_selectorELNS0_4arch9wavefront6targetE0EEEvSK_
; %bb.0:
	.section	.rodata,"a",@progbits
	.p2align	6, 0x0
	.amdhsa_kernel _ZN7rocprim17ROCPRIM_400000_NS6detail17trampoline_kernelINS0_14default_configENS1_22reduce_config_selectorIN6thrust23THRUST_200600_302600_NS5tupleIblNS6_9null_typeES8_S8_S8_S8_S8_S8_S8_EEEEZNS1_11reduce_implILb1ES3_PS9_SC_S9_NS6_11hip_rocprim9__find_if7functorIS9_EEEE10hipError_tPvRmT1_T2_T3_mT4_P12ihipStream_tbEUlT_E1_NS1_11comp_targetILNS1_3genE10ELNS1_11target_archE1201ELNS1_3gpuE5ELNS1_3repE0EEENS1_30default_config_static_selectorELNS0_4arch9wavefront6targetE0EEEvSK_
		.amdhsa_group_segment_fixed_size 0
		.amdhsa_private_segment_fixed_size 0
		.amdhsa_kernarg_size 56
		.amdhsa_user_sgpr_count 15
		.amdhsa_user_sgpr_dispatch_ptr 0
		.amdhsa_user_sgpr_queue_ptr 0
		.amdhsa_user_sgpr_kernarg_segment_ptr 1
		.amdhsa_user_sgpr_dispatch_id 0
		.amdhsa_user_sgpr_private_segment_size 0
		.amdhsa_wavefront_size32 1
		.amdhsa_uses_dynamic_stack 0
		.amdhsa_enable_private_segment 0
		.amdhsa_system_sgpr_workgroup_id_x 1
		.amdhsa_system_sgpr_workgroup_id_y 0
		.amdhsa_system_sgpr_workgroup_id_z 0
		.amdhsa_system_sgpr_workgroup_info 0
		.amdhsa_system_vgpr_workitem_id 0
		.amdhsa_next_free_vgpr 1
		.amdhsa_next_free_sgpr 1
		.amdhsa_reserve_vcc 0
		.amdhsa_float_round_mode_32 0
		.amdhsa_float_round_mode_16_64 0
		.amdhsa_float_denorm_mode_32 3
		.amdhsa_float_denorm_mode_16_64 3
		.amdhsa_dx10_clamp 1
		.amdhsa_ieee_mode 1
		.amdhsa_fp16_overflow 0
		.amdhsa_workgroup_processor_mode 1
		.amdhsa_memory_ordered 1
		.amdhsa_forward_progress 0
		.amdhsa_shared_vgpr_count 0
		.amdhsa_exception_fp_ieee_invalid_op 0
		.amdhsa_exception_fp_denorm_src 0
		.amdhsa_exception_fp_ieee_div_zero 0
		.amdhsa_exception_fp_ieee_overflow 0
		.amdhsa_exception_fp_ieee_underflow 0
		.amdhsa_exception_fp_ieee_inexact 0
		.amdhsa_exception_int_div_zero 0
	.end_amdhsa_kernel
	.section	.text._ZN7rocprim17ROCPRIM_400000_NS6detail17trampoline_kernelINS0_14default_configENS1_22reduce_config_selectorIN6thrust23THRUST_200600_302600_NS5tupleIblNS6_9null_typeES8_S8_S8_S8_S8_S8_S8_EEEEZNS1_11reduce_implILb1ES3_PS9_SC_S9_NS6_11hip_rocprim9__find_if7functorIS9_EEEE10hipError_tPvRmT1_T2_T3_mT4_P12ihipStream_tbEUlT_E1_NS1_11comp_targetILNS1_3genE10ELNS1_11target_archE1201ELNS1_3gpuE5ELNS1_3repE0EEENS1_30default_config_static_selectorELNS0_4arch9wavefront6targetE0EEEvSK_,"axG",@progbits,_ZN7rocprim17ROCPRIM_400000_NS6detail17trampoline_kernelINS0_14default_configENS1_22reduce_config_selectorIN6thrust23THRUST_200600_302600_NS5tupleIblNS6_9null_typeES8_S8_S8_S8_S8_S8_S8_EEEEZNS1_11reduce_implILb1ES3_PS9_SC_S9_NS6_11hip_rocprim9__find_if7functorIS9_EEEE10hipError_tPvRmT1_T2_T3_mT4_P12ihipStream_tbEUlT_E1_NS1_11comp_targetILNS1_3genE10ELNS1_11target_archE1201ELNS1_3gpuE5ELNS1_3repE0EEENS1_30default_config_static_selectorELNS0_4arch9wavefront6targetE0EEEvSK_,comdat
.Lfunc_end422:
	.size	_ZN7rocprim17ROCPRIM_400000_NS6detail17trampoline_kernelINS0_14default_configENS1_22reduce_config_selectorIN6thrust23THRUST_200600_302600_NS5tupleIblNS6_9null_typeES8_S8_S8_S8_S8_S8_S8_EEEEZNS1_11reduce_implILb1ES3_PS9_SC_S9_NS6_11hip_rocprim9__find_if7functorIS9_EEEE10hipError_tPvRmT1_T2_T3_mT4_P12ihipStream_tbEUlT_E1_NS1_11comp_targetILNS1_3genE10ELNS1_11target_archE1201ELNS1_3gpuE5ELNS1_3repE0EEENS1_30default_config_static_selectorELNS0_4arch9wavefront6targetE0EEEvSK_, .Lfunc_end422-_ZN7rocprim17ROCPRIM_400000_NS6detail17trampoline_kernelINS0_14default_configENS1_22reduce_config_selectorIN6thrust23THRUST_200600_302600_NS5tupleIblNS6_9null_typeES8_S8_S8_S8_S8_S8_S8_EEEEZNS1_11reduce_implILb1ES3_PS9_SC_S9_NS6_11hip_rocprim9__find_if7functorIS9_EEEE10hipError_tPvRmT1_T2_T3_mT4_P12ihipStream_tbEUlT_E1_NS1_11comp_targetILNS1_3genE10ELNS1_11target_archE1201ELNS1_3gpuE5ELNS1_3repE0EEENS1_30default_config_static_selectorELNS0_4arch9wavefront6targetE0EEEvSK_
                                        ; -- End function
	.section	.AMDGPU.csdata,"",@progbits
; Kernel info:
; codeLenInByte = 0
; NumSgprs: 0
; NumVgprs: 0
; ScratchSize: 0
; MemoryBound: 0
; FloatMode: 240
; IeeeMode: 1
; LDSByteSize: 0 bytes/workgroup (compile time only)
; SGPRBlocks: 0
; VGPRBlocks: 0
; NumSGPRsForWavesPerEU: 1
; NumVGPRsForWavesPerEU: 1
; Occupancy: 16
; WaveLimiterHint : 0
; COMPUTE_PGM_RSRC2:SCRATCH_EN: 0
; COMPUTE_PGM_RSRC2:USER_SGPR: 15
; COMPUTE_PGM_RSRC2:TRAP_HANDLER: 0
; COMPUTE_PGM_RSRC2:TGID_X_EN: 1
; COMPUTE_PGM_RSRC2:TGID_Y_EN: 0
; COMPUTE_PGM_RSRC2:TGID_Z_EN: 0
; COMPUTE_PGM_RSRC2:TIDIG_COMP_CNT: 0
	.section	.text._ZN7rocprim17ROCPRIM_400000_NS6detail17trampoline_kernelINS0_14default_configENS1_22reduce_config_selectorIN6thrust23THRUST_200600_302600_NS5tupleIblNS6_9null_typeES8_S8_S8_S8_S8_S8_S8_EEEEZNS1_11reduce_implILb1ES3_PS9_SC_S9_NS6_11hip_rocprim9__find_if7functorIS9_EEEE10hipError_tPvRmT1_T2_T3_mT4_P12ihipStream_tbEUlT_E1_NS1_11comp_targetILNS1_3genE10ELNS1_11target_archE1200ELNS1_3gpuE4ELNS1_3repE0EEENS1_30default_config_static_selectorELNS0_4arch9wavefront6targetE0EEEvSK_,"axG",@progbits,_ZN7rocprim17ROCPRIM_400000_NS6detail17trampoline_kernelINS0_14default_configENS1_22reduce_config_selectorIN6thrust23THRUST_200600_302600_NS5tupleIblNS6_9null_typeES8_S8_S8_S8_S8_S8_S8_EEEEZNS1_11reduce_implILb1ES3_PS9_SC_S9_NS6_11hip_rocprim9__find_if7functorIS9_EEEE10hipError_tPvRmT1_T2_T3_mT4_P12ihipStream_tbEUlT_E1_NS1_11comp_targetILNS1_3genE10ELNS1_11target_archE1200ELNS1_3gpuE4ELNS1_3repE0EEENS1_30default_config_static_selectorELNS0_4arch9wavefront6targetE0EEEvSK_,comdat
	.protected	_ZN7rocprim17ROCPRIM_400000_NS6detail17trampoline_kernelINS0_14default_configENS1_22reduce_config_selectorIN6thrust23THRUST_200600_302600_NS5tupleIblNS6_9null_typeES8_S8_S8_S8_S8_S8_S8_EEEEZNS1_11reduce_implILb1ES3_PS9_SC_S9_NS6_11hip_rocprim9__find_if7functorIS9_EEEE10hipError_tPvRmT1_T2_T3_mT4_P12ihipStream_tbEUlT_E1_NS1_11comp_targetILNS1_3genE10ELNS1_11target_archE1200ELNS1_3gpuE4ELNS1_3repE0EEENS1_30default_config_static_selectorELNS0_4arch9wavefront6targetE0EEEvSK_ ; -- Begin function _ZN7rocprim17ROCPRIM_400000_NS6detail17trampoline_kernelINS0_14default_configENS1_22reduce_config_selectorIN6thrust23THRUST_200600_302600_NS5tupleIblNS6_9null_typeES8_S8_S8_S8_S8_S8_S8_EEEEZNS1_11reduce_implILb1ES3_PS9_SC_S9_NS6_11hip_rocprim9__find_if7functorIS9_EEEE10hipError_tPvRmT1_T2_T3_mT4_P12ihipStream_tbEUlT_E1_NS1_11comp_targetILNS1_3genE10ELNS1_11target_archE1200ELNS1_3gpuE4ELNS1_3repE0EEENS1_30default_config_static_selectorELNS0_4arch9wavefront6targetE0EEEvSK_
	.globl	_ZN7rocprim17ROCPRIM_400000_NS6detail17trampoline_kernelINS0_14default_configENS1_22reduce_config_selectorIN6thrust23THRUST_200600_302600_NS5tupleIblNS6_9null_typeES8_S8_S8_S8_S8_S8_S8_EEEEZNS1_11reduce_implILb1ES3_PS9_SC_S9_NS6_11hip_rocprim9__find_if7functorIS9_EEEE10hipError_tPvRmT1_T2_T3_mT4_P12ihipStream_tbEUlT_E1_NS1_11comp_targetILNS1_3genE10ELNS1_11target_archE1200ELNS1_3gpuE4ELNS1_3repE0EEENS1_30default_config_static_selectorELNS0_4arch9wavefront6targetE0EEEvSK_
	.p2align	8
	.type	_ZN7rocprim17ROCPRIM_400000_NS6detail17trampoline_kernelINS0_14default_configENS1_22reduce_config_selectorIN6thrust23THRUST_200600_302600_NS5tupleIblNS6_9null_typeES8_S8_S8_S8_S8_S8_S8_EEEEZNS1_11reduce_implILb1ES3_PS9_SC_S9_NS6_11hip_rocprim9__find_if7functorIS9_EEEE10hipError_tPvRmT1_T2_T3_mT4_P12ihipStream_tbEUlT_E1_NS1_11comp_targetILNS1_3genE10ELNS1_11target_archE1200ELNS1_3gpuE4ELNS1_3repE0EEENS1_30default_config_static_selectorELNS0_4arch9wavefront6targetE0EEEvSK_,@function
_ZN7rocprim17ROCPRIM_400000_NS6detail17trampoline_kernelINS0_14default_configENS1_22reduce_config_selectorIN6thrust23THRUST_200600_302600_NS5tupleIblNS6_9null_typeES8_S8_S8_S8_S8_S8_S8_EEEEZNS1_11reduce_implILb1ES3_PS9_SC_S9_NS6_11hip_rocprim9__find_if7functorIS9_EEEE10hipError_tPvRmT1_T2_T3_mT4_P12ihipStream_tbEUlT_E1_NS1_11comp_targetILNS1_3genE10ELNS1_11target_archE1200ELNS1_3gpuE4ELNS1_3repE0EEENS1_30default_config_static_selectorELNS0_4arch9wavefront6targetE0EEEvSK_: ; @_ZN7rocprim17ROCPRIM_400000_NS6detail17trampoline_kernelINS0_14default_configENS1_22reduce_config_selectorIN6thrust23THRUST_200600_302600_NS5tupleIblNS6_9null_typeES8_S8_S8_S8_S8_S8_S8_EEEEZNS1_11reduce_implILb1ES3_PS9_SC_S9_NS6_11hip_rocprim9__find_if7functorIS9_EEEE10hipError_tPvRmT1_T2_T3_mT4_P12ihipStream_tbEUlT_E1_NS1_11comp_targetILNS1_3genE10ELNS1_11target_archE1200ELNS1_3gpuE4ELNS1_3repE0EEENS1_30default_config_static_selectorELNS0_4arch9wavefront6targetE0EEEvSK_
; %bb.0:
	.section	.rodata,"a",@progbits
	.p2align	6, 0x0
	.amdhsa_kernel _ZN7rocprim17ROCPRIM_400000_NS6detail17trampoline_kernelINS0_14default_configENS1_22reduce_config_selectorIN6thrust23THRUST_200600_302600_NS5tupleIblNS6_9null_typeES8_S8_S8_S8_S8_S8_S8_EEEEZNS1_11reduce_implILb1ES3_PS9_SC_S9_NS6_11hip_rocprim9__find_if7functorIS9_EEEE10hipError_tPvRmT1_T2_T3_mT4_P12ihipStream_tbEUlT_E1_NS1_11comp_targetILNS1_3genE10ELNS1_11target_archE1200ELNS1_3gpuE4ELNS1_3repE0EEENS1_30default_config_static_selectorELNS0_4arch9wavefront6targetE0EEEvSK_
		.amdhsa_group_segment_fixed_size 0
		.amdhsa_private_segment_fixed_size 0
		.amdhsa_kernarg_size 56
		.amdhsa_user_sgpr_count 15
		.amdhsa_user_sgpr_dispatch_ptr 0
		.amdhsa_user_sgpr_queue_ptr 0
		.amdhsa_user_sgpr_kernarg_segment_ptr 1
		.amdhsa_user_sgpr_dispatch_id 0
		.amdhsa_user_sgpr_private_segment_size 0
		.amdhsa_wavefront_size32 1
		.amdhsa_uses_dynamic_stack 0
		.amdhsa_enable_private_segment 0
		.amdhsa_system_sgpr_workgroup_id_x 1
		.amdhsa_system_sgpr_workgroup_id_y 0
		.amdhsa_system_sgpr_workgroup_id_z 0
		.amdhsa_system_sgpr_workgroup_info 0
		.amdhsa_system_vgpr_workitem_id 0
		.amdhsa_next_free_vgpr 1
		.amdhsa_next_free_sgpr 1
		.amdhsa_reserve_vcc 0
		.amdhsa_float_round_mode_32 0
		.amdhsa_float_round_mode_16_64 0
		.amdhsa_float_denorm_mode_32 3
		.amdhsa_float_denorm_mode_16_64 3
		.amdhsa_dx10_clamp 1
		.amdhsa_ieee_mode 1
		.amdhsa_fp16_overflow 0
		.amdhsa_workgroup_processor_mode 1
		.amdhsa_memory_ordered 1
		.amdhsa_forward_progress 0
		.amdhsa_shared_vgpr_count 0
		.amdhsa_exception_fp_ieee_invalid_op 0
		.amdhsa_exception_fp_denorm_src 0
		.amdhsa_exception_fp_ieee_div_zero 0
		.amdhsa_exception_fp_ieee_overflow 0
		.amdhsa_exception_fp_ieee_underflow 0
		.amdhsa_exception_fp_ieee_inexact 0
		.amdhsa_exception_int_div_zero 0
	.end_amdhsa_kernel
	.section	.text._ZN7rocprim17ROCPRIM_400000_NS6detail17trampoline_kernelINS0_14default_configENS1_22reduce_config_selectorIN6thrust23THRUST_200600_302600_NS5tupleIblNS6_9null_typeES8_S8_S8_S8_S8_S8_S8_EEEEZNS1_11reduce_implILb1ES3_PS9_SC_S9_NS6_11hip_rocprim9__find_if7functorIS9_EEEE10hipError_tPvRmT1_T2_T3_mT4_P12ihipStream_tbEUlT_E1_NS1_11comp_targetILNS1_3genE10ELNS1_11target_archE1200ELNS1_3gpuE4ELNS1_3repE0EEENS1_30default_config_static_selectorELNS0_4arch9wavefront6targetE0EEEvSK_,"axG",@progbits,_ZN7rocprim17ROCPRIM_400000_NS6detail17trampoline_kernelINS0_14default_configENS1_22reduce_config_selectorIN6thrust23THRUST_200600_302600_NS5tupleIblNS6_9null_typeES8_S8_S8_S8_S8_S8_S8_EEEEZNS1_11reduce_implILb1ES3_PS9_SC_S9_NS6_11hip_rocprim9__find_if7functorIS9_EEEE10hipError_tPvRmT1_T2_T3_mT4_P12ihipStream_tbEUlT_E1_NS1_11comp_targetILNS1_3genE10ELNS1_11target_archE1200ELNS1_3gpuE4ELNS1_3repE0EEENS1_30default_config_static_selectorELNS0_4arch9wavefront6targetE0EEEvSK_,comdat
.Lfunc_end423:
	.size	_ZN7rocprim17ROCPRIM_400000_NS6detail17trampoline_kernelINS0_14default_configENS1_22reduce_config_selectorIN6thrust23THRUST_200600_302600_NS5tupleIblNS6_9null_typeES8_S8_S8_S8_S8_S8_S8_EEEEZNS1_11reduce_implILb1ES3_PS9_SC_S9_NS6_11hip_rocprim9__find_if7functorIS9_EEEE10hipError_tPvRmT1_T2_T3_mT4_P12ihipStream_tbEUlT_E1_NS1_11comp_targetILNS1_3genE10ELNS1_11target_archE1200ELNS1_3gpuE4ELNS1_3repE0EEENS1_30default_config_static_selectorELNS0_4arch9wavefront6targetE0EEEvSK_, .Lfunc_end423-_ZN7rocprim17ROCPRIM_400000_NS6detail17trampoline_kernelINS0_14default_configENS1_22reduce_config_selectorIN6thrust23THRUST_200600_302600_NS5tupleIblNS6_9null_typeES8_S8_S8_S8_S8_S8_S8_EEEEZNS1_11reduce_implILb1ES3_PS9_SC_S9_NS6_11hip_rocprim9__find_if7functorIS9_EEEE10hipError_tPvRmT1_T2_T3_mT4_P12ihipStream_tbEUlT_E1_NS1_11comp_targetILNS1_3genE10ELNS1_11target_archE1200ELNS1_3gpuE4ELNS1_3repE0EEENS1_30default_config_static_selectorELNS0_4arch9wavefront6targetE0EEEvSK_
                                        ; -- End function
	.section	.AMDGPU.csdata,"",@progbits
; Kernel info:
; codeLenInByte = 0
; NumSgprs: 0
; NumVgprs: 0
; ScratchSize: 0
; MemoryBound: 0
; FloatMode: 240
; IeeeMode: 1
; LDSByteSize: 0 bytes/workgroup (compile time only)
; SGPRBlocks: 0
; VGPRBlocks: 0
; NumSGPRsForWavesPerEU: 1
; NumVGPRsForWavesPerEU: 1
; Occupancy: 16
; WaveLimiterHint : 0
; COMPUTE_PGM_RSRC2:SCRATCH_EN: 0
; COMPUTE_PGM_RSRC2:USER_SGPR: 15
; COMPUTE_PGM_RSRC2:TRAP_HANDLER: 0
; COMPUTE_PGM_RSRC2:TGID_X_EN: 1
; COMPUTE_PGM_RSRC2:TGID_Y_EN: 0
; COMPUTE_PGM_RSRC2:TGID_Z_EN: 0
; COMPUTE_PGM_RSRC2:TIDIG_COMP_CNT: 0
	.section	.text._ZN7rocprim17ROCPRIM_400000_NS6detail17trampoline_kernelINS0_14default_configENS1_22reduce_config_selectorIN6thrust23THRUST_200600_302600_NS5tupleIblNS6_9null_typeES8_S8_S8_S8_S8_S8_S8_EEEEZNS1_11reduce_implILb1ES3_PS9_SC_S9_NS6_11hip_rocprim9__find_if7functorIS9_EEEE10hipError_tPvRmT1_T2_T3_mT4_P12ihipStream_tbEUlT_E1_NS1_11comp_targetILNS1_3genE9ELNS1_11target_archE1100ELNS1_3gpuE3ELNS1_3repE0EEENS1_30default_config_static_selectorELNS0_4arch9wavefront6targetE0EEEvSK_,"axG",@progbits,_ZN7rocprim17ROCPRIM_400000_NS6detail17trampoline_kernelINS0_14default_configENS1_22reduce_config_selectorIN6thrust23THRUST_200600_302600_NS5tupleIblNS6_9null_typeES8_S8_S8_S8_S8_S8_S8_EEEEZNS1_11reduce_implILb1ES3_PS9_SC_S9_NS6_11hip_rocprim9__find_if7functorIS9_EEEE10hipError_tPvRmT1_T2_T3_mT4_P12ihipStream_tbEUlT_E1_NS1_11comp_targetILNS1_3genE9ELNS1_11target_archE1100ELNS1_3gpuE3ELNS1_3repE0EEENS1_30default_config_static_selectorELNS0_4arch9wavefront6targetE0EEEvSK_,comdat
	.protected	_ZN7rocprim17ROCPRIM_400000_NS6detail17trampoline_kernelINS0_14default_configENS1_22reduce_config_selectorIN6thrust23THRUST_200600_302600_NS5tupleIblNS6_9null_typeES8_S8_S8_S8_S8_S8_S8_EEEEZNS1_11reduce_implILb1ES3_PS9_SC_S9_NS6_11hip_rocprim9__find_if7functorIS9_EEEE10hipError_tPvRmT1_T2_T3_mT4_P12ihipStream_tbEUlT_E1_NS1_11comp_targetILNS1_3genE9ELNS1_11target_archE1100ELNS1_3gpuE3ELNS1_3repE0EEENS1_30default_config_static_selectorELNS0_4arch9wavefront6targetE0EEEvSK_ ; -- Begin function _ZN7rocprim17ROCPRIM_400000_NS6detail17trampoline_kernelINS0_14default_configENS1_22reduce_config_selectorIN6thrust23THRUST_200600_302600_NS5tupleIblNS6_9null_typeES8_S8_S8_S8_S8_S8_S8_EEEEZNS1_11reduce_implILb1ES3_PS9_SC_S9_NS6_11hip_rocprim9__find_if7functorIS9_EEEE10hipError_tPvRmT1_T2_T3_mT4_P12ihipStream_tbEUlT_E1_NS1_11comp_targetILNS1_3genE9ELNS1_11target_archE1100ELNS1_3gpuE3ELNS1_3repE0EEENS1_30default_config_static_selectorELNS0_4arch9wavefront6targetE0EEEvSK_
	.globl	_ZN7rocprim17ROCPRIM_400000_NS6detail17trampoline_kernelINS0_14default_configENS1_22reduce_config_selectorIN6thrust23THRUST_200600_302600_NS5tupleIblNS6_9null_typeES8_S8_S8_S8_S8_S8_S8_EEEEZNS1_11reduce_implILb1ES3_PS9_SC_S9_NS6_11hip_rocprim9__find_if7functorIS9_EEEE10hipError_tPvRmT1_T2_T3_mT4_P12ihipStream_tbEUlT_E1_NS1_11comp_targetILNS1_3genE9ELNS1_11target_archE1100ELNS1_3gpuE3ELNS1_3repE0EEENS1_30default_config_static_selectorELNS0_4arch9wavefront6targetE0EEEvSK_
	.p2align	8
	.type	_ZN7rocprim17ROCPRIM_400000_NS6detail17trampoline_kernelINS0_14default_configENS1_22reduce_config_selectorIN6thrust23THRUST_200600_302600_NS5tupleIblNS6_9null_typeES8_S8_S8_S8_S8_S8_S8_EEEEZNS1_11reduce_implILb1ES3_PS9_SC_S9_NS6_11hip_rocprim9__find_if7functorIS9_EEEE10hipError_tPvRmT1_T2_T3_mT4_P12ihipStream_tbEUlT_E1_NS1_11comp_targetILNS1_3genE9ELNS1_11target_archE1100ELNS1_3gpuE3ELNS1_3repE0EEENS1_30default_config_static_selectorELNS0_4arch9wavefront6targetE0EEEvSK_,@function
_ZN7rocprim17ROCPRIM_400000_NS6detail17trampoline_kernelINS0_14default_configENS1_22reduce_config_selectorIN6thrust23THRUST_200600_302600_NS5tupleIblNS6_9null_typeES8_S8_S8_S8_S8_S8_S8_EEEEZNS1_11reduce_implILb1ES3_PS9_SC_S9_NS6_11hip_rocprim9__find_if7functorIS9_EEEE10hipError_tPvRmT1_T2_T3_mT4_P12ihipStream_tbEUlT_E1_NS1_11comp_targetILNS1_3genE9ELNS1_11target_archE1100ELNS1_3gpuE3ELNS1_3repE0EEENS1_30default_config_static_selectorELNS0_4arch9wavefront6targetE0EEEvSK_: ; @_ZN7rocprim17ROCPRIM_400000_NS6detail17trampoline_kernelINS0_14default_configENS1_22reduce_config_selectorIN6thrust23THRUST_200600_302600_NS5tupleIblNS6_9null_typeES8_S8_S8_S8_S8_S8_S8_EEEEZNS1_11reduce_implILb1ES3_PS9_SC_S9_NS6_11hip_rocprim9__find_if7functorIS9_EEEE10hipError_tPvRmT1_T2_T3_mT4_P12ihipStream_tbEUlT_E1_NS1_11comp_targetILNS1_3genE9ELNS1_11target_archE1100ELNS1_3gpuE3ELNS1_3repE0EEENS1_30default_config_static_selectorELNS0_4arch9wavefront6targetE0EEEvSK_
; %bb.0:
	s_mov_b32 s10, s15
	s_clause 0x3
	s_load_b32 s19, s[0:1], 0x4
	s_load_b128 s[12:15], s[0:1], 0x8
	s_load_b32 s18, s[0:1], 0x20
	s_load_b64 s[16:17], s[0:1], 0x28
	s_waitcnt lgkmcnt(0)
	s_cmp_lt_i32 s19, 4
	s_cbranch_scc1 .LBB424_21
; %bb.1:
	s_cmp_gt_i32 s19, 7
	s_cbranch_scc0 .LBB424_22
; %bb.2:
	s_cmp_eq_u32 s19, 8
	s_mov_b32 s20, 0
	s_cbranch_scc0 .LBB424_23
; %bb.3:
	s_mov_b32 s11, 0
	s_lshl_b32 s4, s10, 11
	s_mov_b32 s5, s11
	s_lshr_b64 s[6:7], s[14:15], 11
	s_lshl_b64 s[2:3], s[4:5], 4
	s_delay_alu instid0(SALU_CYCLE_1)
	s_add_u32 s8, s12, s2
	s_addc_u32 s9, s13, s3
	s_cmp_lg_u64 s[6:7], s[10:11]
	s_cbranch_scc0 .LBB424_44
; %bb.4:
	v_lshlrev_b32_e32 v7, 4, v0
	s_mov_b32 s3, exec_lo
	s_delay_alu instid0(VALU_DEP_1) | instskip(NEXT) | instid1(VALU_DEP_1)
	v_add_co_u32 v15, s2, s8, v7
	v_add_co_ci_u32_e64 v16, null, s9, 0, s2
	s_delay_alu instid0(VALU_DEP_2) | instskip(NEXT) | instid1(VALU_DEP_2)
	v_add_co_u32 v1, vcc_lo, 0x1000, v15
	v_add_co_ci_u32_e32 v2, vcc_lo, 0, v16, vcc_lo
	v_add_co_u32 v24, vcc_lo, v15, 0x2000
	v_add_co_ci_u32_e32 v25, vcc_lo, 0, v16, vcc_lo
	;; [unrolled: 2-line block ×5, first 2 shown]
	s_clause 0x3
	global_load_u8 v22, v7, s[8:9]
	global_load_b64 v[13:14], v[1:2], off offset:8
	global_load_b64 v[11:12], v[3:4], off offset:8
	;; [unrolled: 1-line block ×3, first 2 shown]
	v_add_co_u32 v1, vcc_lo, 0x4000, v15
	v_add_co_ci_u32_e32 v2, vcc_lo, 0, v16, vcc_lo
	v_add_co_u32 v3, vcc_lo, 0x5000, v15
	v_add_co_ci_u32_e32 v4, vcc_lo, 0, v16, vcc_lo
	;; [unrolled: 2-line block ×5, first 2 shown]
	s_clause 0xa
	global_load_u8 v23, v[24:25], off
	global_load_u8 v21, v[9:10], off offset:-4096
	global_load_u8 v20, v[9:10], off
	global_load_u8 v19, v[5:6], off offset:-4096
	global_load_u8 v18, v[5:6], off
	global_load_b64 v[9:10], v[1:2], off offset:8
	global_load_b64 v[5:6], v[3:4], off offset:8
	;; [unrolled: 1-line block ×3, first 2 shown]
	global_load_u8 v17, v[28:29], off
	global_load_u8 v24, v[24:25], off offset:-4096
	global_load_b64 v[1:2], v[28:29], off offset:8
	s_waitcnt vmcnt(14)
	v_and_b32_e32 v25, 1, v22
	s_delay_alu instid0(VALU_DEP_1)
	v_cmpx_eq_u32_e32 1, v25
	s_cbranch_execz .LBB424_6
; %bb.5:
	global_load_b64 v[15:16], v[15:16], off offset:8
	s_waitcnt vmcnt(2)
	v_and_b32_e32 v24, 1, v24
	s_delay_alu instid0(VALU_DEP_1) | instskip(NEXT) | instid1(VALU_DEP_1)
	v_cmp_eq_u32_e64 s2, 1, v24
	v_cndmask_b32_e64 v24, v22, 1, s2
	s_waitcnt vmcnt(0)
	v_cmp_lt_i64_e32 vcc_lo, v[13:14], v[15:16]
	v_cndmask_b32_e32 v14, v16, v14, vcc_lo
	s_and_b32 vcc_lo, s2, vcc_lo
	v_cndmask_b32_e32 v13, v15, v13, vcc_lo
	s_delay_alu instid0(VALU_DEP_2)
	v_cndmask_b32_e64 v14, v16, v14, s2
.LBB424_6:
	s_or_b32 exec_lo, exec_lo, s3
	s_waitcnt vmcnt(10)
	v_and_b32_e32 v15, 1, v23
	s_delay_alu instid0(VALU_DEP_2) | instskip(NEXT) | instid1(VALU_DEP_2)
	v_cmp_lt_i64_e32 vcc_lo, v[11:12], v[13:14]
	v_cmp_eq_u32_e64 s2, 1, v15
	s_waitcnt vmcnt(1)
	v_and_b32_e32 v15, 1, v24
	s_delay_alu instid0(VALU_DEP_2) | instskip(SKIP_1) | instid1(VALU_DEP_2)
	s_and_b32 vcc_lo, s2, vcc_lo
	v_cndmask_b32_e64 v16, v24, 1, s2
	v_cmp_eq_u32_e64 s2, 1, v15
	v_cndmask_b32_e32 v14, v14, v12, vcc_lo
	s_delay_alu instid0(VALU_DEP_2) | instskip(NEXT) | instid1(VALU_DEP_2)
	v_cndmask_b32_e64 v15, v23, v16, s2
	v_cndmask_b32_e64 v12, v12, v14, s2
	v_cndmask_b32_e32 v13, v13, v11, vcc_lo
	s_delay_alu instid0(VALU_DEP_1) | instskip(SKIP_1) | instid1(VALU_DEP_2)
	v_cndmask_b32_e64 v11, v11, v13, s2
	v_and_b32_e32 v13, 1, v21
	v_cmp_lt_i64_e32 vcc_lo, v[7:8], v[11:12]
	s_delay_alu instid0(VALU_DEP_2) | instskip(SKIP_1) | instid1(VALU_DEP_2)
	v_cmp_eq_u32_e64 s2, 1, v13
	v_and_b32_e32 v13, 1, v15
	v_cndmask_b32_e64 v14, v15, 1, s2
	s_and_b32 vcc_lo, s2, vcc_lo
	s_delay_alu instid0(VALU_DEP_2) | instskip(SKIP_1) | instid1(VALU_DEP_2)
	v_cmp_eq_u32_e64 s2, 1, v13
	v_dual_cndmask_b32 v11, v11, v7 :: v_dual_cndmask_b32 v12, v12, v8
	v_cndmask_b32_e64 v13, v21, v14, s2
	s_delay_alu instid0(VALU_DEP_2) | instskip(NEXT) | instid1(VALU_DEP_3)
	v_cndmask_b32_e64 v7, v7, v11, s2
	v_cndmask_b32_e64 v8, v8, v12, s2
	v_and_b32_e32 v11, 1, v20
	s_delay_alu instid0(VALU_DEP_2) | instskip(NEXT) | instid1(VALU_DEP_2)
	v_cmp_lt_i64_e32 vcc_lo, v[9:10], v[7:8]
	v_cmp_eq_u32_e64 s2, 1, v11
	v_and_b32_e32 v11, 1, v13
	s_delay_alu instid0(VALU_DEP_2) | instskip(SKIP_1) | instid1(VALU_DEP_2)
	s_and_b32 vcc_lo, s2, vcc_lo
	v_cndmask_b32_e64 v12, v13, 1, s2
	v_cmp_eq_u32_e64 s2, 1, v11
	v_dual_cndmask_b32 v7, v7, v9 :: v_dual_cndmask_b32 v8, v8, v10
	s_delay_alu instid0(VALU_DEP_2) | instskip(SKIP_1) | instid1(VALU_DEP_3)
	v_cndmask_b32_e64 v11, v20, v12, s2
	v_and_b32_e32 v12, 1, v19
	v_cndmask_b32_e64 v7, v9, v7, s2
	s_delay_alu instid0(VALU_DEP_4) | instskip(NEXT) | instid1(VALU_DEP_4)
	v_cndmask_b32_e64 v8, v10, v8, s2
	v_and_b32_e32 v9, 1, v11
	s_delay_alu instid0(VALU_DEP_4) | instskip(NEXT) | instid1(VALU_DEP_3)
	v_cmp_eq_u32_e32 vcc_lo, 1, v12
	v_cmp_lt_i64_e64 s2, v[5:6], v[7:8]
	s_delay_alu instid0(VALU_DEP_3) | instskip(SKIP_1) | instid1(VALU_DEP_3)
	v_cmp_eq_u32_e64 s3, 1, v9
	v_cndmask_b32_e64 v10, v11, 1, vcc_lo
	s_and_b32 vcc_lo, vcc_lo, s2
	v_dual_cndmask_b32 v7, v7, v5 :: v_dual_cndmask_b32 v8, v8, v6
	s_delay_alu instid0(VALU_DEP_2) | instskip(SKIP_1) | instid1(VALU_DEP_3)
	v_cndmask_b32_e64 v9, v19, v10, s3
	v_and_b32_e32 v10, 1, v18
	v_cndmask_b32_e64 v5, v5, v7, s3
	s_delay_alu instid0(VALU_DEP_4) | instskip(NEXT) | instid1(VALU_DEP_4)
	v_cndmask_b32_e64 v6, v6, v8, s3
	v_and_b32_e32 v11, 1, v9
	s_delay_alu instid0(VALU_DEP_4) | instskip(NEXT) | instid1(VALU_DEP_3)
	v_cmp_eq_u32_e32 vcc_lo, 1, v10
	v_cmp_lt_i64_e64 s3, v[3:4], v[5:6]
	s_delay_alu instid0(VALU_DEP_3) | instskip(SKIP_1) | instid1(VALU_DEP_3)
	v_cmp_eq_u32_e64 s2, 1, v11
	v_cndmask_b32_e64 v9, v9, 1, vcc_lo
	s_and_b32 vcc_lo, vcc_lo, s3
	s_delay_alu instid0(VALU_DEP_1) | instskip(SKIP_1) | instid1(VALU_DEP_2)
	v_cndmask_b32_e64 v7, v18, v9, s2
	v_dual_cndmask_b32 v5, v5, v3 :: v_dual_and_b32 v8, 1, v17
	v_dual_cndmask_b32 v6, v6, v4 :: v_dual_and_b32 v9, 1, v7
	s_delay_alu instid0(VALU_DEP_2) | instskip(NEXT) | instid1(VALU_DEP_3)
	v_cmp_eq_u32_e32 vcc_lo, 1, v8
	v_cndmask_b32_e64 v3, v3, v5, s2
	s_delay_alu instid0(VALU_DEP_3) | instskip(NEXT) | instid1(VALU_DEP_4)
	v_cndmask_b32_e64 v4, v4, v6, s2
	v_cmp_eq_u32_e64 s2, 1, v9
	v_cndmask_b32_e64 v7, v7, 1, vcc_lo
	s_waitcnt vmcnt(0)
	s_delay_alu instid0(VALU_DEP_3) | instskip(NEXT) | instid1(VALU_DEP_2)
	v_cmp_lt_i64_e64 s3, v[1:2], v[3:4]
	v_cndmask_b32_e64 v7, v17, v7, s2
	s_delay_alu instid0(VALU_DEP_2) | instskip(NEXT) | instid1(VALU_DEP_1)
	s_and_b32 vcc_lo, vcc_lo, s3
	v_and_b32_e32 v5, 0xff, v7
	v_dual_cndmask_b32 v3, v3, v1 :: v_dual_cndmask_b32 v4, v4, v2
	v_and_b32_e32 v7, 1, v7
	s_delay_alu instid0(VALU_DEP_3) | instskip(NEXT) | instid1(VALU_DEP_3)
	v_mov_b32_dpp v6, v5 quad_perm:[1,0,3,2] row_mask:0xf bank_mask:0xf
	v_cndmask_b32_e64 v1, v1, v3, s2
	s_delay_alu instid0(VALU_DEP_4) | instskip(NEXT) | instid1(VALU_DEP_4)
	v_cndmask_b32_e64 v2, v2, v4, s2
	v_cmp_eq_u32_e64 s3, 1, v7
	s_mov_b32 s2, exec_lo
	v_and_b32_e32 v8, 1, v6
	v_mov_b32_dpp v3, v1 quad_perm:[1,0,3,2] row_mask:0xf bank_mask:0xf
	v_mov_b32_dpp v4, v2 quad_perm:[1,0,3,2] row_mask:0xf bank_mask:0xf
	s_delay_alu instid0(VALU_DEP_3)
	v_cmpx_eq_u32_e32 1, v8
	s_xor_b32 s5, exec_lo, s2
; %bb.7:
	v_cndmask_b32_e64 v5, v6, 1, s3
	s_delay_alu instid0(VALU_DEP_3) | instskip(NEXT) | instid1(VALU_DEP_2)
	v_cmp_lt_i64_e32 vcc_lo, v[1:2], v[3:4]
	v_and_b32_e32 v6, 1, v5
	v_and_b32_e32 v5, 0xff, v5
	s_and_b32 vcc_lo, s3, vcc_lo
	s_and_not1_b32 s3, s3, exec_lo
	v_dual_cndmask_b32 v2, v4, v2 :: v_dual_cndmask_b32 v1, v3, v1
	v_cmp_eq_u32_e64 s2, 1, v6
	s_delay_alu instid0(VALU_DEP_1) | instskip(NEXT) | instid1(SALU_CYCLE_1)
	s_and_b32 s2, s2, exec_lo
	s_or_b32 s3, s3, s2
; %bb.8:
	s_or_b32 exec_lo, exec_lo, s5
	v_mov_b32_dpp v6, v5 quad_perm:[2,3,0,1] row_mask:0xf bank_mask:0xf
	v_mov_b32_dpp v3, v1 quad_perm:[2,3,0,1] row_mask:0xf bank_mask:0xf
	;; [unrolled: 1-line block ×3, first 2 shown]
	s_mov_b32 s5, exec_lo
	s_delay_alu instid0(VALU_DEP_3) | instskip(NEXT) | instid1(VALU_DEP_1)
	v_and_b32_e32 v7, 1, v6
	v_cmpx_eq_u32_e32 1, v7
; %bb.9:
	v_cndmask_b32_e64 v5, v6, 1, s3
	v_cmp_lt_i64_e32 vcc_lo, v[1:2], v[3:4]
	s_delay_alu instid0(VALU_DEP_2)
	v_and_b32_e32 v6, 1, v5
	v_and_b32_e32 v5, 0xff, v5
	s_and_b32 vcc_lo, s3, vcc_lo
	s_and_not1_b32 s3, s3, exec_lo
	v_dual_cndmask_b32 v2, v4, v2 :: v_dual_cndmask_b32 v1, v3, v1
	v_cmp_eq_u32_e64 s2, 1, v6
	s_delay_alu instid0(VALU_DEP_1) | instskip(NEXT) | instid1(SALU_CYCLE_1)
	s_and_b32 s2, s2, exec_lo
	s_or_b32 s3, s3, s2
; %bb.10:
	s_or_b32 exec_lo, exec_lo, s5
	v_mov_b32_dpp v6, v5 row_ror:4 row_mask:0xf bank_mask:0xf
	v_mov_b32_dpp v3, v1 row_ror:4 row_mask:0xf bank_mask:0xf
	;; [unrolled: 1-line block ×3, first 2 shown]
	s_mov_b32 s5, exec_lo
	s_delay_alu instid0(VALU_DEP_3) | instskip(NEXT) | instid1(VALU_DEP_1)
	v_and_b32_e32 v7, 1, v6
	v_cmpx_eq_u32_e32 1, v7
; %bb.11:
	v_cndmask_b32_e64 v5, v6, 1, s3
	v_cmp_lt_i64_e32 vcc_lo, v[1:2], v[3:4]
	s_delay_alu instid0(VALU_DEP_2)
	v_and_b32_e32 v6, 1, v5
	v_and_b32_e32 v5, 0xff, v5
	s_and_b32 vcc_lo, s3, vcc_lo
	s_and_not1_b32 s3, s3, exec_lo
	v_dual_cndmask_b32 v2, v4, v2 :: v_dual_cndmask_b32 v1, v3, v1
	v_cmp_eq_u32_e64 s2, 1, v6
	s_delay_alu instid0(VALU_DEP_1) | instskip(NEXT) | instid1(SALU_CYCLE_1)
	s_and_b32 s2, s2, exec_lo
	s_or_b32 s3, s3, s2
; %bb.12:
	s_or_b32 exec_lo, exec_lo, s5
	v_mov_b32_dpp v6, v5 row_ror:8 row_mask:0xf bank_mask:0xf
	v_mov_b32_dpp v3, v1 row_ror:8 row_mask:0xf bank_mask:0xf
	;; [unrolled: 1-line block ×3, first 2 shown]
	s_mov_b32 s5, exec_lo
	s_delay_alu instid0(VALU_DEP_3) | instskip(NEXT) | instid1(VALU_DEP_1)
	v_and_b32_e32 v7, 1, v6
	v_cmpx_eq_u32_e32 1, v7
; %bb.13:
	v_cndmask_b32_e64 v5, v6, 1, s3
	v_cmp_lt_i64_e32 vcc_lo, v[1:2], v[3:4]
	s_delay_alu instid0(VALU_DEP_2)
	v_and_b32_e32 v6, 1, v5
	v_and_b32_e32 v5, 0xff, v5
	s_and_b32 vcc_lo, s3, vcc_lo
	s_and_not1_b32 s3, s3, exec_lo
	v_dual_cndmask_b32 v2, v4, v2 :: v_dual_cndmask_b32 v1, v3, v1
	v_cmp_eq_u32_e64 s2, 1, v6
	s_delay_alu instid0(VALU_DEP_1) | instskip(NEXT) | instid1(SALU_CYCLE_1)
	s_and_b32 s2, s2, exec_lo
	s_or_b32 s3, s3, s2
; %bb.14:
	s_or_b32 exec_lo, exec_lo, s5
	ds_swizzle_b32 v6, v5 offset:swizzle(BROADCAST,32,15)
	ds_swizzle_b32 v3, v1 offset:swizzle(BROADCAST,32,15)
	;; [unrolled: 1-line block ×3, first 2 shown]
	s_mov_b32 s2, exec_lo
	s_waitcnt lgkmcnt(2)
	v_and_b32_e32 v7, 1, v6
	s_delay_alu instid0(VALU_DEP_1)
	v_cmpx_eq_u32_e32 1, v7
	s_cbranch_execz .LBB424_16
; %bb.15:
	s_waitcnt lgkmcnt(0)
	v_cmp_lt_i64_e32 vcc_lo, v[1:2], v[3:4]
	v_and_b32_e32 v5, 0xff, v6
	s_delay_alu instid0(VALU_DEP_1)
	v_cndmask_b32_e64 v5, v5, 1, s3
	s_and_b32 vcc_lo, s3, vcc_lo
	v_dual_cndmask_b32 v1, v3, v1 :: v_dual_cndmask_b32 v2, v4, v2
.LBB424_16:
	s_or_b32 exec_lo, exec_lo, s2
	s_waitcnt lgkmcnt(1)
	v_mov_b32_e32 v3, 0
	s_mov_b32 s2, exec_lo
	ds_bpermute_b32 v6, v3, v5 offset:124
	ds_bpermute_b32 v1, v3, v1 offset:124
	;; [unrolled: 1-line block ×3, first 2 shown]
	v_mbcnt_lo_u32_b32 v3, -1, 0
	s_delay_alu instid0(VALU_DEP_1)
	v_cmpx_eq_u32_e32 0, v3
	s_cbranch_execz .LBB424_18
; %bb.17:
	s_waitcnt lgkmcnt(3)
	v_lshrrev_b32_e32 v4, 1, v0
	s_delay_alu instid0(VALU_DEP_1)
	v_and_b32_e32 v4, 0x70, v4
	s_waitcnt lgkmcnt(2)
	ds_store_b8 v4, v6 offset:384
	s_waitcnt lgkmcnt(1)
	ds_store_b64 v4, v[1:2] offset:392
.LBB424_18:
	s_or_b32 exec_lo, exec_lo, s2
	s_delay_alu instid0(SALU_CYCLE_1)
	s_mov_b32 s5, exec_lo
	s_waitcnt lgkmcnt(0)
	s_barrier
	buffer_gl0_inv
	v_cmpx_gt_u32_e32 32, v0
	s_cbranch_execz .LBB424_20
; %bb.19:
	v_and_b32_e32 v6, 7, v3
	s_delay_alu instid0(VALU_DEP_1)
	v_lshlrev_b32_e32 v1, 4, v6
	v_cmp_ne_u32_e32 vcc_lo, 7, v6
	ds_load_u8 v7, v1 offset:384
	ds_load_b64 v[1:2], v1 offset:392
	v_add_co_ci_u32_e32 v4, vcc_lo, 0, v3, vcc_lo
	v_cmp_gt_u32_e32 vcc_lo, 6, v6
	s_delay_alu instid0(VALU_DEP_2)
	v_lshlrev_b32_e32 v5, 2, v4
	v_cndmask_b32_e64 v10, 0, 1, vcc_lo
	s_waitcnt lgkmcnt(1)
	v_and_b32_e32 v4, 0xff, v7
	v_and_b32_e32 v11, 1, v7
	ds_bpermute_b32 v8, v5, v4
	s_waitcnt lgkmcnt(1)
	ds_bpermute_b32 v4, v5, v1
	ds_bpermute_b32 v5, v5, v2
	v_cmp_eq_u32_e64 s3, 1, v11
	s_waitcnt lgkmcnt(2)
	v_and_b32_e32 v9, 1, v8
	s_waitcnt lgkmcnt(0)
	v_cmp_lt_i64_e64 s2, v[4:5], v[1:2]
	s_delay_alu instid0(VALU_DEP_2) | instskip(SKIP_2) | instid1(VALU_DEP_4)
	v_cmp_eq_u32_e32 vcc_lo, 1, v9
	v_lshlrev_b32_e32 v9, 1, v10
	v_cndmask_b32_e64 v7, v7, 1, vcc_lo
	s_and_b32 vcc_lo, vcc_lo, s2
	v_dual_cndmask_b32 v1, v1, v4 :: v_dual_cndmask_b32 v2, v2, v5
	s_delay_alu instid0(VALU_DEP_2) | instskip(SKIP_2) | instid1(VALU_DEP_4)
	v_cndmask_b32_e64 v7, v8, v7, s3
	v_add_lshl_u32 v8, v9, v3, 2
	v_cmp_gt_u32_e32 vcc_lo, 4, v6
	v_cndmask_b32_e64 v1, v4, v1, s3
	v_cndmask_b32_e64 v2, v5, v2, s3
	v_and_b32_e32 v9, 0xff, v7
	v_and_b32_e32 v10, 1, v7
	v_cndmask_b32_e64 v6, 0, 1, vcc_lo
	ds_bpermute_b32 v4, v8, v1
	ds_bpermute_b32 v5, v8, v2
	;; [unrolled: 1-line block ×3, first 2 shown]
	v_cmp_eq_u32_e64 s3, 1, v10
	s_waitcnt lgkmcnt(1)
	v_cmp_lt_i64_e64 s2, v[4:5], v[1:2]
	s_waitcnt lgkmcnt(0)
	v_and_b32_e32 v8, 1, v9
	s_delay_alu instid0(VALU_DEP_1) | instskip(SKIP_1) | instid1(VALU_DEP_4)
	v_cmp_eq_u32_e32 vcc_lo, 1, v8
	v_cndmask_b32_e64 v7, v7, 1, vcc_lo
	s_and_b32 vcc_lo, vcc_lo, s2
	v_dual_cndmask_b32 v1, v1, v4 :: v_dual_cndmask_b32 v2, v2, v5
	s_delay_alu instid0(VALU_DEP_2) | instskip(NEXT) | instid1(VALU_DEP_2)
	v_cndmask_b32_e64 v7, v9, v7, s3
	v_cndmask_b32_e64 v1, v4, v1, s3
	v_lshlrev_b32_e32 v6, 2, v6
	s_delay_alu instid0(VALU_DEP_4) | instskip(NEXT) | instid1(VALU_DEP_2)
	v_cndmask_b32_e64 v2, v5, v2, s3
	v_add_lshl_u32 v6, v6, v3, 2
	v_and_b32_e32 v3, 0xff, v7
	ds_bpermute_b32 v4, v6, v2
	ds_bpermute_b32 v5, v6, v3
	;; [unrolled: 1-line block ×3, first 2 shown]
	s_waitcnt lgkmcnt(1)
	v_and_b32_e32 v6, 1, v5
	s_waitcnt lgkmcnt(0)
	v_cmp_lt_i64_e32 vcc_lo, v[3:4], v[1:2]
	s_delay_alu instid0(VALU_DEP_2) | instskip(SKIP_1) | instid1(VALU_DEP_2)
	v_cmp_eq_u32_e64 s2, 1, v6
	v_and_b32_e32 v6, 1, v7
	v_cndmask_b32_e64 v7, v7, 1, s2
	s_and_b32 vcc_lo, s2, vcc_lo
	s_delay_alu instid0(VALU_DEP_2) | instskip(SKIP_1) | instid1(VALU_DEP_2)
	v_cmp_eq_u32_e64 s2, 1, v6
	v_dual_cndmask_b32 v1, v1, v3 :: v_dual_cndmask_b32 v2, v2, v4
	v_cndmask_b32_e64 v5, v5, v7, s2
	s_delay_alu instid0(VALU_DEP_2) | instskip(NEXT) | instid1(VALU_DEP_3)
	v_cndmask_b32_e64 v1, v3, v1, s2
	v_cndmask_b32_e64 v2, v4, v2, s2
	s_delay_alu instid0(VALU_DEP_3)
	v_and_b32_e32 v6, 0xff, v5
.LBB424_20:
	s_or_b32 exec_lo, exec_lo, s5
	s_branch .LBB424_89
.LBB424_21:
	s_mov_b32 s8, 0
                                        ; implicit-def: $vgpr3_vgpr4
                                        ; implicit-def: $vgpr5
	s_cbranch_execnz .LBB424_133
	s_branch .LBB424_206
.LBB424_22:
	s_mov_b32 s20, -1
.LBB424_23:
	s_mov_b32 s8, 0
                                        ; implicit-def: $vgpr3_vgpr4
                                        ; implicit-def: $vgpr5
	s_and_b32 vcc_lo, exec_lo, s20
	s_cbranch_vccz .LBB424_94
.LBB424_24:
	s_cmp_eq_u32 s19, 4
	s_cbranch_scc0 .LBB424_43
; %bb.25:
	s_mov_b32 s11, 0
	s_lshl_b32 s6, s10, 10
	s_mov_b32 s7, s11
	s_lshr_b64 s[20:21], s[14:15], 10
	s_lshl_b64 s[2:3], s[6:7], 4
	s_delay_alu instid0(SALU_CYCLE_1)
	s_add_u32 s4, s12, s2
	s_addc_u32 s5, s13, s3
	s_cmp_lg_u64 s[20:21], s[10:11]
	s_cbranch_scc0 .LBB424_95
; %bb.26:
	v_lshlrev_b32_e32 v1, 4, v0
	s_mov_b32 s3, exec_lo
	s_delay_alu instid0(VALU_DEP_1) | instskip(NEXT) | instid1(VALU_DEP_1)
	v_add_co_u32 v7, s2, s4, v1
	v_add_co_ci_u32_e64 v8, null, s5, 0, s2
	global_load_u8 v11, v1, s[4:5]
	v_add_co_u32 v1, vcc_lo, 0x1000, v7
	v_add_co_ci_u32_e32 v2, vcc_lo, 0, v8, vcc_lo
	v_add_co_u32 v12, vcc_lo, v7, 0x2000
	v_add_co_ci_u32_e32 v13, vcc_lo, 0, v8, vcc_lo
	s_waitcnt lgkmcnt(1)
	v_add_co_u32 v3, vcc_lo, 0x2000, v7
	s_waitcnt lgkmcnt(0)
	v_add_co_ci_u32_e32 v4, vcc_lo, 0, v8, vcc_lo
	v_add_co_u32 v14, vcc_lo, 0x3000, v7
	v_add_co_ci_u32_e32 v15, vcc_lo, 0, v8, vcc_lo
	s_clause 0x5
	global_load_u8 v10, v[12:13], off
	global_load_b64 v[5:6], v[1:2], off offset:8
	global_load_b64 v[3:4], v[3:4], off offset:8
	global_load_u8 v9, v[14:15], off
	global_load_u8 v12, v[12:13], off offset:-4096
	global_load_b64 v[1:2], v[14:15], off offset:8
	s_waitcnt vmcnt(6)
	v_and_b32_e32 v13, 1, v11
	s_delay_alu instid0(VALU_DEP_1)
	v_cmpx_eq_u32_e32 1, v13
	s_cbranch_execz .LBB424_28
; %bb.27:
	global_load_b64 v[7:8], v[7:8], off offset:8
	s_waitcnt vmcnt(2)
	v_and_b32_e32 v12, 1, v12
	s_delay_alu instid0(VALU_DEP_1) | instskip(NEXT) | instid1(VALU_DEP_1)
	v_cmp_eq_u32_e64 s2, 1, v12
	v_cndmask_b32_e64 v12, v11, 1, s2
	s_waitcnt vmcnt(0)
	v_cmp_lt_i64_e32 vcc_lo, v[5:6], v[7:8]
	v_cndmask_b32_e32 v6, v8, v6, vcc_lo
	s_and_b32 vcc_lo, s2, vcc_lo
	v_cndmask_b32_e32 v5, v7, v5, vcc_lo
	s_delay_alu instid0(VALU_DEP_2)
	v_cndmask_b32_e64 v6, v8, v6, s2
.LBB424_28:
	s_or_b32 exec_lo, exec_lo, s3
	s_waitcnt vmcnt(5)
	v_and_b32_e32 v7, 1, v10
	s_waitcnt vmcnt(3)
	v_cmp_lt_i64_e32 vcc_lo, v[3:4], v[5:6]
	s_delay_alu instid0(VALU_DEP_2) | instskip(SKIP_2) | instid1(VALU_DEP_2)
	v_cmp_eq_u32_e64 s2, 1, v7
	s_waitcnt vmcnt(1)
	v_and_b32_e32 v7, 1, v12
	v_cndmask_b32_e64 v8, v12, 1, s2
	s_and_b32 vcc_lo, s2, vcc_lo
	s_delay_alu instid0(VALU_DEP_2) | instskip(SKIP_1) | instid1(VALU_DEP_2)
	v_cmp_eq_u32_e64 s2, 1, v7
	v_dual_cndmask_b32 v5, v5, v3 :: v_dual_cndmask_b32 v6, v6, v4
	v_cndmask_b32_e64 v7, v10, v8, s2
	v_and_b32_e32 v8, 1, v9
	s_delay_alu instid0(VALU_DEP_3) | instskip(NEXT) | instid1(VALU_DEP_4)
	v_cndmask_b32_e64 v3, v3, v5, s2
	v_cndmask_b32_e64 v4, v4, v6, s2
	s_delay_alu instid0(VALU_DEP_4) | instskip(NEXT) | instid1(VALU_DEP_4)
	v_and_b32_e32 v5, 1, v7
	v_cmp_eq_u32_e32 vcc_lo, 1, v8
	s_waitcnt vmcnt(0)
	s_delay_alu instid0(VALU_DEP_3) | instskip(NEXT) | instid1(VALU_DEP_3)
	v_cmp_lt_i64_e64 s3, v[1:2], v[3:4]
	v_cmp_eq_u32_e64 s2, 1, v5
	v_cndmask_b32_e64 v7, v7, 1, vcc_lo
	s_delay_alu instid0(VALU_DEP_3) | instskip(NEXT) | instid1(VALU_DEP_1)
	s_and_b32 vcc_lo, vcc_lo, s3
	v_cndmask_b32_e64 v7, v9, v7, s2
	s_delay_alu instid0(VALU_DEP_1) | instskip(NEXT) | instid1(VALU_DEP_1)
	v_dual_cndmask_b32 v4, v4, v2 :: v_dual_and_b32 v5, 0xff, v7
	v_cndmask_b32_e64 v2, v2, v4, s2
	v_and_b32_e32 v7, 1, v7
	s_delay_alu instid0(VALU_DEP_3) | instskip(SKIP_1) | instid1(VALU_DEP_4)
	v_mov_b32_dpp v6, v5 quad_perm:[1,0,3,2] row_mask:0xf bank_mask:0xf
	v_cndmask_b32_e32 v3, v3, v1, vcc_lo
	v_mov_b32_dpp v4, v2 quad_perm:[1,0,3,2] row_mask:0xf bank_mask:0xf
	s_delay_alu instid0(VALU_DEP_4) | instskip(NEXT) | instid1(VALU_DEP_4)
	v_cmp_eq_u32_e64 s3, 1, v7
	v_and_b32_e32 v8, 1, v6
	s_delay_alu instid0(VALU_DEP_4) | instskip(SKIP_1) | instid1(VALU_DEP_1)
	v_cndmask_b32_e64 v1, v1, v3, s2
	s_mov_b32 s2, exec_lo
	v_mov_b32_dpp v3, v1 quad_perm:[1,0,3,2] row_mask:0xf bank_mask:0xf
	s_delay_alu instid0(VALU_DEP_3)
	v_cmpx_eq_u32_e32 1, v8
	s_xor_b32 s7, exec_lo, s2
; %bb.29:
	v_cndmask_b32_e64 v5, v6, 1, s3
	s_delay_alu instid0(VALU_DEP_3) | instskip(NEXT) | instid1(VALU_DEP_2)
	v_cmp_lt_i64_e32 vcc_lo, v[1:2], v[3:4]
	v_and_b32_e32 v6, 1, v5
	v_and_b32_e32 v5, 0xff, v5
	s_and_b32 vcc_lo, s3, vcc_lo
	s_and_not1_b32 s3, s3, exec_lo
	v_dual_cndmask_b32 v2, v4, v2 :: v_dual_cndmask_b32 v1, v3, v1
	v_cmp_eq_u32_e64 s2, 1, v6
	s_delay_alu instid0(VALU_DEP_1) | instskip(NEXT) | instid1(SALU_CYCLE_1)
	s_and_b32 s2, s2, exec_lo
	s_or_b32 s3, s3, s2
; %bb.30:
	s_or_b32 exec_lo, exec_lo, s7
	v_mov_b32_dpp v6, v5 quad_perm:[2,3,0,1] row_mask:0xf bank_mask:0xf
	v_mov_b32_dpp v3, v1 quad_perm:[2,3,0,1] row_mask:0xf bank_mask:0xf
	;; [unrolled: 1-line block ×3, first 2 shown]
	s_mov_b32 s7, exec_lo
	s_delay_alu instid0(VALU_DEP_3) | instskip(NEXT) | instid1(VALU_DEP_1)
	v_and_b32_e32 v7, 1, v6
	v_cmpx_eq_u32_e32 1, v7
; %bb.31:
	v_cndmask_b32_e64 v5, v6, 1, s3
	v_cmp_lt_i64_e32 vcc_lo, v[1:2], v[3:4]
	s_delay_alu instid0(VALU_DEP_2)
	v_and_b32_e32 v6, 1, v5
	v_and_b32_e32 v5, 0xff, v5
	s_and_b32 vcc_lo, s3, vcc_lo
	s_and_not1_b32 s3, s3, exec_lo
	v_dual_cndmask_b32 v2, v4, v2 :: v_dual_cndmask_b32 v1, v3, v1
	v_cmp_eq_u32_e64 s2, 1, v6
	s_delay_alu instid0(VALU_DEP_1) | instskip(NEXT) | instid1(SALU_CYCLE_1)
	s_and_b32 s2, s2, exec_lo
	s_or_b32 s3, s3, s2
; %bb.32:
	s_or_b32 exec_lo, exec_lo, s7
	v_mov_b32_dpp v6, v5 row_ror:4 row_mask:0xf bank_mask:0xf
	v_mov_b32_dpp v3, v1 row_ror:4 row_mask:0xf bank_mask:0xf
	;; [unrolled: 1-line block ×3, first 2 shown]
	s_mov_b32 s7, exec_lo
	s_delay_alu instid0(VALU_DEP_3) | instskip(NEXT) | instid1(VALU_DEP_1)
	v_and_b32_e32 v7, 1, v6
	v_cmpx_eq_u32_e32 1, v7
; %bb.33:
	v_cndmask_b32_e64 v5, v6, 1, s3
	v_cmp_lt_i64_e32 vcc_lo, v[1:2], v[3:4]
	s_delay_alu instid0(VALU_DEP_2)
	v_and_b32_e32 v6, 1, v5
	v_and_b32_e32 v5, 0xff, v5
	s_and_b32 vcc_lo, s3, vcc_lo
	s_and_not1_b32 s3, s3, exec_lo
	v_dual_cndmask_b32 v2, v4, v2 :: v_dual_cndmask_b32 v1, v3, v1
	v_cmp_eq_u32_e64 s2, 1, v6
	s_delay_alu instid0(VALU_DEP_1) | instskip(NEXT) | instid1(SALU_CYCLE_1)
	s_and_b32 s2, s2, exec_lo
	s_or_b32 s3, s3, s2
; %bb.34:
	s_or_b32 exec_lo, exec_lo, s7
	v_mov_b32_dpp v6, v5 row_ror:8 row_mask:0xf bank_mask:0xf
	v_mov_b32_dpp v3, v1 row_ror:8 row_mask:0xf bank_mask:0xf
	;; [unrolled: 1-line block ×3, first 2 shown]
	s_mov_b32 s7, exec_lo
	s_delay_alu instid0(VALU_DEP_3) | instskip(NEXT) | instid1(VALU_DEP_1)
	v_and_b32_e32 v7, 1, v6
	v_cmpx_eq_u32_e32 1, v7
; %bb.35:
	v_cndmask_b32_e64 v5, v6, 1, s3
	v_cmp_lt_i64_e32 vcc_lo, v[1:2], v[3:4]
	s_delay_alu instid0(VALU_DEP_2)
	v_and_b32_e32 v6, 1, v5
	v_and_b32_e32 v5, 0xff, v5
	s_and_b32 vcc_lo, s3, vcc_lo
	s_and_not1_b32 s3, s3, exec_lo
	v_dual_cndmask_b32 v2, v4, v2 :: v_dual_cndmask_b32 v1, v3, v1
	v_cmp_eq_u32_e64 s2, 1, v6
	s_delay_alu instid0(VALU_DEP_1) | instskip(NEXT) | instid1(SALU_CYCLE_1)
	s_and_b32 s2, s2, exec_lo
	s_or_b32 s3, s3, s2
; %bb.36:
	s_or_b32 exec_lo, exec_lo, s7
	ds_swizzle_b32 v6, v5 offset:swizzle(BROADCAST,32,15)
	ds_swizzle_b32 v3, v1 offset:swizzle(BROADCAST,32,15)
	;; [unrolled: 1-line block ×3, first 2 shown]
	s_mov_b32 s2, exec_lo
	s_waitcnt lgkmcnt(2)
	v_and_b32_e32 v7, 1, v6
	s_delay_alu instid0(VALU_DEP_1)
	v_cmpx_eq_u32_e32 1, v7
	s_cbranch_execz .LBB424_38
; %bb.37:
	s_waitcnt lgkmcnt(0)
	v_cmp_lt_i64_e32 vcc_lo, v[1:2], v[3:4]
	v_and_b32_e32 v5, 0xff, v6
	s_delay_alu instid0(VALU_DEP_1)
	v_cndmask_b32_e64 v5, v5, 1, s3
	s_and_b32 vcc_lo, s3, vcc_lo
	v_dual_cndmask_b32 v1, v3, v1 :: v_dual_cndmask_b32 v2, v4, v2
.LBB424_38:
	s_or_b32 exec_lo, exec_lo, s2
	s_waitcnt lgkmcnt(1)
	v_mov_b32_e32 v3, 0
	s_mov_b32 s2, exec_lo
	ds_bpermute_b32 v6, v3, v5 offset:124
	ds_bpermute_b32 v1, v3, v1 offset:124
	;; [unrolled: 1-line block ×3, first 2 shown]
	v_mbcnt_lo_u32_b32 v3, -1, 0
	s_delay_alu instid0(VALU_DEP_1)
	v_cmpx_eq_u32_e32 0, v3
	s_cbranch_execz .LBB424_40
; %bb.39:
	s_waitcnt lgkmcnt(3)
	v_lshrrev_b32_e32 v4, 1, v0
	s_delay_alu instid0(VALU_DEP_1)
	v_and_b32_e32 v4, 0x70, v4
	s_waitcnt lgkmcnt(2)
	ds_store_b8 v4, v6 offset:256
	s_waitcnt lgkmcnt(1)
	ds_store_b64 v4, v[1:2] offset:264
.LBB424_40:
	s_or_b32 exec_lo, exec_lo, s2
	s_delay_alu instid0(SALU_CYCLE_1)
	s_mov_b32 s7, exec_lo
	s_waitcnt lgkmcnt(0)
	s_barrier
	buffer_gl0_inv
	v_cmpx_gt_u32_e32 32, v0
	s_cbranch_execz .LBB424_42
; %bb.41:
	v_and_b32_e32 v6, 7, v3
	s_delay_alu instid0(VALU_DEP_1)
	v_lshlrev_b32_e32 v1, 4, v6
	v_cmp_ne_u32_e32 vcc_lo, 7, v6
	ds_load_u8 v7, v1 offset:256
	ds_load_b64 v[1:2], v1 offset:264
	v_add_co_ci_u32_e32 v4, vcc_lo, 0, v3, vcc_lo
	v_cmp_gt_u32_e32 vcc_lo, 6, v6
	s_delay_alu instid0(VALU_DEP_2)
	v_lshlrev_b32_e32 v5, 2, v4
	v_cndmask_b32_e64 v10, 0, 1, vcc_lo
	s_waitcnt lgkmcnt(1)
	v_and_b32_e32 v4, 0xff, v7
	v_and_b32_e32 v11, 1, v7
	ds_bpermute_b32 v8, v5, v4
	s_waitcnt lgkmcnt(1)
	ds_bpermute_b32 v4, v5, v1
	ds_bpermute_b32 v5, v5, v2
	v_cmp_eq_u32_e64 s3, 1, v11
	s_waitcnt lgkmcnt(2)
	v_and_b32_e32 v9, 1, v8
	s_waitcnt lgkmcnt(0)
	v_cmp_lt_i64_e64 s2, v[4:5], v[1:2]
	s_delay_alu instid0(VALU_DEP_2) | instskip(SKIP_2) | instid1(VALU_DEP_4)
	v_cmp_eq_u32_e32 vcc_lo, 1, v9
	v_lshlrev_b32_e32 v9, 1, v10
	v_cndmask_b32_e64 v7, v7, 1, vcc_lo
	s_and_b32 vcc_lo, vcc_lo, s2
	v_dual_cndmask_b32 v1, v1, v4 :: v_dual_cndmask_b32 v2, v2, v5
	s_delay_alu instid0(VALU_DEP_2) | instskip(SKIP_2) | instid1(VALU_DEP_4)
	v_cndmask_b32_e64 v7, v8, v7, s3
	v_add_lshl_u32 v8, v9, v3, 2
	v_cmp_gt_u32_e32 vcc_lo, 4, v6
	v_cndmask_b32_e64 v1, v4, v1, s3
	v_cndmask_b32_e64 v2, v5, v2, s3
	v_and_b32_e32 v9, 0xff, v7
	v_and_b32_e32 v10, 1, v7
	v_cndmask_b32_e64 v6, 0, 1, vcc_lo
	ds_bpermute_b32 v4, v8, v1
	ds_bpermute_b32 v5, v8, v2
	;; [unrolled: 1-line block ×3, first 2 shown]
	v_cmp_eq_u32_e64 s3, 1, v10
	s_waitcnt lgkmcnt(1)
	v_cmp_lt_i64_e64 s2, v[4:5], v[1:2]
	s_waitcnt lgkmcnt(0)
	v_and_b32_e32 v8, 1, v9
	s_delay_alu instid0(VALU_DEP_1) | instskip(SKIP_1) | instid1(VALU_DEP_4)
	v_cmp_eq_u32_e32 vcc_lo, 1, v8
	v_cndmask_b32_e64 v7, v7, 1, vcc_lo
	s_and_b32 vcc_lo, vcc_lo, s2
	v_dual_cndmask_b32 v1, v1, v4 :: v_dual_cndmask_b32 v2, v2, v5
	s_delay_alu instid0(VALU_DEP_2) | instskip(NEXT) | instid1(VALU_DEP_2)
	v_cndmask_b32_e64 v7, v9, v7, s3
	v_cndmask_b32_e64 v1, v4, v1, s3
	v_lshlrev_b32_e32 v6, 2, v6
	s_delay_alu instid0(VALU_DEP_4) | instskip(NEXT) | instid1(VALU_DEP_2)
	v_cndmask_b32_e64 v2, v5, v2, s3
	v_add_lshl_u32 v6, v6, v3, 2
	v_and_b32_e32 v3, 0xff, v7
	ds_bpermute_b32 v4, v6, v2
	ds_bpermute_b32 v5, v6, v3
	;; [unrolled: 1-line block ×3, first 2 shown]
	s_waitcnt lgkmcnt(1)
	v_and_b32_e32 v6, 1, v5
	s_waitcnt lgkmcnt(0)
	v_cmp_lt_i64_e32 vcc_lo, v[3:4], v[1:2]
	s_delay_alu instid0(VALU_DEP_2) | instskip(SKIP_1) | instid1(VALU_DEP_2)
	v_cmp_eq_u32_e64 s2, 1, v6
	v_and_b32_e32 v6, 1, v7
	v_cndmask_b32_e64 v7, v7, 1, s2
	s_and_b32 vcc_lo, s2, vcc_lo
	s_delay_alu instid0(VALU_DEP_2) | instskip(SKIP_1) | instid1(VALU_DEP_2)
	v_cmp_eq_u32_e64 s2, 1, v6
	v_dual_cndmask_b32 v1, v1, v3 :: v_dual_cndmask_b32 v2, v2, v4
	v_cndmask_b32_e64 v5, v5, v7, s2
	s_delay_alu instid0(VALU_DEP_2) | instskip(NEXT) | instid1(VALU_DEP_3)
	v_cndmask_b32_e64 v1, v3, v1, s2
	v_cndmask_b32_e64 v2, v4, v2, s2
	s_delay_alu instid0(VALU_DEP_3)
	v_and_b32_e32 v6, 0xff, v5
.LBB424_42:
	s_or_b32 exec_lo, exec_lo, s7
	s_branch .LBB424_128
.LBB424_43:
                                        ; implicit-def: $vgpr3_vgpr4
                                        ; implicit-def: $vgpr5
	s_branch .LBB424_206
.LBB424_44:
                                        ; implicit-def: $vgpr1_vgpr2
                                        ; implicit-def: $vgpr6
	s_cbranch_execz .LBB424_89
; %bb.45:
	v_mov_b32_e32 v13, 0
	v_dual_mov_b32 v14, 0 :: v_dual_mov_b32 v23, 0
	s_delay_alu instid0(VALU_DEP_2) | instskip(SKIP_2) | instid1(VALU_DEP_3)
	v_mov_b32_e32 v1, v13
	v_mov_b32_e32 v17, 0
	s_sub_i32 s21, s14, s4
	v_mov_b32_e32 v2, v14
	s_mov_b32 s2, exec_lo
	v_cmpx_gt_u32_e64 s21, v0
; %bb.46:
	v_lshlrev_b32_e32 v1, 4, v0
	s_clause 0x1
	global_load_u8 v17, v1, s[8:9]
	global_load_b64 v[1:2], v1, s[8:9] offset:8
; %bb.47:
	s_or_b32 exec_lo, exec_lo, s2
	v_or_b32_e32 v3, 0x100, v0
	s_delay_alu instid0(VALU_DEP_1) | instskip(NEXT) | instid1(VALU_DEP_1)
	v_cmp_gt_u32_e64 s7, s21, v3
	s_and_saveexec_b32 s2, s7
; %bb.48:
	v_lshlrev_b32_e32 v3, 4, v3
	s_clause 0x1
	global_load_u8 v23, v3, s[8:9]
	global_load_b64 v[13:14], v3, s[8:9] offset:8
; %bb.49:
	s_or_b32 exec_lo, exec_lo, s2
	v_dual_mov_b32 v9, 0 :: v_dual_mov_b32 v24, 0
	v_dual_mov_b32 v10, 0 :: v_dual_mov_b32 v21, 0
	v_or_b32_e32 v3, 0x200, v0
	s_delay_alu instid0(VALU_DEP_2) | instskip(NEXT) | instid1(VALU_DEP_2)
	v_dual_mov_b32 v16, v10 :: v_dual_mov_b32 v15, v9
	v_cmp_gt_u32_e64 s6, s21, v3
	s_delay_alu instid0(VALU_DEP_1)
	s_and_saveexec_b32 s2, s6
; %bb.50:
	v_lshlrev_b32_e32 v3, 4, v3
	s_clause 0x1
	global_load_u8 v24, v3, s[8:9]
	global_load_b64 v[15:16], v3, s[8:9] offset:8
; %bb.51:
	s_or_b32 exec_lo, exec_lo, s2
	v_or_b32_e32 v3, 0x300, v0
	s_delay_alu instid0(VALU_DEP_1) | instskip(NEXT) | instid1(VALU_DEP_1)
	v_cmp_gt_u32_e64 s5, s21, v3
	s_and_saveexec_b32 s2, s5
; %bb.52:
	v_lshlrev_b32_e32 v3, 4, v3
	s_clause 0x1
	global_load_u8 v21, v3, s[8:9]
	global_load_b64 v[9:10], v3, s[8:9] offset:8
; %bb.53:
	s_or_b32 exec_lo, exec_lo, s2
	v_dual_mov_b32 v5, 0 :: v_dual_mov_b32 v22, 0
	v_dual_mov_b32 v6, 0 :: v_dual_mov_b32 v19, 0
	v_or_b32_e32 v3, 0x400, v0
	s_delay_alu instid0(VALU_DEP_2) | instskip(NEXT) | instid1(VALU_DEP_2)
	v_dual_mov_b32 v12, v6 :: v_dual_mov_b32 v11, v5
	v_cmp_gt_u32_e64 s4, s21, v3
	s_delay_alu instid0(VALU_DEP_1)
	s_and_saveexec_b32 s2, s4
; %bb.54:
	v_lshlrev_b32_e32 v3, 4, v3
	s_clause 0x1
	global_load_u8 v22, v3, s[8:9]
	global_load_b64 v[11:12], v3, s[8:9] offset:8
; %bb.55:
	s_or_b32 exec_lo, exec_lo, s2
	v_or_b32_e32 v3, 0x500, v0
	s_delay_alu instid0(VALU_DEP_1) | instskip(NEXT) | instid1(VALU_DEP_1)
	v_cmp_gt_u32_e64 s3, s21, v3
	s_and_saveexec_b32 s2, s3
; %bb.56:
	v_lshlrev_b32_e32 v3, 4, v3
	s_clause 0x1
	global_load_u8 v19, v3, s[8:9]
	global_load_b64 v[5:6], v3, s[8:9] offset:8
; %bb.57:
	s_or_b32 exec_lo, exec_lo, s2
	v_dual_mov_b32 v3, 0 :: v_dual_mov_b32 v18, 0
	v_mov_b32_e32 v4, 0
	v_or_b32_e32 v25, 0x600, v0
	v_mov_b32_e32 v20, 0
	s_delay_alu instid0(VALU_DEP_3) | instskip(NEXT) | instid1(VALU_DEP_3)
	v_dual_mov_b32 v8, v4 :: v_dual_mov_b32 v7, v3
	v_cmp_gt_u32_e64 s2, s21, v25
	s_delay_alu instid0(VALU_DEP_1)
	s_and_saveexec_b32 s22, s2
; %bb.58:
	v_lshlrev_b32_e32 v7, 4, v25
	s_clause 0x1
	global_load_u8 v20, v7, s[8:9]
	global_load_b64 v[7:8], v7, s[8:9] offset:8
; %bb.59:
	s_or_b32 exec_lo, exec_lo, s22
	v_or_b32_e32 v25, 0x700, v0
	s_delay_alu instid0(VALU_DEP_1)
	v_cmp_gt_u32_e32 vcc_lo, s21, v25
	s_and_saveexec_b32 s22, vcc_lo
	s_cbranch_execnz .LBB424_238
; %bb.60:
	s_or_b32 exec_lo, exec_lo, s22
	s_and_saveexec_b32 s9, s7
	s_cbranch_execnz .LBB424_239
.LBB424_61:
	s_or_b32 exec_lo, exec_lo, s9
	s_and_saveexec_b32 s8, s6
	s_cbranch_execnz .LBB424_240
.LBB424_62:
	s_or_b32 exec_lo, exec_lo, s8
	s_and_saveexec_b32 s7, s5
	s_cbranch_execnz .LBB424_241
.LBB424_63:
	s_or_b32 exec_lo, exec_lo, s7
	s_and_saveexec_b32 s6, s4
	s_cbranch_execnz .LBB424_242
.LBB424_64:
	s_or_b32 exec_lo, exec_lo, s6
	s_and_saveexec_b32 s5, s3
	s_cbranch_execnz .LBB424_243
.LBB424_65:
	s_or_b32 exec_lo, exec_lo, s5
	s_and_saveexec_b32 s4, s2
	s_cbranch_execnz .LBB424_244
.LBB424_66:
	s_or_b32 exec_lo, exec_lo, s4
	s_and_saveexec_b32 s3, vcc_lo
	s_cbranch_execz .LBB424_68
.LBB424_67:
	s_waitcnt vmcnt(0)
	v_and_b32_e32 v5, 1, v18
	v_cmp_lt_i64_e32 vcc_lo, v[3:4], v[1:2]
	s_delay_alu instid0(VALU_DEP_2) | instskip(NEXT) | instid1(VALU_DEP_1)
	v_cmp_eq_u32_e64 s2, 1, v5
	s_and_b32 vcc_lo, s2, vcc_lo
	v_cndmask_b32_e64 v6, v17, 1, s2
	v_dual_cndmask_b32 v2, v2, v4 :: v_dual_and_b32 v5, 1, v17
	v_cndmask_b32_e32 v1, v1, v3, vcc_lo
	s_delay_alu instid0(VALU_DEP_2) | instskip(NEXT) | instid1(VALU_DEP_3)
	v_cmp_eq_u32_e32 vcc_lo, 1, v5
	v_cndmask_b32_e32 v2, v4, v2, vcc_lo
	v_cndmask_b32_e32 v17, v18, v6, vcc_lo
	s_delay_alu instid0(VALU_DEP_4)
	v_cndmask_b32_e32 v1, v3, v1, vcc_lo
.LBB424_68:
	s_or_b32 exec_lo, exec_lo, s3
	s_waitcnt vmcnt(0)
	v_mbcnt_lo_u32_b32 v5, -1, 0
	v_and_b32_e32 v7, 0xe0, v0
	s_min_u32 s3, s21, 0x100
	v_and_b32_e32 v6, 0xff, v17
	s_delay_alu instid0(VALU_DEP_3) | instskip(NEXT) | instid1(VALU_DEP_3)
	v_cmp_ne_u32_e32 vcc_lo, 31, v5
	v_sub_nc_u32_e64 v8, s3, v7 clamp
	v_add_nc_u32_e32 v7, 1, v5
	v_add_co_ci_u32_e32 v3, vcc_lo, 0, v5, vcc_lo
	s_delay_alu instid0(VALU_DEP_2) | instskip(NEXT) | instid1(VALU_DEP_2)
	v_cmp_lt_u32_e32 vcc_lo, v7, v8
	v_dual_mov_b32 v7, v6 :: v_dual_lshlrev_b32 v4, 2, v3
	ds_bpermute_b32 v9, v4, v6
	ds_bpermute_b32 v3, v4, v1
	;; [unrolled: 1-line block ×3, first 2 shown]
	s_and_saveexec_b32 s2, vcc_lo
	s_delay_alu instid0(SALU_CYCLE_1)
	s_xor_b32 s4, exec_lo, s2
	s_cbranch_execz .LBB424_70
; %bb.69:
	s_waitcnt lgkmcnt(2)
	v_and_b32_e32 v7, 1, v9
	s_waitcnt lgkmcnt(0)
	v_cmp_lt_i64_e32 vcc_lo, v[3:4], v[1:2]
	s_delay_alu instid0(VALU_DEP_2) | instskip(SKIP_1) | instid1(VALU_DEP_2)
	v_cmp_eq_u32_e64 s2, 1, v7
	v_and_b32_e32 v7, 1, v17
	v_cndmask_b32_e64 v6, v6, 1, s2
	s_and_b32 vcc_lo, s2, vcc_lo
	s_delay_alu instid0(VALU_DEP_2) | instskip(SKIP_1) | instid1(VALU_DEP_2)
	v_cmp_eq_u32_e64 s2, 1, v7
	v_dual_cndmask_b32 v2, v2, v4 :: v_dual_cndmask_b32 v1, v1, v3
	v_cndmask_b32_e64 v7, v9, v6, s2
	s_delay_alu instid0(VALU_DEP_2) | instskip(NEXT) | instid1(VALU_DEP_3)
	v_cndmask_b32_e64 v2, v4, v2, s2
	v_cndmask_b32_e64 v1, v3, v1, s2
	s_delay_alu instid0(VALU_DEP_3)
	v_and_b32_e32 v6, 0xff, v7
.LBB424_70:
	s_or_b32 exec_lo, exec_lo, s4
	v_cmp_gt_u32_e32 vcc_lo, 30, v5
	v_add_nc_u32_e32 v10, 2, v5
	s_mov_b32 s4, exec_lo
	s_waitcnt lgkmcnt(1)
	v_cndmask_b32_e64 v3, 0, 1, vcc_lo
	s_delay_alu instid0(VALU_DEP_1) | instskip(SKIP_1) | instid1(VALU_DEP_1)
	v_lshlrev_b32_e32 v3, 1, v3
	s_waitcnt lgkmcnt(0)
	v_add_lshl_u32 v4, v3, v5, 2
	ds_bpermute_b32 v9, v4, v6
	ds_bpermute_b32 v3, v4, v1
	ds_bpermute_b32 v4, v4, v2
	v_cmpx_lt_u32_e64 v10, v8
	s_cbranch_execz .LBB424_72
; %bb.71:
	s_waitcnt lgkmcnt(2)
	v_and_b32_e32 v6, 1, v9
	s_waitcnt lgkmcnt(0)
	v_cmp_lt_i64_e32 vcc_lo, v[3:4], v[1:2]
	s_delay_alu instid0(VALU_DEP_2) | instskip(SKIP_1) | instid1(VALU_DEP_2)
	v_cmp_eq_u32_e64 s2, 1, v6
	v_and_b32_e32 v6, 1, v7
	v_cndmask_b32_e64 v7, v7, 1, s2
	s_and_b32 vcc_lo, s2, vcc_lo
	s_delay_alu instid0(VALU_DEP_2) | instskip(SKIP_1) | instid1(VALU_DEP_2)
	v_cmp_eq_u32_e64 s2, 1, v6
	v_dual_cndmask_b32 v1, v1, v3 :: v_dual_cndmask_b32 v2, v2, v4
	v_cndmask_b32_e64 v7, v9, v7, s2
	s_delay_alu instid0(VALU_DEP_2) | instskip(NEXT) | instid1(VALU_DEP_3)
	v_cndmask_b32_e64 v1, v3, v1, s2
	v_cndmask_b32_e64 v2, v4, v2, s2
	s_delay_alu instid0(VALU_DEP_3)
	v_and_b32_e32 v6, 0xff, v7
.LBB424_72:
	s_or_b32 exec_lo, exec_lo, s4
	v_cmp_gt_u32_e32 vcc_lo, 28, v5
	v_add_nc_u32_e32 v10, 4, v5
	s_mov_b32 s4, exec_lo
	s_waitcnt lgkmcnt(1)
	v_cndmask_b32_e64 v3, 0, 1, vcc_lo
	s_delay_alu instid0(VALU_DEP_1) | instskip(SKIP_1) | instid1(VALU_DEP_1)
	v_lshlrev_b32_e32 v3, 2, v3
	s_waitcnt lgkmcnt(0)
	v_add_lshl_u32 v4, v3, v5, 2
	ds_bpermute_b32 v9, v4, v6
	ds_bpermute_b32 v3, v4, v1
	ds_bpermute_b32 v4, v4, v2
	v_cmpx_lt_u32_e64 v10, v8
	;; [unrolled: 35-line block ×4, first 2 shown]
	s_cbranch_execz .LBB424_78
; %bb.77:
	s_waitcnt lgkmcnt(2)
	v_and_b32_e32 v6, 1, v9
	s_waitcnt lgkmcnt(0)
	v_cmp_lt_i64_e32 vcc_lo, v[3:4], v[1:2]
	s_delay_alu instid0(VALU_DEP_2) | instskip(SKIP_1) | instid1(VALU_DEP_2)
	v_cmp_eq_u32_e64 s2, 1, v6
	v_and_b32_e32 v6, 1, v7
	v_cndmask_b32_e64 v7, v7, 1, s2
	s_and_b32 vcc_lo, s2, vcc_lo
	s_delay_alu instid0(VALU_DEP_2) | instskip(SKIP_1) | instid1(VALU_DEP_2)
	v_cmp_eq_u32_e64 s2, 1, v6
	v_dual_cndmask_b32 v1, v1, v3 :: v_dual_cndmask_b32 v2, v2, v4
	v_cndmask_b32_e64 v7, v9, v7, s2
	s_delay_alu instid0(VALU_DEP_2) | instskip(NEXT) | instid1(VALU_DEP_3)
	v_cndmask_b32_e64 v1, v3, v1, s2
	v_cndmask_b32_e64 v2, v4, v2, s2
	s_delay_alu instid0(VALU_DEP_3)
	v_and_b32_e32 v6, 0xff, v7
.LBB424_78:
	s_or_b32 exec_lo, exec_lo, s4
	s_delay_alu instid0(SALU_CYCLE_1)
	s_mov_b32 s2, exec_lo
	v_cmpx_eq_u32_e32 0, v5
	s_cbranch_execz .LBB424_80
; %bb.79:
	s_waitcnt lgkmcnt(1)
	v_lshrrev_b32_e32 v3, 1, v0
	s_delay_alu instid0(VALU_DEP_1)
	v_and_b32_e32 v3, 0x70, v3
	ds_store_b8 v3, v7 offset:512
	ds_store_b64 v3, v[1:2] offset:520
.LBB424_80:
	s_or_b32 exec_lo, exec_lo, s2
	s_delay_alu instid0(SALU_CYCLE_1)
	s_mov_b32 s4, exec_lo
	s_waitcnt lgkmcnt(0)
	s_barrier
	buffer_gl0_inv
	v_cmpx_gt_u32_e32 8, v0
	s_cbranch_execz .LBB424_88
; %bb.81:
	v_lshlrev_b32_e32 v1, 4, v5
	v_and_b32_e32 v8, 7, v5
	s_add_i32 s3, s3, 31
	s_mov_b32 s5, exec_lo
	s_lshr_b32 s3, s3, 5
	ds_load_u8 v7, v1 offset:512
	ds_load_b64 v[1:2], v1 offset:520
	v_cmp_ne_u32_e32 vcc_lo, 7, v8
	v_add_nc_u32_e32 v10, 1, v8
	v_add_co_ci_u32_e32 v3, vcc_lo, 0, v5, vcc_lo
	s_delay_alu instid0(VALU_DEP_1)
	v_lshlrev_b32_e32 v4, 2, v3
	s_waitcnt lgkmcnt(1)
	v_and_b32_e32 v6, 0xff, v7
	s_waitcnt lgkmcnt(0)
	ds_bpermute_b32 v3, v4, v1
	ds_bpermute_b32 v9, v4, v6
	ds_bpermute_b32 v4, v4, v2
	v_cmpx_gt_u32_e64 s3, v10
	s_cbranch_execz .LBB424_83
; %bb.82:
	s_waitcnt lgkmcnt(1)
	v_and_b32_e32 v6, 1, v9
	s_waitcnt lgkmcnt(0)
	v_cmp_lt_i64_e32 vcc_lo, v[3:4], v[1:2]
	s_delay_alu instid0(VALU_DEP_2) | instskip(SKIP_1) | instid1(VALU_DEP_2)
	v_cmp_eq_u32_e64 s2, 1, v6
	v_and_b32_e32 v6, 1, v7
	v_cndmask_b32_e64 v7, v7, 1, s2
	s_and_b32 vcc_lo, s2, vcc_lo
	s_delay_alu instid0(VALU_DEP_2) | instskip(SKIP_1) | instid1(VALU_DEP_2)
	v_cmp_eq_u32_e64 s2, 1, v6
	v_dual_cndmask_b32 v1, v1, v3 :: v_dual_cndmask_b32 v2, v2, v4
	v_cndmask_b32_e64 v7, v9, v7, s2
	s_delay_alu instid0(VALU_DEP_2) | instskip(NEXT) | instid1(VALU_DEP_3)
	v_cndmask_b32_e64 v1, v3, v1, s2
	v_cndmask_b32_e64 v2, v4, v2, s2
	s_delay_alu instid0(VALU_DEP_3)
	v_and_b32_e32 v6, 0xff, v7
.LBB424_83:
	s_or_b32 exec_lo, exec_lo, s5
	v_cmp_gt_u32_e32 vcc_lo, 6, v8
	v_add_nc_u32_e32 v10, 2, v8
	s_mov_b32 s5, exec_lo
	s_waitcnt lgkmcnt(2)
	v_cndmask_b32_e64 v3, 0, 1, vcc_lo
	s_delay_alu instid0(VALU_DEP_1) | instskip(SKIP_1) | instid1(VALU_DEP_1)
	v_lshlrev_b32_e32 v3, 1, v3
	s_waitcnt lgkmcnt(0)
	v_add_lshl_u32 v4, v3, v5, 2
	ds_bpermute_b32 v9, v4, v6
	ds_bpermute_b32 v3, v4, v1
	;; [unrolled: 1-line block ×3, first 2 shown]
	v_cmpx_gt_u32_e64 s3, v10
	s_cbranch_execz .LBB424_85
; %bb.84:
	s_waitcnt lgkmcnt(2)
	v_and_b32_e32 v6, 1, v9
	s_waitcnt lgkmcnt(0)
	v_cmp_lt_i64_e32 vcc_lo, v[3:4], v[1:2]
	s_delay_alu instid0(VALU_DEP_2) | instskip(SKIP_1) | instid1(VALU_DEP_2)
	v_cmp_eq_u32_e64 s2, 1, v6
	v_and_b32_e32 v6, 1, v7
	v_cndmask_b32_e64 v7, v7, 1, s2
	s_and_b32 vcc_lo, s2, vcc_lo
	s_delay_alu instid0(VALU_DEP_2) | instskip(SKIP_1) | instid1(VALU_DEP_2)
	v_cmp_eq_u32_e64 s2, 1, v6
	v_dual_cndmask_b32 v1, v1, v3 :: v_dual_cndmask_b32 v2, v2, v4
	v_cndmask_b32_e64 v7, v9, v7, s2
	s_delay_alu instid0(VALU_DEP_2) | instskip(NEXT) | instid1(VALU_DEP_3)
	v_cndmask_b32_e64 v1, v3, v1, s2
	v_cndmask_b32_e64 v2, v4, v2, s2
	s_delay_alu instid0(VALU_DEP_3)
	v_and_b32_e32 v6, 0xff, v7
.LBB424_85:
	s_or_b32 exec_lo, exec_lo, s5
	v_cmp_gt_u32_e32 vcc_lo, 4, v8
	v_add_nc_u32_e32 v8, 4, v8
	s_waitcnt lgkmcnt(1)
	v_cndmask_b32_e64 v3, 0, 1, vcc_lo
	s_delay_alu instid0(VALU_DEP_2) | instskip(NEXT) | instid1(VALU_DEP_2)
	v_cmp_gt_u32_e32 vcc_lo, s3, v8
	v_lshlrev_b32_e32 v3, 2, v3
	s_waitcnt lgkmcnt(0)
	s_delay_alu instid0(VALU_DEP_1)
	v_add_lshl_u32 v4, v3, v5, 2
	ds_bpermute_b32 v5, v4, v6
	ds_bpermute_b32 v3, v4, v1
	;; [unrolled: 1-line block ×3, first 2 shown]
	s_and_saveexec_b32 s3, vcc_lo
	s_cbranch_execz .LBB424_87
; %bb.86:
	s_waitcnt lgkmcnt(2)
	v_and_b32_e32 v6, 1, v5
	s_waitcnt lgkmcnt(0)
	v_cmp_lt_i64_e32 vcc_lo, v[3:4], v[1:2]
	s_delay_alu instid0(VALU_DEP_2) | instskip(SKIP_1) | instid1(VALU_DEP_2)
	v_cmp_eq_u32_e64 s2, 1, v6
	v_and_b32_e32 v6, 1, v7
	v_cndmask_b32_e64 v7, v7, 1, s2
	s_and_b32 vcc_lo, s2, vcc_lo
	s_delay_alu instid0(VALU_DEP_2) | instskip(SKIP_1) | instid1(VALU_DEP_2)
	v_cmp_eq_u32_e64 s2, 1, v6
	v_dual_cndmask_b32 v1, v1, v3 :: v_dual_cndmask_b32 v2, v2, v4
	v_cndmask_b32_e64 v5, v5, v7, s2
	s_delay_alu instid0(VALU_DEP_2) | instskip(NEXT) | instid1(VALU_DEP_3)
	v_cndmask_b32_e64 v1, v3, v1, s2
	v_cndmask_b32_e64 v2, v4, v2, s2
	s_delay_alu instid0(VALU_DEP_3)
	v_and_b32_e32 v6, 0xff, v5
.LBB424_87:
	s_or_b32 exec_lo, exec_lo, s3
.LBB424_88:
	s_delay_alu instid0(SALU_CYCLE_1)
	s_or_b32 exec_lo, exec_lo, s4
.LBB424_89:
	s_mov_b32 s8, 0
                                        ; implicit-def: $vgpr3_vgpr4
                                        ; implicit-def: $vgpr5
	s_mov_b32 s2, exec_lo
	v_cmpx_eq_u32_e32 0, v0
	s_xor_b32 s4, exec_lo, s2
	s_cbranch_execz .LBB424_93
; %bb.90:
	s_waitcnt lgkmcnt(0)
	v_dual_mov_b32 v3, s16 :: v_dual_mov_b32 v4, s17
	v_mov_b32_e32 v5, s18
	s_cmp_eq_u64 s[14:15], 0
	s_cbranch_scc1 .LBB424_92
; %bb.91:
	v_and_b32_e32 v3, 1, v6
	v_cmp_gt_i64_e32 vcc_lo, s[16:17], v[1:2]
	s_bitcmp1_b32 s18, 0
	s_cselect_b32 s3, -1, 0
	s_delay_alu instid0(VALU_DEP_2) | instskip(NEXT) | instid1(VALU_DEP_1)
	v_cmp_eq_u32_e64 s2, 1, v3
	s_and_b32 vcc_lo, s2, vcc_lo
	v_cndmask_b32_e64 v3, s18, 1, s2
	v_cndmask_b32_e32 v7, s16, v1, vcc_lo
	v_cndmask_b32_e32 v4, s17, v2, vcc_lo
	s_delay_alu instid0(VALU_DEP_3) | instskip(NEXT) | instid1(VALU_DEP_3)
	v_cndmask_b32_e64 v5, v6, v3, s3
	v_cndmask_b32_e64 v3, v1, v7, s3
	s_delay_alu instid0(VALU_DEP_3)
	v_cndmask_b32_e64 v4, v2, v4, s3
.LBB424_92:
	s_mov_b32 s8, exec_lo
.LBB424_93:
	s_or_b32 exec_lo, exec_lo, s4
	s_delay_alu instid0(SALU_CYCLE_1)
	s_and_b32 vcc_lo, exec_lo, s20
	s_cbranch_vccnz .LBB424_24
.LBB424_94:
	s_branch .LBB424_206
.LBB424_95:
                                        ; implicit-def: $vgpr1_vgpr2
                                        ; implicit-def: $vgpr6
	s_cbranch_execz .LBB424_128
; %bb.96:
	s_waitcnt lgkmcnt(2)
	v_mov_b32_e32 v5, 0
	v_dual_mov_b32 v6, 0 :: v_dual_mov_b32 v11, 0
	s_delay_alu instid0(VALU_DEP_2) | instskip(SKIP_2) | instid1(VALU_DEP_3)
	v_mov_b32_e32 v1, v5
	v_mov_b32_e32 v9, 0
	s_sub_i32 s6, s14, s6
	v_mov_b32_e32 v2, v6
	s_mov_b32 s2, exec_lo
	v_cmpx_gt_u32_e64 s6, v0
; %bb.97:
	v_lshlrev_b32_e32 v1, 4, v0
	s_clause 0x1
	global_load_u8 v9, v1, s[4:5]
	global_load_b64 v[1:2], v1, s[4:5] offset:8
; %bb.98:
	s_or_b32 exec_lo, exec_lo, s2
	s_waitcnt lgkmcnt(1)
	v_or_b32_e32 v3, 0x100, v0
	s_delay_alu instid0(VALU_DEP_1) | instskip(NEXT) | instid1(VALU_DEP_1)
	v_cmp_gt_u32_e64 s3, s6, v3
	s_and_saveexec_b32 s2, s3
; %bb.99:
	v_lshlrev_b32_e32 v3, 4, v3
	s_clause 0x1
	global_load_u8 v11, v3, s[4:5]
	global_load_b64 v[5:6], v3, s[4:5] offset:8
; %bb.100:
	s_or_b32 exec_lo, exec_lo, s2
	s_waitcnt lgkmcnt(0)
	v_dual_mov_b32 v3, 0 :: v_dual_mov_b32 v10, 0
	v_mov_b32_e32 v4, 0
	v_or_b32_e32 v13, 0x200, v0
	v_mov_b32_e32 v12, 0
	s_delay_alu instid0(VALU_DEP_3) | instskip(NEXT) | instid1(VALU_DEP_3)
	v_dual_mov_b32 v8, v4 :: v_dual_mov_b32 v7, v3
	v_cmp_gt_u32_e64 s2, s6, v13
	s_delay_alu instid0(VALU_DEP_1)
	s_and_saveexec_b32 s7, s2
; %bb.101:
	v_lshlrev_b32_e32 v7, 4, v13
	s_clause 0x1
	global_load_u8 v12, v7, s[4:5]
	global_load_b64 v[7:8], v7, s[4:5] offset:8
; %bb.102:
	s_or_b32 exec_lo, exec_lo, s7
	v_or_b32_e32 v13, 0x300, v0
	s_delay_alu instid0(VALU_DEP_1)
	v_cmp_gt_u32_e32 vcc_lo, s6, v13
	s_and_saveexec_b32 s7, vcc_lo
	s_cbranch_execnz .LBB424_245
; %bb.103:
	s_or_b32 exec_lo, exec_lo, s7
	s_and_saveexec_b32 s5, s3
	s_cbranch_execnz .LBB424_246
.LBB424_104:
	s_or_b32 exec_lo, exec_lo, s5
	s_and_saveexec_b32 s4, s2
	s_cbranch_execnz .LBB424_247
.LBB424_105:
	s_or_b32 exec_lo, exec_lo, s4
	s_and_saveexec_b32 s3, vcc_lo
	s_cbranch_execz .LBB424_107
.LBB424_106:
	s_waitcnt vmcnt(0)
	v_and_b32_e32 v5, 1, v10
	v_cmp_lt_i64_e32 vcc_lo, v[3:4], v[1:2]
	s_delay_alu instid0(VALU_DEP_2) | instskip(NEXT) | instid1(VALU_DEP_1)
	v_cmp_eq_u32_e64 s2, 1, v5
	s_and_b32 vcc_lo, s2, vcc_lo
	v_cndmask_b32_e64 v6, v9, 1, s2
	v_dual_cndmask_b32 v2, v2, v4 :: v_dual_and_b32 v5, 1, v9
	v_cndmask_b32_e32 v1, v1, v3, vcc_lo
	s_delay_alu instid0(VALU_DEP_2) | instskip(NEXT) | instid1(VALU_DEP_3)
	v_cmp_eq_u32_e32 vcc_lo, 1, v5
	v_cndmask_b32_e32 v2, v4, v2, vcc_lo
	v_cndmask_b32_e32 v9, v10, v6, vcc_lo
	s_delay_alu instid0(VALU_DEP_4)
	v_cndmask_b32_e32 v1, v3, v1, vcc_lo
.LBB424_107:
	s_or_b32 exec_lo, exec_lo, s3
	s_waitcnt vmcnt(0)
	v_mbcnt_lo_u32_b32 v5, -1, 0
	v_and_b32_e32 v7, 0xe0, v0
	s_min_u32 s3, s6, 0x100
	v_and_b32_e32 v6, 0xff, v9
	s_delay_alu instid0(VALU_DEP_3) | instskip(NEXT) | instid1(VALU_DEP_3)
	v_cmp_ne_u32_e32 vcc_lo, 31, v5
	v_sub_nc_u32_e64 v8, s3, v7 clamp
	v_add_nc_u32_e32 v7, 1, v5
	v_add_co_ci_u32_e32 v3, vcc_lo, 0, v5, vcc_lo
	s_delay_alu instid0(VALU_DEP_2) | instskip(NEXT) | instid1(VALU_DEP_2)
	v_cmp_lt_u32_e32 vcc_lo, v7, v8
	v_dual_mov_b32 v7, v6 :: v_dual_lshlrev_b32 v4, 2, v3
	ds_bpermute_b32 v10, v4, v6
	ds_bpermute_b32 v3, v4, v1
	;; [unrolled: 1-line block ×3, first 2 shown]
	s_and_saveexec_b32 s2, vcc_lo
	s_delay_alu instid0(SALU_CYCLE_1)
	s_xor_b32 s4, exec_lo, s2
	s_cbranch_execz .LBB424_109
; %bb.108:
	s_waitcnt lgkmcnt(2)
	v_and_b32_e32 v7, 1, v10
	s_waitcnt lgkmcnt(0)
	v_cmp_lt_i64_e32 vcc_lo, v[3:4], v[1:2]
	s_delay_alu instid0(VALU_DEP_2) | instskip(SKIP_1) | instid1(VALU_DEP_2)
	v_cmp_eq_u32_e64 s2, 1, v7
	v_and_b32_e32 v7, 1, v9
	v_cndmask_b32_e64 v6, v6, 1, s2
	s_and_b32 vcc_lo, s2, vcc_lo
	s_delay_alu instid0(VALU_DEP_2) | instskip(SKIP_1) | instid1(VALU_DEP_2)
	v_cmp_eq_u32_e64 s2, 1, v7
	v_dual_cndmask_b32 v2, v2, v4 :: v_dual_cndmask_b32 v1, v1, v3
	v_cndmask_b32_e64 v7, v10, v6, s2
	s_delay_alu instid0(VALU_DEP_2) | instskip(NEXT) | instid1(VALU_DEP_3)
	v_cndmask_b32_e64 v2, v4, v2, s2
	v_cndmask_b32_e64 v1, v3, v1, s2
	s_delay_alu instid0(VALU_DEP_3)
	v_and_b32_e32 v6, 0xff, v7
.LBB424_109:
	s_or_b32 exec_lo, exec_lo, s4
	v_cmp_gt_u32_e32 vcc_lo, 30, v5
	s_waitcnt lgkmcnt(2)
	v_add_nc_u32_e32 v10, 2, v5
	s_mov_b32 s4, exec_lo
	s_waitcnt lgkmcnt(1)
	v_cndmask_b32_e64 v3, 0, 1, vcc_lo
	s_delay_alu instid0(VALU_DEP_1) | instskip(SKIP_1) | instid1(VALU_DEP_1)
	v_lshlrev_b32_e32 v3, 1, v3
	s_waitcnt lgkmcnt(0)
	v_add_lshl_u32 v4, v3, v5, 2
	ds_bpermute_b32 v9, v4, v6
	ds_bpermute_b32 v3, v4, v1
	ds_bpermute_b32 v4, v4, v2
	v_cmpx_lt_u32_e64 v10, v8
	s_cbranch_execz .LBB424_111
; %bb.110:
	s_waitcnt lgkmcnt(2)
	v_and_b32_e32 v6, 1, v9
	s_waitcnt lgkmcnt(0)
	v_cmp_lt_i64_e32 vcc_lo, v[3:4], v[1:2]
	s_delay_alu instid0(VALU_DEP_2) | instskip(SKIP_1) | instid1(VALU_DEP_2)
	v_cmp_eq_u32_e64 s2, 1, v6
	v_and_b32_e32 v6, 1, v7
	v_cndmask_b32_e64 v7, v7, 1, s2
	s_and_b32 vcc_lo, s2, vcc_lo
	s_delay_alu instid0(VALU_DEP_2) | instskip(SKIP_1) | instid1(VALU_DEP_2)
	v_cmp_eq_u32_e64 s2, 1, v6
	v_dual_cndmask_b32 v1, v1, v3 :: v_dual_cndmask_b32 v2, v2, v4
	v_cndmask_b32_e64 v7, v9, v7, s2
	s_delay_alu instid0(VALU_DEP_2) | instskip(NEXT) | instid1(VALU_DEP_3)
	v_cndmask_b32_e64 v1, v3, v1, s2
	v_cndmask_b32_e64 v2, v4, v2, s2
	s_delay_alu instid0(VALU_DEP_3)
	v_and_b32_e32 v6, 0xff, v7
.LBB424_111:
	s_or_b32 exec_lo, exec_lo, s4
	v_cmp_gt_u32_e32 vcc_lo, 28, v5
	v_add_nc_u32_e32 v10, 4, v5
	s_mov_b32 s4, exec_lo
	s_waitcnt lgkmcnt(1)
	v_cndmask_b32_e64 v3, 0, 1, vcc_lo
	s_delay_alu instid0(VALU_DEP_1) | instskip(SKIP_1) | instid1(VALU_DEP_1)
	v_lshlrev_b32_e32 v3, 2, v3
	s_waitcnt lgkmcnt(0)
	v_add_lshl_u32 v4, v3, v5, 2
	ds_bpermute_b32 v9, v4, v6
	ds_bpermute_b32 v3, v4, v1
	ds_bpermute_b32 v4, v4, v2
	v_cmpx_lt_u32_e64 v10, v8
	s_cbranch_execz .LBB424_113
; %bb.112:
	s_waitcnt lgkmcnt(2)
	v_and_b32_e32 v6, 1, v9
	s_waitcnt lgkmcnt(0)
	v_cmp_lt_i64_e32 vcc_lo, v[3:4], v[1:2]
	s_delay_alu instid0(VALU_DEP_2) | instskip(SKIP_1) | instid1(VALU_DEP_2)
	v_cmp_eq_u32_e64 s2, 1, v6
	v_and_b32_e32 v6, 1, v7
	v_cndmask_b32_e64 v7, v7, 1, s2
	s_and_b32 vcc_lo, s2, vcc_lo
	s_delay_alu instid0(VALU_DEP_2) | instskip(SKIP_1) | instid1(VALU_DEP_2)
	v_cmp_eq_u32_e64 s2, 1, v6
	v_dual_cndmask_b32 v1, v1, v3 :: v_dual_cndmask_b32 v2, v2, v4
	v_cndmask_b32_e64 v7, v9, v7, s2
	s_delay_alu instid0(VALU_DEP_2) | instskip(NEXT) | instid1(VALU_DEP_3)
	v_cndmask_b32_e64 v1, v3, v1, s2
	v_cndmask_b32_e64 v2, v4, v2, s2
	s_delay_alu instid0(VALU_DEP_3)
	v_and_b32_e32 v6, 0xff, v7
.LBB424_113:
	s_or_b32 exec_lo, exec_lo, s4
	v_cmp_gt_u32_e32 vcc_lo, 24, v5
	;; [unrolled: 35-line block ×3, first 2 shown]
	v_add_nc_u32_e32 v10, 16, v5
	s_mov_b32 s4, exec_lo
	s_waitcnt lgkmcnt(1)
	v_cndmask_b32_e64 v3, 0, 1, vcc_lo
	s_delay_alu instid0(VALU_DEP_1) | instskip(SKIP_1) | instid1(VALU_DEP_1)
	v_lshlrev_b32_e32 v3, 4, v3
	s_waitcnt lgkmcnt(0)
	v_add_lshl_u32 v4, v3, v5, 2
	ds_bpermute_b32 v9, v4, v6
	ds_bpermute_b32 v3, v4, v1
	;; [unrolled: 1-line block ×3, first 2 shown]
	v_cmpx_lt_u32_e64 v10, v8
	s_cbranch_execz .LBB424_117
; %bb.116:
	s_waitcnt lgkmcnt(2)
	v_and_b32_e32 v6, 1, v9
	s_waitcnt lgkmcnt(0)
	v_cmp_lt_i64_e32 vcc_lo, v[3:4], v[1:2]
	s_delay_alu instid0(VALU_DEP_2) | instskip(SKIP_1) | instid1(VALU_DEP_2)
	v_cmp_eq_u32_e64 s2, 1, v6
	v_and_b32_e32 v6, 1, v7
	v_cndmask_b32_e64 v7, v7, 1, s2
	s_and_b32 vcc_lo, s2, vcc_lo
	s_delay_alu instid0(VALU_DEP_2) | instskip(SKIP_1) | instid1(VALU_DEP_2)
	v_cmp_eq_u32_e64 s2, 1, v6
	v_dual_cndmask_b32 v1, v1, v3 :: v_dual_cndmask_b32 v2, v2, v4
	v_cndmask_b32_e64 v7, v9, v7, s2
	s_delay_alu instid0(VALU_DEP_2) | instskip(NEXT) | instid1(VALU_DEP_3)
	v_cndmask_b32_e64 v1, v3, v1, s2
	v_cndmask_b32_e64 v2, v4, v2, s2
	s_delay_alu instid0(VALU_DEP_3)
	v_and_b32_e32 v6, 0xff, v7
.LBB424_117:
	s_or_b32 exec_lo, exec_lo, s4
	s_delay_alu instid0(SALU_CYCLE_1)
	s_mov_b32 s2, exec_lo
	v_cmpx_eq_u32_e32 0, v5
	s_cbranch_execz .LBB424_119
; %bb.118:
	s_waitcnt lgkmcnt(1)
	v_lshrrev_b32_e32 v3, 1, v0
	s_delay_alu instid0(VALU_DEP_1)
	v_and_b32_e32 v3, 0x70, v3
	ds_store_b8 v3, v7 offset:512
	ds_store_b64 v3, v[1:2] offset:520
.LBB424_119:
	s_or_b32 exec_lo, exec_lo, s2
	s_delay_alu instid0(SALU_CYCLE_1)
	s_mov_b32 s4, exec_lo
	s_waitcnt lgkmcnt(0)
	s_barrier
	buffer_gl0_inv
	v_cmpx_gt_u32_e32 8, v0
	s_cbranch_execz .LBB424_127
; %bb.120:
	v_lshlrev_b32_e32 v1, 4, v5
	v_and_b32_e32 v8, 7, v5
	s_add_i32 s3, s3, 31
	s_mov_b32 s5, exec_lo
	s_lshr_b32 s3, s3, 5
	ds_load_u8 v7, v1 offset:512
	ds_load_b64 v[1:2], v1 offset:520
	v_cmp_ne_u32_e32 vcc_lo, 7, v8
	v_add_nc_u32_e32 v10, 1, v8
	v_add_co_ci_u32_e32 v3, vcc_lo, 0, v5, vcc_lo
	s_delay_alu instid0(VALU_DEP_1)
	v_lshlrev_b32_e32 v4, 2, v3
	s_waitcnt lgkmcnt(1)
	v_and_b32_e32 v6, 0xff, v7
	s_waitcnt lgkmcnt(0)
	ds_bpermute_b32 v3, v4, v1
	ds_bpermute_b32 v9, v4, v6
	ds_bpermute_b32 v4, v4, v2
	v_cmpx_gt_u32_e64 s3, v10
	s_cbranch_execz .LBB424_122
; %bb.121:
	s_waitcnt lgkmcnt(1)
	v_and_b32_e32 v6, 1, v9
	s_waitcnt lgkmcnt(0)
	v_cmp_lt_i64_e32 vcc_lo, v[3:4], v[1:2]
	s_delay_alu instid0(VALU_DEP_2) | instskip(SKIP_1) | instid1(VALU_DEP_2)
	v_cmp_eq_u32_e64 s2, 1, v6
	v_and_b32_e32 v6, 1, v7
	v_cndmask_b32_e64 v7, v7, 1, s2
	s_and_b32 vcc_lo, s2, vcc_lo
	s_delay_alu instid0(VALU_DEP_2) | instskip(SKIP_1) | instid1(VALU_DEP_2)
	v_cmp_eq_u32_e64 s2, 1, v6
	v_dual_cndmask_b32 v1, v1, v3 :: v_dual_cndmask_b32 v2, v2, v4
	v_cndmask_b32_e64 v7, v9, v7, s2
	s_delay_alu instid0(VALU_DEP_2) | instskip(NEXT) | instid1(VALU_DEP_3)
	v_cndmask_b32_e64 v1, v3, v1, s2
	v_cndmask_b32_e64 v2, v4, v2, s2
	s_delay_alu instid0(VALU_DEP_3)
	v_and_b32_e32 v6, 0xff, v7
.LBB424_122:
	s_or_b32 exec_lo, exec_lo, s5
	v_cmp_gt_u32_e32 vcc_lo, 6, v8
	v_add_nc_u32_e32 v10, 2, v8
	s_mov_b32 s5, exec_lo
	s_waitcnt lgkmcnt(2)
	v_cndmask_b32_e64 v3, 0, 1, vcc_lo
	s_delay_alu instid0(VALU_DEP_1) | instskip(SKIP_1) | instid1(VALU_DEP_1)
	v_lshlrev_b32_e32 v3, 1, v3
	s_waitcnt lgkmcnt(0)
	v_add_lshl_u32 v4, v3, v5, 2
	ds_bpermute_b32 v9, v4, v6
	ds_bpermute_b32 v3, v4, v1
	;; [unrolled: 1-line block ×3, first 2 shown]
	v_cmpx_gt_u32_e64 s3, v10
	s_cbranch_execz .LBB424_124
; %bb.123:
	s_waitcnt lgkmcnt(2)
	v_and_b32_e32 v6, 1, v9
	s_waitcnt lgkmcnt(0)
	v_cmp_lt_i64_e32 vcc_lo, v[3:4], v[1:2]
	s_delay_alu instid0(VALU_DEP_2) | instskip(SKIP_1) | instid1(VALU_DEP_2)
	v_cmp_eq_u32_e64 s2, 1, v6
	v_and_b32_e32 v6, 1, v7
	v_cndmask_b32_e64 v7, v7, 1, s2
	s_and_b32 vcc_lo, s2, vcc_lo
	s_delay_alu instid0(VALU_DEP_2) | instskip(SKIP_1) | instid1(VALU_DEP_2)
	v_cmp_eq_u32_e64 s2, 1, v6
	v_dual_cndmask_b32 v1, v1, v3 :: v_dual_cndmask_b32 v2, v2, v4
	v_cndmask_b32_e64 v7, v9, v7, s2
	s_delay_alu instid0(VALU_DEP_2) | instskip(NEXT) | instid1(VALU_DEP_3)
	v_cndmask_b32_e64 v1, v3, v1, s2
	v_cndmask_b32_e64 v2, v4, v2, s2
	s_delay_alu instid0(VALU_DEP_3)
	v_and_b32_e32 v6, 0xff, v7
.LBB424_124:
	s_or_b32 exec_lo, exec_lo, s5
	v_cmp_gt_u32_e32 vcc_lo, 4, v8
	v_add_nc_u32_e32 v8, 4, v8
	s_waitcnt lgkmcnt(1)
	v_cndmask_b32_e64 v3, 0, 1, vcc_lo
	s_delay_alu instid0(VALU_DEP_2) | instskip(NEXT) | instid1(VALU_DEP_2)
	v_cmp_gt_u32_e32 vcc_lo, s3, v8
	v_lshlrev_b32_e32 v3, 2, v3
	s_waitcnt lgkmcnt(0)
	s_delay_alu instid0(VALU_DEP_1)
	v_add_lshl_u32 v4, v3, v5, 2
	ds_bpermute_b32 v5, v4, v6
	ds_bpermute_b32 v3, v4, v1
	;; [unrolled: 1-line block ×3, first 2 shown]
	s_and_saveexec_b32 s3, vcc_lo
	s_cbranch_execz .LBB424_126
; %bb.125:
	s_waitcnt lgkmcnt(2)
	v_and_b32_e32 v6, 1, v5
	s_waitcnt lgkmcnt(0)
	v_cmp_lt_i64_e32 vcc_lo, v[3:4], v[1:2]
	s_delay_alu instid0(VALU_DEP_2) | instskip(SKIP_1) | instid1(VALU_DEP_2)
	v_cmp_eq_u32_e64 s2, 1, v6
	v_and_b32_e32 v6, 1, v7
	v_cndmask_b32_e64 v7, v7, 1, s2
	s_and_b32 vcc_lo, s2, vcc_lo
	s_delay_alu instid0(VALU_DEP_2) | instskip(SKIP_1) | instid1(VALU_DEP_2)
	v_cmp_eq_u32_e64 s2, 1, v6
	v_dual_cndmask_b32 v1, v1, v3 :: v_dual_cndmask_b32 v2, v2, v4
	v_cndmask_b32_e64 v5, v5, v7, s2
	s_delay_alu instid0(VALU_DEP_2) | instskip(NEXT) | instid1(VALU_DEP_3)
	v_cndmask_b32_e64 v1, v3, v1, s2
	v_cndmask_b32_e64 v2, v4, v2, s2
	s_delay_alu instid0(VALU_DEP_3)
	v_and_b32_e32 v6, 0xff, v5
.LBB424_126:
	s_or_b32 exec_lo, exec_lo, s3
.LBB424_127:
	s_delay_alu instid0(SALU_CYCLE_1)
	s_or_b32 exec_lo, exec_lo, s4
.LBB424_128:
                                        ; implicit-def: $vgpr3_vgpr4
                                        ; implicit-def: $vgpr5
	s_delay_alu instid0(SALU_CYCLE_1)
	s_mov_b32 s2, exec_lo
	v_cmpx_eq_u32_e32 0, v0
	s_xor_b32 s4, exec_lo, s2
	s_cbranch_execz .LBB424_132
; %bb.129:
	s_waitcnt lgkmcnt(0)
	v_dual_mov_b32 v3, s16 :: v_dual_mov_b32 v4, s17
	v_mov_b32_e32 v5, s18
	s_cmp_eq_u64 s[14:15], 0
	s_cbranch_scc1 .LBB424_131
; %bb.130:
	v_and_b32_e32 v3, 1, v6
	v_cmp_gt_i64_e32 vcc_lo, s[16:17], v[1:2]
	s_bitcmp1_b32 s18, 0
	s_cselect_b32 s3, -1, 0
	s_delay_alu instid0(VALU_DEP_2) | instskip(NEXT) | instid1(VALU_DEP_1)
	v_cmp_eq_u32_e64 s2, 1, v3
	s_and_b32 vcc_lo, s2, vcc_lo
	v_cndmask_b32_e64 v3, s18, 1, s2
	v_cndmask_b32_e32 v7, s16, v1, vcc_lo
	v_cndmask_b32_e32 v4, s17, v2, vcc_lo
	s_delay_alu instid0(VALU_DEP_3) | instskip(NEXT) | instid1(VALU_DEP_3)
	v_cndmask_b32_e64 v5, v6, v3, s3
	v_cndmask_b32_e64 v3, v1, v7, s3
	s_delay_alu instid0(VALU_DEP_3)
	v_cndmask_b32_e64 v4, v2, v4, s3
.LBB424_131:
	s_or_b32 s8, s8, exec_lo
.LBB424_132:
	s_or_b32 exec_lo, exec_lo, s4
	s_branch .LBB424_206
.LBB424_133:
	s_cmp_gt_i32 s19, 1
	s_cbranch_scc0 .LBB424_153
; %bb.134:
	s_cmp_eq_u32 s19, 2
	s_cbranch_scc0 .LBB424_154
; %bb.135:
	s_mov_b32 s11, 0
	s_lshl_b32 s6, s10, 9
	s_mov_b32 s7, s11
	s_lshr_b64 s[20:21], s[14:15], 9
	s_lshl_b64 s[2:3], s[6:7], 4
	s_delay_alu instid0(SALU_CYCLE_1)
	s_add_u32 s4, s12, s2
	s_addc_u32 s5, s13, s3
	s_cmp_lg_u64 s[20:21], s[10:11]
	s_cbranch_scc0 .LBB424_155
; %bb.136:
	v_lshlrev_b32_e32 v1, 4, v0
	s_mov_b32 s3, exec_lo
	s_waitcnt lgkmcnt(1)
	s_delay_alu instid0(VALU_DEP_1)
	v_add_co_u32 v3, s2, s4, v1
	s_waitcnt lgkmcnt(0)
	v_add_co_ci_u32_e64 v4, null, s5, 0, s2
	global_load_u8 v5, v1, s[4:5]
	v_add_co_u32 v1, vcc_lo, 0x1000, v3
	v_add_co_ci_u32_e32 v2, vcc_lo, 0, v4, vcc_lo
	s_clause 0x1
	global_load_u8 v6, v[1:2], off
	global_load_b64 v[1:2], v[1:2], off offset:8
	s_waitcnt vmcnt(2)
	v_and_b32_e32 v7, 1, v5
	s_delay_alu instid0(VALU_DEP_1)
	v_cmpx_eq_u32_e32 1, v7
	s_cbranch_execz .LBB424_138
; %bb.137:
	global_load_b64 v[3:4], v[3:4], off offset:8
	s_waitcnt vmcnt(2)
	v_and_b32_e32 v6, 1, v6
	s_delay_alu instid0(VALU_DEP_1) | instskip(NEXT) | instid1(VALU_DEP_1)
	v_cmp_eq_u32_e64 s2, 1, v6
	v_cndmask_b32_e64 v6, v5, 1, s2
	s_waitcnt vmcnt(0)
	v_cmp_lt_i64_e32 vcc_lo, v[1:2], v[3:4]
	v_cndmask_b32_e32 v2, v4, v2, vcc_lo
	s_and_b32 vcc_lo, s2, vcc_lo
	v_cndmask_b32_e32 v1, v3, v1, vcc_lo
	s_delay_alu instid0(VALU_DEP_2)
	v_cndmask_b32_e64 v2, v4, v2, s2
.LBB424_138:
	s_or_b32 exec_lo, exec_lo, s3
	s_waitcnt vmcnt(1)
	v_and_b32_e32 v5, 0xff, v6
	v_and_b32_e32 v6, 1, v6
	s_waitcnt vmcnt(0)
	v_mov_b32_dpp v3, v1 quad_perm:[1,0,3,2] row_mask:0xf bank_mask:0xf
	v_mov_b32_dpp v4, v2 quad_perm:[1,0,3,2] row_mask:0xf bank_mask:0xf
	s_mov_b32 s7, exec_lo
	v_mov_b32_dpp v7, v5 quad_perm:[1,0,3,2] row_mask:0xf bank_mask:0xf
	v_cmp_eq_u32_e64 s3, 1, v6
	s_delay_alu instid0(VALU_DEP_2) | instskip(NEXT) | instid1(VALU_DEP_1)
	v_and_b32_e32 v8, 1, v7
	v_cmpx_eq_u32_e32 1, v8
; %bb.139:
	s_delay_alu instid0(VALU_DEP_3) | instskip(SKIP_1) | instid1(VALU_DEP_2)
	v_cndmask_b32_e64 v5, v7, 1, s3
	v_cmp_lt_i64_e32 vcc_lo, v[1:2], v[3:4]
	v_and_b32_e32 v6, 1, v5
	v_and_b32_e32 v5, 0xff, v5
	s_and_b32 vcc_lo, s3, vcc_lo
	s_and_not1_b32 s3, s3, exec_lo
	v_dual_cndmask_b32 v2, v4, v2 :: v_dual_cndmask_b32 v1, v3, v1
	v_cmp_eq_u32_e64 s2, 1, v6
	s_delay_alu instid0(VALU_DEP_1) | instskip(NEXT) | instid1(SALU_CYCLE_1)
	s_and_b32 s2, s2, exec_lo
	s_or_b32 s3, s3, s2
; %bb.140:
	s_or_b32 exec_lo, exec_lo, s7
	v_mov_b32_dpp v6, v5 quad_perm:[2,3,0,1] row_mask:0xf bank_mask:0xf
	v_mov_b32_dpp v3, v1 quad_perm:[2,3,0,1] row_mask:0xf bank_mask:0xf
	;; [unrolled: 1-line block ×3, first 2 shown]
	s_mov_b32 s7, exec_lo
	s_delay_alu instid0(VALU_DEP_3) | instskip(NEXT) | instid1(VALU_DEP_1)
	v_and_b32_e32 v7, 1, v6
	v_cmpx_eq_u32_e32 1, v7
; %bb.141:
	v_cndmask_b32_e64 v5, v6, 1, s3
	v_cmp_lt_i64_e32 vcc_lo, v[1:2], v[3:4]
	s_delay_alu instid0(VALU_DEP_2)
	v_and_b32_e32 v6, 1, v5
	v_and_b32_e32 v5, 0xff, v5
	s_and_b32 vcc_lo, s3, vcc_lo
	s_and_not1_b32 s3, s3, exec_lo
	v_dual_cndmask_b32 v2, v4, v2 :: v_dual_cndmask_b32 v1, v3, v1
	v_cmp_eq_u32_e64 s2, 1, v6
	s_delay_alu instid0(VALU_DEP_1) | instskip(NEXT) | instid1(SALU_CYCLE_1)
	s_and_b32 s2, s2, exec_lo
	s_or_b32 s3, s3, s2
; %bb.142:
	s_or_b32 exec_lo, exec_lo, s7
	v_mov_b32_dpp v6, v5 row_ror:4 row_mask:0xf bank_mask:0xf
	v_mov_b32_dpp v3, v1 row_ror:4 row_mask:0xf bank_mask:0xf
	;; [unrolled: 1-line block ×3, first 2 shown]
	s_mov_b32 s7, exec_lo
	s_delay_alu instid0(VALU_DEP_3) | instskip(NEXT) | instid1(VALU_DEP_1)
	v_and_b32_e32 v7, 1, v6
	v_cmpx_eq_u32_e32 1, v7
; %bb.143:
	v_cndmask_b32_e64 v5, v6, 1, s3
	v_cmp_lt_i64_e32 vcc_lo, v[1:2], v[3:4]
	s_delay_alu instid0(VALU_DEP_2)
	v_and_b32_e32 v6, 1, v5
	v_and_b32_e32 v5, 0xff, v5
	s_and_b32 vcc_lo, s3, vcc_lo
	s_and_not1_b32 s3, s3, exec_lo
	v_dual_cndmask_b32 v2, v4, v2 :: v_dual_cndmask_b32 v1, v3, v1
	v_cmp_eq_u32_e64 s2, 1, v6
	s_delay_alu instid0(VALU_DEP_1) | instskip(NEXT) | instid1(SALU_CYCLE_1)
	s_and_b32 s2, s2, exec_lo
	s_or_b32 s3, s3, s2
; %bb.144:
	s_or_b32 exec_lo, exec_lo, s7
	v_mov_b32_dpp v6, v5 row_ror:8 row_mask:0xf bank_mask:0xf
	v_mov_b32_dpp v3, v1 row_ror:8 row_mask:0xf bank_mask:0xf
	;; [unrolled: 1-line block ×3, first 2 shown]
	s_mov_b32 s7, exec_lo
	s_delay_alu instid0(VALU_DEP_3) | instskip(NEXT) | instid1(VALU_DEP_1)
	v_and_b32_e32 v7, 1, v6
	v_cmpx_eq_u32_e32 1, v7
; %bb.145:
	v_cndmask_b32_e64 v5, v6, 1, s3
	v_cmp_lt_i64_e32 vcc_lo, v[1:2], v[3:4]
	s_delay_alu instid0(VALU_DEP_2)
	v_and_b32_e32 v6, 1, v5
	v_and_b32_e32 v5, 0xff, v5
	s_and_b32 vcc_lo, s3, vcc_lo
	s_and_not1_b32 s3, s3, exec_lo
	v_dual_cndmask_b32 v2, v4, v2 :: v_dual_cndmask_b32 v1, v3, v1
	v_cmp_eq_u32_e64 s2, 1, v6
	s_delay_alu instid0(VALU_DEP_1) | instskip(NEXT) | instid1(SALU_CYCLE_1)
	s_and_b32 s2, s2, exec_lo
	s_or_b32 s3, s3, s2
; %bb.146:
	s_or_b32 exec_lo, exec_lo, s7
	ds_swizzle_b32 v6, v5 offset:swizzle(BROADCAST,32,15)
	ds_swizzle_b32 v3, v1 offset:swizzle(BROADCAST,32,15)
	;; [unrolled: 1-line block ×3, first 2 shown]
	s_mov_b32 s2, exec_lo
	s_waitcnt lgkmcnt(2)
	v_and_b32_e32 v7, 1, v6
	s_delay_alu instid0(VALU_DEP_1)
	v_cmpx_eq_u32_e32 1, v7
	s_cbranch_execz .LBB424_148
; %bb.147:
	s_waitcnt lgkmcnt(0)
	v_cmp_lt_i64_e32 vcc_lo, v[1:2], v[3:4]
	v_and_b32_e32 v5, 0xff, v6
	s_delay_alu instid0(VALU_DEP_1)
	v_cndmask_b32_e64 v5, v5, 1, s3
	s_and_b32 vcc_lo, s3, vcc_lo
	v_dual_cndmask_b32 v1, v3, v1 :: v_dual_cndmask_b32 v2, v4, v2
.LBB424_148:
	s_or_b32 exec_lo, exec_lo, s2
	s_waitcnt lgkmcnt(1)
	v_mov_b32_e32 v3, 0
	s_mov_b32 s2, exec_lo
	ds_bpermute_b32 v6, v3, v5 offset:124
	ds_bpermute_b32 v1, v3, v1 offset:124
	;; [unrolled: 1-line block ×3, first 2 shown]
	v_mbcnt_lo_u32_b32 v3, -1, 0
	s_delay_alu instid0(VALU_DEP_1)
	v_cmpx_eq_u32_e32 0, v3
	s_cbranch_execz .LBB424_150
; %bb.149:
	s_waitcnt lgkmcnt(3)
	v_lshrrev_b32_e32 v4, 1, v0
	s_delay_alu instid0(VALU_DEP_1)
	v_and_b32_e32 v4, 0x70, v4
	s_waitcnt lgkmcnt(2)
	ds_store_b8 v4, v6 offset:128
	s_waitcnt lgkmcnt(1)
	ds_store_b64 v4, v[1:2] offset:136
.LBB424_150:
	s_or_b32 exec_lo, exec_lo, s2
	s_delay_alu instid0(SALU_CYCLE_1)
	s_mov_b32 s7, exec_lo
	s_waitcnt lgkmcnt(0)
	s_barrier
	buffer_gl0_inv
	v_cmpx_gt_u32_e32 32, v0
	s_cbranch_execz .LBB424_152
; %bb.151:
	v_and_b32_e32 v6, 7, v3
	s_delay_alu instid0(VALU_DEP_1)
	v_lshlrev_b32_e32 v1, 4, v6
	v_cmp_ne_u32_e32 vcc_lo, 7, v6
	ds_load_u8 v7, v1 offset:128
	ds_load_b64 v[1:2], v1 offset:136
	v_add_co_ci_u32_e32 v4, vcc_lo, 0, v3, vcc_lo
	v_cmp_gt_u32_e32 vcc_lo, 6, v6
	s_delay_alu instid0(VALU_DEP_2)
	v_lshlrev_b32_e32 v5, 2, v4
	v_cndmask_b32_e64 v10, 0, 1, vcc_lo
	s_waitcnt lgkmcnt(1)
	v_and_b32_e32 v4, 0xff, v7
	v_and_b32_e32 v11, 1, v7
	ds_bpermute_b32 v8, v5, v4
	s_waitcnt lgkmcnt(1)
	ds_bpermute_b32 v4, v5, v1
	ds_bpermute_b32 v5, v5, v2
	v_cmp_eq_u32_e64 s3, 1, v11
	s_waitcnt lgkmcnt(2)
	v_and_b32_e32 v9, 1, v8
	s_waitcnt lgkmcnt(0)
	v_cmp_lt_i64_e64 s2, v[4:5], v[1:2]
	s_delay_alu instid0(VALU_DEP_2) | instskip(SKIP_2) | instid1(VALU_DEP_4)
	v_cmp_eq_u32_e32 vcc_lo, 1, v9
	v_lshlrev_b32_e32 v9, 1, v10
	v_cndmask_b32_e64 v7, v7, 1, vcc_lo
	s_and_b32 vcc_lo, vcc_lo, s2
	v_dual_cndmask_b32 v1, v1, v4 :: v_dual_cndmask_b32 v2, v2, v5
	s_delay_alu instid0(VALU_DEP_2) | instskip(SKIP_2) | instid1(VALU_DEP_4)
	v_cndmask_b32_e64 v7, v8, v7, s3
	v_add_lshl_u32 v8, v9, v3, 2
	v_cmp_gt_u32_e32 vcc_lo, 4, v6
	v_cndmask_b32_e64 v1, v4, v1, s3
	v_cndmask_b32_e64 v2, v5, v2, s3
	v_and_b32_e32 v9, 0xff, v7
	v_and_b32_e32 v10, 1, v7
	v_cndmask_b32_e64 v6, 0, 1, vcc_lo
	ds_bpermute_b32 v4, v8, v1
	ds_bpermute_b32 v5, v8, v2
	;; [unrolled: 1-line block ×3, first 2 shown]
	v_cmp_eq_u32_e64 s3, 1, v10
	s_waitcnt lgkmcnt(1)
	v_cmp_lt_i64_e64 s2, v[4:5], v[1:2]
	s_waitcnt lgkmcnt(0)
	v_and_b32_e32 v8, 1, v9
	s_delay_alu instid0(VALU_DEP_1) | instskip(SKIP_1) | instid1(VALU_DEP_4)
	v_cmp_eq_u32_e32 vcc_lo, 1, v8
	v_cndmask_b32_e64 v7, v7, 1, vcc_lo
	s_and_b32 vcc_lo, vcc_lo, s2
	v_dual_cndmask_b32 v1, v1, v4 :: v_dual_cndmask_b32 v2, v2, v5
	s_delay_alu instid0(VALU_DEP_2) | instskip(NEXT) | instid1(VALU_DEP_2)
	v_cndmask_b32_e64 v7, v9, v7, s3
	v_cndmask_b32_e64 v1, v4, v1, s3
	v_lshlrev_b32_e32 v6, 2, v6
	s_delay_alu instid0(VALU_DEP_4) | instskip(NEXT) | instid1(VALU_DEP_2)
	v_cndmask_b32_e64 v2, v5, v2, s3
	v_add_lshl_u32 v6, v6, v3, 2
	v_and_b32_e32 v3, 0xff, v7
	ds_bpermute_b32 v4, v6, v2
	ds_bpermute_b32 v5, v6, v3
	;; [unrolled: 1-line block ×3, first 2 shown]
	s_waitcnt lgkmcnt(1)
	v_and_b32_e32 v6, 1, v5
	s_waitcnt lgkmcnt(0)
	v_cmp_lt_i64_e32 vcc_lo, v[3:4], v[1:2]
	s_delay_alu instid0(VALU_DEP_2) | instskip(SKIP_1) | instid1(VALU_DEP_2)
	v_cmp_eq_u32_e64 s2, 1, v6
	v_and_b32_e32 v6, 1, v7
	v_cndmask_b32_e64 v7, v7, 1, s2
	s_and_b32 vcc_lo, s2, vcc_lo
	s_delay_alu instid0(VALU_DEP_2) | instskip(SKIP_1) | instid1(VALU_DEP_2)
	v_cmp_eq_u32_e64 s2, 1, v6
	v_dual_cndmask_b32 v1, v1, v3 :: v_dual_cndmask_b32 v2, v2, v4
	v_cndmask_b32_e64 v5, v5, v7, s2
	s_delay_alu instid0(VALU_DEP_2) | instskip(NEXT) | instid1(VALU_DEP_3)
	v_cndmask_b32_e64 v1, v3, v1, s2
	v_cndmask_b32_e64 v2, v4, v2, s2
	s_delay_alu instid0(VALU_DEP_3)
	v_and_b32_e32 v6, 0xff, v5
.LBB424_152:
	s_or_b32 exec_lo, exec_lo, s7
	s_branch .LBB424_183
.LBB424_153:
                                        ; implicit-def: $vgpr3_vgpr4
                                        ; implicit-def: $vgpr5
	s_cbranch_execnz .LBB424_188
	s_branch .LBB424_206
.LBB424_154:
                                        ; implicit-def: $vgpr3_vgpr4
                                        ; implicit-def: $vgpr5
	s_branch .LBB424_206
.LBB424_155:
                                        ; implicit-def: $vgpr1_vgpr2
                                        ; implicit-def: $vgpr6
	s_cbranch_execz .LBB424_183
; %bb.156:
	s_waitcnt lgkmcnt(0)
	v_mov_b32_e32 v3, 0
	v_dual_mov_b32 v4, 0 :: v_dual_mov_b32 v5, 0
	s_delay_alu instid0(VALU_DEP_2) | instskip(SKIP_2) | instid1(VALU_DEP_3)
	v_mov_b32_e32 v1, v3
	v_mov_b32_e32 v7, 0
	s_sub_i32 s3, s14, s6
	v_mov_b32_e32 v2, v4
	s_mov_b32 s2, exec_lo
	v_cmpx_gt_u32_e64 s3, v0
; %bb.157:
	v_lshlrev_b32_e32 v1, 4, v0
	s_clause 0x1
	global_load_u8 v7, v1, s[4:5]
	global_load_b64 v[1:2], v1, s[4:5] offset:8
; %bb.158:
	s_or_b32 exec_lo, exec_lo, s2
	v_or_b32_e32 v6, 0x100, v0
	s_delay_alu instid0(VALU_DEP_1)
	v_cmp_gt_u32_e32 vcc_lo, s3, v6
	s_and_saveexec_b32 s2, vcc_lo
; %bb.159:
	v_lshlrev_b32_e32 v3, 4, v6
	s_clause 0x1
	global_load_u8 v5, v3, s[4:5]
	global_load_b64 v[3:4], v3, s[4:5] offset:8
; %bb.160:
	s_or_b32 exec_lo, exec_lo, s2
	s_and_saveexec_b32 s4, vcc_lo
	s_cbranch_execz .LBB424_162
; %bb.161:
	s_waitcnt vmcnt(1)
	v_and_b32_e32 v6, 1, v5
	s_waitcnt vmcnt(0)
	v_cmp_lt_i64_e32 vcc_lo, v[3:4], v[1:2]
	s_delay_alu instid0(VALU_DEP_2) | instskip(NEXT) | instid1(VALU_DEP_1)
	v_cmp_eq_u32_e64 s2, 1, v6
	s_and_b32 vcc_lo, s2, vcc_lo
	v_cndmask_b32_e32 v1, v1, v3, vcc_lo
	v_and_b32_e32 v6, 1, v7
	v_cndmask_b32_e64 v7, v7, 1, s2
	v_cndmask_b32_e32 v2, v2, v4, vcc_lo
	s_delay_alu instid0(VALU_DEP_3) | instskip(NEXT) | instid1(VALU_DEP_2)
	v_cmp_eq_u32_e32 vcc_lo, 1, v6
	v_dual_cndmask_b32 v7, v5, v7 :: v_dual_cndmask_b32 v2, v4, v2
	v_cndmask_b32_e32 v1, v3, v1, vcc_lo
.LBB424_162:
	s_or_b32 exec_lo, exec_lo, s4
	s_waitcnt vmcnt(1)
	v_mbcnt_lo_u32_b32 v5, -1, 0
	v_and_b32_e32 v6, 0xff, v7
	v_and_b32_e32 v8, 0xe0, v0
	s_min_u32 s3, s3, 0x100
	s_mov_b32 s4, exec_lo
	v_cmp_ne_u32_e32 vcc_lo, 31, v5
	v_add_nc_u32_e32 v10, 1, v5
	v_sub_nc_u32_e64 v8, s3, v8 clamp
	s_waitcnt vmcnt(0)
	v_add_co_ci_u32_e32 v3, vcc_lo, 0, v5, vcc_lo
	s_delay_alu instid0(VALU_DEP_1)
	v_lshlrev_b32_e32 v4, 2, v3
	ds_bpermute_b32 v9, v4, v6
	ds_bpermute_b32 v3, v4, v1
	ds_bpermute_b32 v4, v4, v2
	v_cmpx_lt_u32_e64 v10, v8
	s_cbranch_execz .LBB424_164
; %bb.163:
	s_waitcnt lgkmcnt(2)
	v_and_b32_e32 v6, 1, v9
	s_waitcnt lgkmcnt(0)
	v_cmp_lt_i64_e32 vcc_lo, v[3:4], v[1:2]
	s_delay_alu instid0(VALU_DEP_2) | instskip(SKIP_1) | instid1(VALU_DEP_2)
	v_cmp_eq_u32_e64 s2, 1, v6
	v_and_b32_e32 v6, 1, v7
	v_cndmask_b32_e64 v7, v7, 1, s2
	s_and_b32 vcc_lo, s2, vcc_lo
	s_delay_alu instid0(VALU_DEP_2) | instskip(SKIP_1) | instid1(VALU_DEP_2)
	v_cmp_eq_u32_e64 s2, 1, v6
	v_dual_cndmask_b32 v1, v1, v3 :: v_dual_cndmask_b32 v2, v2, v4
	v_cndmask_b32_e64 v7, v9, v7, s2
	s_delay_alu instid0(VALU_DEP_2) | instskip(NEXT) | instid1(VALU_DEP_3)
	v_cndmask_b32_e64 v1, v3, v1, s2
	v_cndmask_b32_e64 v2, v4, v2, s2
	s_delay_alu instid0(VALU_DEP_3)
	v_and_b32_e32 v6, 0xff, v7
.LBB424_164:
	s_or_b32 exec_lo, exec_lo, s4
	v_cmp_gt_u32_e32 vcc_lo, 30, v5
	v_add_nc_u32_e32 v10, 2, v5
	s_mov_b32 s4, exec_lo
	s_waitcnt lgkmcnt(1)
	v_cndmask_b32_e64 v3, 0, 1, vcc_lo
	s_delay_alu instid0(VALU_DEP_1) | instskip(SKIP_1) | instid1(VALU_DEP_1)
	v_lshlrev_b32_e32 v3, 1, v3
	s_waitcnt lgkmcnt(0)
	v_add_lshl_u32 v4, v3, v5, 2
	ds_bpermute_b32 v9, v4, v6
	ds_bpermute_b32 v3, v4, v1
	ds_bpermute_b32 v4, v4, v2
	v_cmpx_lt_u32_e64 v10, v8
	s_cbranch_execz .LBB424_166
; %bb.165:
	s_waitcnt lgkmcnt(2)
	v_and_b32_e32 v6, 1, v9
	s_waitcnt lgkmcnt(0)
	v_cmp_lt_i64_e32 vcc_lo, v[3:4], v[1:2]
	s_delay_alu instid0(VALU_DEP_2) | instskip(SKIP_1) | instid1(VALU_DEP_2)
	v_cmp_eq_u32_e64 s2, 1, v6
	v_and_b32_e32 v6, 1, v7
	v_cndmask_b32_e64 v7, v7, 1, s2
	s_and_b32 vcc_lo, s2, vcc_lo
	s_delay_alu instid0(VALU_DEP_2) | instskip(SKIP_1) | instid1(VALU_DEP_2)
	v_cmp_eq_u32_e64 s2, 1, v6
	v_dual_cndmask_b32 v1, v1, v3 :: v_dual_cndmask_b32 v2, v2, v4
	v_cndmask_b32_e64 v7, v9, v7, s2
	s_delay_alu instid0(VALU_DEP_2) | instskip(NEXT) | instid1(VALU_DEP_3)
	v_cndmask_b32_e64 v1, v3, v1, s2
	v_cndmask_b32_e64 v2, v4, v2, s2
	s_delay_alu instid0(VALU_DEP_3)
	v_and_b32_e32 v6, 0xff, v7
.LBB424_166:
	s_or_b32 exec_lo, exec_lo, s4
	v_cmp_gt_u32_e32 vcc_lo, 28, v5
	v_add_nc_u32_e32 v10, 4, v5
	s_mov_b32 s4, exec_lo
	s_waitcnt lgkmcnt(1)
	v_cndmask_b32_e64 v3, 0, 1, vcc_lo
	s_delay_alu instid0(VALU_DEP_1) | instskip(SKIP_1) | instid1(VALU_DEP_1)
	v_lshlrev_b32_e32 v3, 2, v3
	s_waitcnt lgkmcnt(0)
	v_add_lshl_u32 v4, v3, v5, 2
	;; [unrolled: 35-line block ×4, first 2 shown]
	ds_bpermute_b32 v9, v4, v6
	ds_bpermute_b32 v3, v4, v1
	;; [unrolled: 1-line block ×3, first 2 shown]
	v_cmpx_lt_u32_e64 v10, v8
	s_cbranch_execz .LBB424_172
; %bb.171:
	s_waitcnt lgkmcnt(2)
	v_and_b32_e32 v6, 1, v9
	s_waitcnt lgkmcnt(0)
	v_cmp_lt_i64_e32 vcc_lo, v[3:4], v[1:2]
	s_delay_alu instid0(VALU_DEP_2) | instskip(SKIP_1) | instid1(VALU_DEP_2)
	v_cmp_eq_u32_e64 s2, 1, v6
	v_and_b32_e32 v6, 1, v7
	v_cndmask_b32_e64 v7, v7, 1, s2
	s_and_b32 vcc_lo, s2, vcc_lo
	s_delay_alu instid0(VALU_DEP_2) | instskip(SKIP_1) | instid1(VALU_DEP_2)
	v_cmp_eq_u32_e64 s2, 1, v6
	v_dual_cndmask_b32 v1, v1, v3 :: v_dual_cndmask_b32 v2, v2, v4
	v_cndmask_b32_e64 v7, v9, v7, s2
	s_delay_alu instid0(VALU_DEP_2) | instskip(NEXT) | instid1(VALU_DEP_3)
	v_cndmask_b32_e64 v1, v3, v1, s2
	v_cndmask_b32_e64 v2, v4, v2, s2
	s_delay_alu instid0(VALU_DEP_3)
	v_and_b32_e32 v6, 0xff, v7
.LBB424_172:
	s_or_b32 exec_lo, exec_lo, s4
	s_delay_alu instid0(SALU_CYCLE_1)
	s_mov_b32 s2, exec_lo
	v_cmpx_eq_u32_e32 0, v5
	s_cbranch_execz .LBB424_174
; %bb.173:
	s_waitcnt lgkmcnt(1)
	v_lshrrev_b32_e32 v3, 1, v0
	s_delay_alu instid0(VALU_DEP_1)
	v_and_b32_e32 v3, 0x70, v3
	ds_store_b8 v3, v7 offset:512
	ds_store_b64 v3, v[1:2] offset:520
.LBB424_174:
	s_or_b32 exec_lo, exec_lo, s2
	s_delay_alu instid0(SALU_CYCLE_1)
	s_mov_b32 s4, exec_lo
	s_waitcnt lgkmcnt(0)
	s_barrier
	buffer_gl0_inv
	v_cmpx_gt_u32_e32 8, v0
	s_cbranch_execz .LBB424_182
; %bb.175:
	v_lshlrev_b32_e32 v1, 4, v5
	v_and_b32_e32 v8, 7, v5
	s_add_i32 s3, s3, 31
	s_mov_b32 s5, exec_lo
	s_lshr_b32 s3, s3, 5
	ds_load_u8 v7, v1 offset:512
	ds_load_b64 v[1:2], v1 offset:520
	v_cmp_ne_u32_e32 vcc_lo, 7, v8
	v_add_nc_u32_e32 v10, 1, v8
	v_add_co_ci_u32_e32 v3, vcc_lo, 0, v5, vcc_lo
	s_delay_alu instid0(VALU_DEP_1)
	v_lshlrev_b32_e32 v4, 2, v3
	s_waitcnt lgkmcnt(1)
	v_and_b32_e32 v6, 0xff, v7
	s_waitcnt lgkmcnt(0)
	ds_bpermute_b32 v3, v4, v1
	ds_bpermute_b32 v9, v4, v6
	;; [unrolled: 1-line block ×3, first 2 shown]
	v_cmpx_gt_u32_e64 s3, v10
	s_cbranch_execz .LBB424_177
; %bb.176:
	s_waitcnt lgkmcnt(1)
	v_and_b32_e32 v6, 1, v9
	s_waitcnt lgkmcnt(0)
	v_cmp_lt_i64_e32 vcc_lo, v[3:4], v[1:2]
	s_delay_alu instid0(VALU_DEP_2) | instskip(SKIP_1) | instid1(VALU_DEP_2)
	v_cmp_eq_u32_e64 s2, 1, v6
	v_and_b32_e32 v6, 1, v7
	v_cndmask_b32_e64 v7, v7, 1, s2
	s_and_b32 vcc_lo, s2, vcc_lo
	s_delay_alu instid0(VALU_DEP_2) | instskip(SKIP_1) | instid1(VALU_DEP_2)
	v_cmp_eq_u32_e64 s2, 1, v6
	v_dual_cndmask_b32 v1, v1, v3 :: v_dual_cndmask_b32 v2, v2, v4
	v_cndmask_b32_e64 v7, v9, v7, s2
	s_delay_alu instid0(VALU_DEP_2) | instskip(NEXT) | instid1(VALU_DEP_3)
	v_cndmask_b32_e64 v1, v3, v1, s2
	v_cndmask_b32_e64 v2, v4, v2, s2
	s_delay_alu instid0(VALU_DEP_3)
	v_and_b32_e32 v6, 0xff, v7
.LBB424_177:
	s_or_b32 exec_lo, exec_lo, s5
	v_cmp_gt_u32_e32 vcc_lo, 6, v8
	v_add_nc_u32_e32 v10, 2, v8
	s_mov_b32 s5, exec_lo
	s_waitcnt lgkmcnt(2)
	v_cndmask_b32_e64 v3, 0, 1, vcc_lo
	s_delay_alu instid0(VALU_DEP_1) | instskip(SKIP_1) | instid1(VALU_DEP_1)
	v_lshlrev_b32_e32 v3, 1, v3
	s_waitcnt lgkmcnt(0)
	v_add_lshl_u32 v4, v3, v5, 2
	ds_bpermute_b32 v9, v4, v6
	ds_bpermute_b32 v3, v4, v1
	;; [unrolled: 1-line block ×3, first 2 shown]
	v_cmpx_gt_u32_e64 s3, v10
	s_cbranch_execz .LBB424_179
; %bb.178:
	s_waitcnt lgkmcnt(2)
	v_and_b32_e32 v6, 1, v9
	s_waitcnt lgkmcnt(0)
	v_cmp_lt_i64_e32 vcc_lo, v[3:4], v[1:2]
	s_delay_alu instid0(VALU_DEP_2) | instskip(SKIP_1) | instid1(VALU_DEP_2)
	v_cmp_eq_u32_e64 s2, 1, v6
	v_and_b32_e32 v6, 1, v7
	v_cndmask_b32_e64 v7, v7, 1, s2
	s_and_b32 vcc_lo, s2, vcc_lo
	s_delay_alu instid0(VALU_DEP_2) | instskip(SKIP_1) | instid1(VALU_DEP_2)
	v_cmp_eq_u32_e64 s2, 1, v6
	v_dual_cndmask_b32 v1, v1, v3 :: v_dual_cndmask_b32 v2, v2, v4
	v_cndmask_b32_e64 v7, v9, v7, s2
	s_delay_alu instid0(VALU_DEP_2) | instskip(NEXT) | instid1(VALU_DEP_3)
	v_cndmask_b32_e64 v1, v3, v1, s2
	v_cndmask_b32_e64 v2, v4, v2, s2
	s_delay_alu instid0(VALU_DEP_3)
	v_and_b32_e32 v6, 0xff, v7
.LBB424_179:
	s_or_b32 exec_lo, exec_lo, s5
	v_cmp_gt_u32_e32 vcc_lo, 4, v8
	v_add_nc_u32_e32 v8, 4, v8
	s_waitcnt lgkmcnt(1)
	v_cndmask_b32_e64 v3, 0, 1, vcc_lo
	s_delay_alu instid0(VALU_DEP_2) | instskip(NEXT) | instid1(VALU_DEP_2)
	v_cmp_gt_u32_e32 vcc_lo, s3, v8
	v_lshlrev_b32_e32 v3, 2, v3
	s_waitcnt lgkmcnt(0)
	s_delay_alu instid0(VALU_DEP_1)
	v_add_lshl_u32 v4, v3, v5, 2
	ds_bpermute_b32 v5, v4, v6
	ds_bpermute_b32 v3, v4, v1
	;; [unrolled: 1-line block ×3, first 2 shown]
	s_and_saveexec_b32 s3, vcc_lo
	s_cbranch_execz .LBB424_181
; %bb.180:
	s_waitcnt lgkmcnt(2)
	v_and_b32_e32 v6, 1, v5
	s_waitcnt lgkmcnt(0)
	v_cmp_lt_i64_e32 vcc_lo, v[3:4], v[1:2]
	s_delay_alu instid0(VALU_DEP_2) | instskip(SKIP_1) | instid1(VALU_DEP_2)
	v_cmp_eq_u32_e64 s2, 1, v6
	v_and_b32_e32 v6, 1, v7
	v_cndmask_b32_e64 v7, v7, 1, s2
	s_and_b32 vcc_lo, s2, vcc_lo
	s_delay_alu instid0(VALU_DEP_2) | instskip(SKIP_1) | instid1(VALU_DEP_2)
	v_cmp_eq_u32_e64 s2, 1, v6
	v_dual_cndmask_b32 v1, v1, v3 :: v_dual_cndmask_b32 v2, v2, v4
	v_cndmask_b32_e64 v5, v5, v7, s2
	s_delay_alu instid0(VALU_DEP_2) | instskip(NEXT) | instid1(VALU_DEP_3)
	v_cndmask_b32_e64 v1, v3, v1, s2
	v_cndmask_b32_e64 v2, v4, v2, s2
	s_delay_alu instid0(VALU_DEP_3)
	v_and_b32_e32 v6, 0xff, v5
.LBB424_181:
	s_or_b32 exec_lo, exec_lo, s3
.LBB424_182:
	s_delay_alu instid0(SALU_CYCLE_1)
	s_or_b32 exec_lo, exec_lo, s4
.LBB424_183:
                                        ; implicit-def: $vgpr3_vgpr4
                                        ; implicit-def: $vgpr5
	s_delay_alu instid0(SALU_CYCLE_1)
	s_mov_b32 s2, exec_lo
	v_cmpx_eq_u32_e32 0, v0
	s_xor_b32 s4, exec_lo, s2
	s_cbranch_execz .LBB424_187
; %bb.184:
	s_waitcnt lgkmcnt(0)
	v_dual_mov_b32 v3, s16 :: v_dual_mov_b32 v4, s17
	v_mov_b32_e32 v5, s18
	s_cmp_eq_u64 s[14:15], 0
	s_cbranch_scc1 .LBB424_186
; %bb.185:
	v_and_b32_e32 v3, 1, v6
	v_cmp_gt_i64_e32 vcc_lo, s[16:17], v[1:2]
	s_bitcmp1_b32 s18, 0
	s_cselect_b32 s3, -1, 0
	s_delay_alu instid0(VALU_DEP_2) | instskip(NEXT) | instid1(VALU_DEP_1)
	v_cmp_eq_u32_e64 s2, 1, v3
	s_and_b32 vcc_lo, s2, vcc_lo
	v_cndmask_b32_e64 v3, s18, 1, s2
	v_cndmask_b32_e32 v7, s16, v1, vcc_lo
	v_cndmask_b32_e32 v4, s17, v2, vcc_lo
	s_delay_alu instid0(VALU_DEP_3) | instskip(NEXT) | instid1(VALU_DEP_3)
	v_cndmask_b32_e64 v5, v6, v3, s3
	v_cndmask_b32_e64 v3, v1, v7, s3
	s_delay_alu instid0(VALU_DEP_3)
	v_cndmask_b32_e64 v4, v2, v4, s3
.LBB424_186:
	s_or_b32 s8, s8, exec_lo
.LBB424_187:
	s_or_b32 exec_lo, exec_lo, s4
	s_branch .LBB424_206
.LBB424_188:
	s_cmp_eq_u32 s19, 1
	s_cbranch_scc0 .LBB424_205
; %bb.189:
	s_mov_b32 s5, 0
	s_lshr_b64 s[2:3], s[14:15], 8
	s_mov_b32 s11, s5
	s_lshl_b32 s4, s10, 8
	s_cmp_lg_u64 s[2:3], s[10:11]
	s_cbranch_scc0 .LBB424_209
; %bb.190:
	s_lshl_b64 s[2:3], s[4:5], 4
	v_lshlrev_b32_e32 v1, 4, v0
	s_add_u32 s2, s12, s2
	s_addc_u32 s3, s13, s3
	s_mov_b32 s6, exec_lo
	s_waitcnt lgkmcnt(1)
	s_clause 0x1
	global_load_u8 v3, v1, s[2:3]
	global_load_b64 v[1:2], v1, s[2:3] offset:8
	s_waitcnt vmcnt(1)
	v_and_b32_e32 v5, 1, v3
	s_waitcnt vmcnt(0)
	v_mov_b32_dpp v3, v1 quad_perm:[1,0,3,2] row_mask:0xf bank_mask:0xf
	s_waitcnt lgkmcnt(0)
	v_mov_b32_dpp v4, v2 quad_perm:[1,0,3,2] row_mask:0xf bank_mask:0xf
	v_mov_b32_dpp v6, v5 quad_perm:[1,0,3,2] row_mask:0xf bank_mask:0xf
	v_cmp_eq_u32_e64 s3, 1, v5
	s_delay_alu instid0(VALU_DEP_2) | instskip(NEXT) | instid1(VALU_DEP_1)
	v_and_b32_e32 v7, 1, v6
	v_cmpx_eq_u32_e32 1, v7
; %bb.191:
	s_delay_alu instid0(VALU_DEP_3) | instskip(SKIP_1) | instid1(VALU_DEP_2)
	v_cndmask_b32_e64 v5, v6, 1, s3
	v_cmp_lt_i64_e32 vcc_lo, v[1:2], v[3:4]
	v_and_b32_e32 v6, 1, v5
	v_and_b32_e32 v5, 0xff, v5
	s_and_b32 vcc_lo, s3, vcc_lo
	s_and_not1_b32 s3, s3, exec_lo
	v_dual_cndmask_b32 v2, v4, v2 :: v_dual_cndmask_b32 v1, v3, v1
	v_cmp_eq_u32_e64 s2, 1, v6
	s_delay_alu instid0(VALU_DEP_1) | instskip(NEXT) | instid1(SALU_CYCLE_1)
	s_and_b32 s2, s2, exec_lo
	s_or_b32 s3, s3, s2
; %bb.192:
	s_or_b32 exec_lo, exec_lo, s6
	v_mov_b32_dpp v6, v5 quad_perm:[2,3,0,1] row_mask:0xf bank_mask:0xf
	v_mov_b32_dpp v3, v1 quad_perm:[2,3,0,1] row_mask:0xf bank_mask:0xf
	;; [unrolled: 1-line block ×3, first 2 shown]
	s_mov_b32 s6, exec_lo
	s_delay_alu instid0(VALU_DEP_3) | instskip(NEXT) | instid1(VALU_DEP_1)
	v_and_b32_e32 v7, 1, v6
	v_cmpx_eq_u32_e32 1, v7
; %bb.193:
	v_cndmask_b32_e64 v5, v6, 1, s3
	v_cmp_lt_i64_e32 vcc_lo, v[1:2], v[3:4]
	s_delay_alu instid0(VALU_DEP_2)
	v_and_b32_e32 v6, 1, v5
	v_and_b32_e32 v5, 0xff, v5
	s_and_b32 vcc_lo, s3, vcc_lo
	s_and_not1_b32 s3, s3, exec_lo
	v_dual_cndmask_b32 v2, v4, v2 :: v_dual_cndmask_b32 v1, v3, v1
	v_cmp_eq_u32_e64 s2, 1, v6
	s_delay_alu instid0(VALU_DEP_1) | instskip(NEXT) | instid1(SALU_CYCLE_1)
	s_and_b32 s2, s2, exec_lo
	s_or_b32 s3, s3, s2
; %bb.194:
	s_or_b32 exec_lo, exec_lo, s6
	v_mov_b32_dpp v6, v5 row_ror:4 row_mask:0xf bank_mask:0xf
	v_mov_b32_dpp v3, v1 row_ror:4 row_mask:0xf bank_mask:0xf
	;; [unrolled: 1-line block ×3, first 2 shown]
	s_mov_b32 s6, exec_lo
	s_delay_alu instid0(VALU_DEP_3) | instskip(NEXT) | instid1(VALU_DEP_1)
	v_and_b32_e32 v7, 1, v6
	v_cmpx_eq_u32_e32 1, v7
; %bb.195:
	v_cndmask_b32_e64 v5, v6, 1, s3
	v_cmp_lt_i64_e32 vcc_lo, v[1:2], v[3:4]
	s_delay_alu instid0(VALU_DEP_2)
	v_and_b32_e32 v6, 1, v5
	v_and_b32_e32 v5, 0xff, v5
	s_and_b32 vcc_lo, s3, vcc_lo
	s_and_not1_b32 s3, s3, exec_lo
	v_dual_cndmask_b32 v2, v4, v2 :: v_dual_cndmask_b32 v1, v3, v1
	v_cmp_eq_u32_e64 s2, 1, v6
	s_delay_alu instid0(VALU_DEP_1) | instskip(NEXT) | instid1(SALU_CYCLE_1)
	s_and_b32 s2, s2, exec_lo
	s_or_b32 s3, s3, s2
; %bb.196:
	s_or_b32 exec_lo, exec_lo, s6
	v_mov_b32_dpp v6, v5 row_ror:8 row_mask:0xf bank_mask:0xf
	v_mov_b32_dpp v3, v1 row_ror:8 row_mask:0xf bank_mask:0xf
	;; [unrolled: 1-line block ×3, first 2 shown]
	s_mov_b32 s6, exec_lo
	s_delay_alu instid0(VALU_DEP_3) | instskip(NEXT) | instid1(VALU_DEP_1)
	v_and_b32_e32 v7, 1, v6
	v_cmpx_eq_u32_e32 1, v7
; %bb.197:
	v_cndmask_b32_e64 v5, v6, 1, s3
	v_cmp_lt_i64_e32 vcc_lo, v[1:2], v[3:4]
	s_delay_alu instid0(VALU_DEP_2)
	v_and_b32_e32 v6, 1, v5
	v_and_b32_e32 v5, 0xff, v5
	s_and_b32 vcc_lo, s3, vcc_lo
	s_and_not1_b32 s3, s3, exec_lo
	v_dual_cndmask_b32 v2, v4, v2 :: v_dual_cndmask_b32 v1, v3, v1
	v_cmp_eq_u32_e64 s2, 1, v6
	s_delay_alu instid0(VALU_DEP_1) | instskip(NEXT) | instid1(SALU_CYCLE_1)
	s_and_b32 s2, s2, exec_lo
	s_or_b32 s3, s3, s2
; %bb.198:
	s_or_b32 exec_lo, exec_lo, s6
	ds_swizzle_b32 v6, v5 offset:swizzle(BROADCAST,32,15)
	ds_swizzle_b32 v3, v1 offset:swizzle(BROADCAST,32,15)
	;; [unrolled: 1-line block ×3, first 2 shown]
	s_mov_b32 s2, exec_lo
	s_waitcnt lgkmcnt(2)
	v_and_b32_e32 v7, 1, v6
	s_delay_alu instid0(VALU_DEP_1)
	v_cmpx_eq_u32_e32 1, v7
	s_cbranch_execz .LBB424_200
; %bb.199:
	s_waitcnt lgkmcnt(0)
	v_cmp_lt_i64_e32 vcc_lo, v[1:2], v[3:4]
	v_and_b32_e32 v5, 0xff, v6
	s_delay_alu instid0(VALU_DEP_1)
	v_cndmask_b32_e64 v5, v5, 1, s3
	s_and_b32 vcc_lo, s3, vcc_lo
	v_dual_cndmask_b32 v1, v3, v1 :: v_dual_cndmask_b32 v2, v4, v2
.LBB424_200:
	s_or_b32 exec_lo, exec_lo, s2
	s_waitcnt lgkmcnt(1)
	v_mov_b32_e32 v3, 0
	s_mov_b32 s2, exec_lo
	ds_bpermute_b32 v6, v3, v5 offset:124
	ds_bpermute_b32 v1, v3, v1 offset:124
	;; [unrolled: 1-line block ×3, first 2 shown]
	v_mbcnt_lo_u32_b32 v3, -1, 0
	s_delay_alu instid0(VALU_DEP_1)
	v_cmpx_eq_u32_e32 0, v3
	s_cbranch_execz .LBB424_202
; %bb.201:
	s_waitcnt lgkmcnt(3)
	v_lshrrev_b32_e32 v4, 1, v0
	s_delay_alu instid0(VALU_DEP_1)
	v_and_b32_e32 v4, 0x70, v4
	s_waitcnt lgkmcnt(2)
	ds_store_b8 v4, v6
	s_waitcnt lgkmcnt(1)
	ds_store_b64 v4, v[1:2] offset:8
.LBB424_202:
	s_or_b32 exec_lo, exec_lo, s2
	s_delay_alu instid0(SALU_CYCLE_1)
	s_mov_b32 s6, exec_lo
	s_waitcnt lgkmcnt(0)
	s_barrier
	buffer_gl0_inv
	v_cmpx_gt_u32_e32 32, v0
	s_cbranch_execz .LBB424_204
; %bb.203:
	v_and_b32_e32 v6, 7, v3
	s_delay_alu instid0(VALU_DEP_1)
	v_lshlrev_b32_e32 v1, 4, v6
	v_cmp_ne_u32_e32 vcc_lo, 7, v6
	ds_load_u8 v7, v1
	ds_load_b64 v[1:2], v1 offset:8
	v_add_co_ci_u32_e32 v4, vcc_lo, 0, v3, vcc_lo
	v_cmp_gt_u32_e32 vcc_lo, 6, v6
	s_delay_alu instid0(VALU_DEP_2)
	v_lshlrev_b32_e32 v5, 2, v4
	v_cndmask_b32_e64 v10, 0, 1, vcc_lo
	s_waitcnt lgkmcnt(1)
	v_and_b32_e32 v4, 0xff, v7
	v_and_b32_e32 v11, 1, v7
	ds_bpermute_b32 v8, v5, v4
	s_waitcnt lgkmcnt(1)
	ds_bpermute_b32 v4, v5, v1
	ds_bpermute_b32 v5, v5, v2
	v_cmp_eq_u32_e64 s3, 1, v11
	s_waitcnt lgkmcnt(2)
	v_and_b32_e32 v9, 1, v8
	s_waitcnt lgkmcnt(0)
	v_cmp_lt_i64_e64 s2, v[4:5], v[1:2]
	s_delay_alu instid0(VALU_DEP_2) | instskip(SKIP_2) | instid1(VALU_DEP_4)
	v_cmp_eq_u32_e32 vcc_lo, 1, v9
	v_lshlrev_b32_e32 v9, 1, v10
	v_cndmask_b32_e64 v7, v7, 1, vcc_lo
	s_and_b32 vcc_lo, vcc_lo, s2
	v_dual_cndmask_b32 v1, v1, v4 :: v_dual_cndmask_b32 v2, v2, v5
	s_delay_alu instid0(VALU_DEP_2) | instskip(SKIP_2) | instid1(VALU_DEP_4)
	v_cndmask_b32_e64 v7, v8, v7, s3
	v_add_lshl_u32 v8, v9, v3, 2
	v_cmp_gt_u32_e32 vcc_lo, 4, v6
	v_cndmask_b32_e64 v1, v4, v1, s3
	v_cndmask_b32_e64 v2, v5, v2, s3
	v_and_b32_e32 v9, 0xff, v7
	v_and_b32_e32 v10, 1, v7
	v_cndmask_b32_e64 v6, 0, 1, vcc_lo
	ds_bpermute_b32 v4, v8, v1
	ds_bpermute_b32 v5, v8, v2
	;; [unrolled: 1-line block ×3, first 2 shown]
	v_cmp_eq_u32_e64 s3, 1, v10
	s_waitcnt lgkmcnt(1)
	v_cmp_lt_i64_e64 s2, v[4:5], v[1:2]
	s_waitcnt lgkmcnt(0)
	v_and_b32_e32 v8, 1, v9
	s_delay_alu instid0(VALU_DEP_1) | instskip(SKIP_1) | instid1(VALU_DEP_4)
	v_cmp_eq_u32_e32 vcc_lo, 1, v8
	v_cndmask_b32_e64 v7, v7, 1, vcc_lo
	s_and_b32 vcc_lo, vcc_lo, s2
	v_dual_cndmask_b32 v1, v1, v4 :: v_dual_cndmask_b32 v2, v2, v5
	s_delay_alu instid0(VALU_DEP_2) | instskip(NEXT) | instid1(VALU_DEP_2)
	v_cndmask_b32_e64 v7, v9, v7, s3
	v_cndmask_b32_e64 v1, v4, v1, s3
	v_lshlrev_b32_e32 v6, 2, v6
	s_delay_alu instid0(VALU_DEP_4) | instskip(NEXT) | instid1(VALU_DEP_2)
	v_cndmask_b32_e64 v2, v5, v2, s3
	v_add_lshl_u32 v6, v6, v3, 2
	v_and_b32_e32 v3, 0xff, v7
	ds_bpermute_b32 v4, v6, v2
	ds_bpermute_b32 v5, v6, v3
	;; [unrolled: 1-line block ×3, first 2 shown]
	s_waitcnt lgkmcnt(1)
	v_and_b32_e32 v6, 1, v5
	s_waitcnt lgkmcnt(0)
	v_cmp_lt_i64_e32 vcc_lo, v[3:4], v[1:2]
	s_delay_alu instid0(VALU_DEP_2) | instskip(SKIP_1) | instid1(VALU_DEP_2)
	v_cmp_eq_u32_e64 s2, 1, v6
	v_and_b32_e32 v6, 1, v7
	v_cndmask_b32_e64 v7, v7, 1, s2
	s_and_b32 vcc_lo, s2, vcc_lo
	s_delay_alu instid0(VALU_DEP_2) | instskip(SKIP_1) | instid1(VALU_DEP_2)
	v_cmp_eq_u32_e64 s2, 1, v6
	v_dual_cndmask_b32 v1, v1, v3 :: v_dual_cndmask_b32 v2, v2, v4
	v_cndmask_b32_e64 v5, v5, v7, s2
	s_delay_alu instid0(VALU_DEP_2) | instskip(NEXT) | instid1(VALU_DEP_3)
	v_cndmask_b32_e64 v1, v3, v1, s2
	v_cndmask_b32_e64 v2, v4, v2, s2
	s_delay_alu instid0(VALU_DEP_3)
	v_and_b32_e32 v6, 0xff, v5
.LBB424_204:
	s_or_b32 exec_lo, exec_lo, s6
	s_branch .LBB424_233
.LBB424_205:
                                        ; implicit-def: $vgpr3_vgpr4
                                        ; implicit-def: $vgpr5
                                        ; implicit-def: $sgpr10_sgpr11
.LBB424_206:
	s_and_saveexec_b32 s2, s8
	s_cbranch_execz .LBB424_208
.LBB424_207:
	s_load_b64 s[0:1], s[0:1], 0x18
	s_lshl_b64 s[2:3], s[10:11], 4
	v_mov_b32_e32 v0, 0
	s_waitcnt lgkmcnt(0)
	s_add_u32 s0, s0, s2
	s_addc_u32 s1, s1, s3
	s_clause 0x1
	global_store_b8 v0, v5, s[0:1]
	global_store_b64 v0, v[3:4], s[0:1] offset:8
.LBB424_208:
	s_nop 0
	s_sendmsg sendmsg(MSG_DEALLOC_VGPRS)
	s_endpgm
.LBB424_209:
                                        ; implicit-def: $vgpr1_vgpr2
                                        ; implicit-def: $vgpr6
	s_cbranch_execz .LBB424_233
; %bb.210:
	v_mov_b32_e32 v1, 0
	v_dual_mov_b32 v2, 0 :: v_dual_mov_b32 v7, 0
	s_sub_i32 s2, s14, s4
	s_mov_b32 s3, exec_lo
	v_cmpx_gt_u32_e64 s2, v0
; %bb.211:
	s_lshl_b64 s[4:5], s[4:5], 4
	v_lshlrev_b32_e32 v1, 4, v0
	s_add_u32 s4, s12, s4
	s_addc_u32 s5, s13, s5
	s_clause 0x1
	global_load_u8 v7, v1, s[4:5]
	global_load_b64 v[1:2], v1, s[4:5] offset:8
; %bb.212:
	s_or_b32 exec_lo, exec_lo, s3
	s_waitcnt lgkmcnt(2)
	v_mbcnt_lo_u32_b32 v5, -1, 0
	s_waitcnt vmcnt(1)
	v_and_b32_e32 v6, 0xff, v7
	v_and_b32_e32 v8, 0xe0, v0
	s_min_u32 s3, s2, 0x100
	s_mov_b32 s4, exec_lo
	v_cmp_ne_u32_e32 vcc_lo, 31, v5
	v_add_nc_u32_e32 v10, 1, v5
	v_sub_nc_u32_e64 v8, s3, v8 clamp
	s_waitcnt lgkmcnt(1)
	v_add_co_ci_u32_e32 v3, vcc_lo, 0, v5, vcc_lo
	s_waitcnt lgkmcnt(0)
	s_delay_alu instid0(VALU_DEP_1)
	v_lshlrev_b32_e32 v4, 2, v3
	ds_bpermute_b32 v9, v4, v6
	s_waitcnt vmcnt(0)
	ds_bpermute_b32 v3, v4, v1
	ds_bpermute_b32 v4, v4, v2
	v_cmpx_lt_u32_e64 v10, v8
	s_cbranch_execz .LBB424_214
; %bb.213:
	s_waitcnt lgkmcnt(2)
	v_and_b32_e32 v6, 1, v9
	s_waitcnt lgkmcnt(0)
	v_cmp_lt_i64_e32 vcc_lo, v[3:4], v[1:2]
	s_delay_alu instid0(VALU_DEP_2) | instskip(SKIP_1) | instid1(VALU_DEP_2)
	v_cmp_eq_u32_e64 s2, 1, v6
	v_and_b32_e32 v6, 1, v7
	v_cndmask_b32_e64 v7, v7, 1, s2
	s_and_b32 vcc_lo, s2, vcc_lo
	s_delay_alu instid0(VALU_DEP_2) | instskip(SKIP_1) | instid1(VALU_DEP_2)
	v_cmp_eq_u32_e64 s2, 1, v6
	v_dual_cndmask_b32 v1, v1, v3 :: v_dual_cndmask_b32 v2, v2, v4
	v_cndmask_b32_e64 v7, v9, v7, s2
	s_delay_alu instid0(VALU_DEP_2) | instskip(NEXT) | instid1(VALU_DEP_3)
	v_cndmask_b32_e64 v1, v3, v1, s2
	v_cndmask_b32_e64 v2, v4, v2, s2
	s_delay_alu instid0(VALU_DEP_3)
	v_and_b32_e32 v6, 0xff, v7
.LBB424_214:
	s_or_b32 exec_lo, exec_lo, s4
	v_cmp_gt_u32_e32 vcc_lo, 30, v5
	v_add_nc_u32_e32 v10, 2, v5
	s_mov_b32 s4, exec_lo
	s_waitcnt lgkmcnt(1)
	v_cndmask_b32_e64 v3, 0, 1, vcc_lo
	s_delay_alu instid0(VALU_DEP_1) | instskip(SKIP_1) | instid1(VALU_DEP_1)
	v_lshlrev_b32_e32 v3, 1, v3
	s_waitcnt lgkmcnt(0)
	v_add_lshl_u32 v4, v3, v5, 2
	ds_bpermute_b32 v9, v4, v6
	ds_bpermute_b32 v3, v4, v1
	ds_bpermute_b32 v4, v4, v2
	v_cmpx_lt_u32_e64 v10, v8
	s_cbranch_execz .LBB424_216
; %bb.215:
	s_waitcnt lgkmcnt(2)
	v_and_b32_e32 v6, 1, v9
	s_waitcnt lgkmcnt(0)
	v_cmp_lt_i64_e32 vcc_lo, v[3:4], v[1:2]
	s_delay_alu instid0(VALU_DEP_2) | instskip(SKIP_1) | instid1(VALU_DEP_2)
	v_cmp_eq_u32_e64 s2, 1, v6
	v_and_b32_e32 v6, 1, v7
	v_cndmask_b32_e64 v7, v7, 1, s2
	s_and_b32 vcc_lo, s2, vcc_lo
	s_delay_alu instid0(VALU_DEP_2) | instskip(SKIP_1) | instid1(VALU_DEP_2)
	v_cmp_eq_u32_e64 s2, 1, v6
	v_dual_cndmask_b32 v1, v1, v3 :: v_dual_cndmask_b32 v2, v2, v4
	v_cndmask_b32_e64 v7, v9, v7, s2
	s_delay_alu instid0(VALU_DEP_2) | instskip(NEXT) | instid1(VALU_DEP_3)
	v_cndmask_b32_e64 v1, v3, v1, s2
	v_cndmask_b32_e64 v2, v4, v2, s2
	s_delay_alu instid0(VALU_DEP_3)
	v_and_b32_e32 v6, 0xff, v7
.LBB424_216:
	s_or_b32 exec_lo, exec_lo, s4
	v_cmp_gt_u32_e32 vcc_lo, 28, v5
	v_add_nc_u32_e32 v10, 4, v5
	s_mov_b32 s4, exec_lo
	s_waitcnt lgkmcnt(1)
	v_cndmask_b32_e64 v3, 0, 1, vcc_lo
	s_delay_alu instid0(VALU_DEP_1) | instskip(SKIP_1) | instid1(VALU_DEP_1)
	v_lshlrev_b32_e32 v3, 2, v3
	s_waitcnt lgkmcnt(0)
	v_add_lshl_u32 v4, v3, v5, 2
	ds_bpermute_b32 v9, v4, v6
	;; [unrolled: 35-line block ×4, first 2 shown]
	ds_bpermute_b32 v3, v4, v1
	ds_bpermute_b32 v4, v4, v2
	v_cmpx_lt_u32_e64 v10, v8
	s_cbranch_execz .LBB424_222
; %bb.221:
	s_waitcnt lgkmcnt(2)
	v_and_b32_e32 v6, 1, v9
	s_waitcnt lgkmcnt(0)
	v_cmp_lt_i64_e32 vcc_lo, v[3:4], v[1:2]
	s_delay_alu instid0(VALU_DEP_2) | instskip(SKIP_1) | instid1(VALU_DEP_2)
	v_cmp_eq_u32_e64 s2, 1, v6
	v_and_b32_e32 v6, 1, v7
	v_cndmask_b32_e64 v7, v7, 1, s2
	s_and_b32 vcc_lo, s2, vcc_lo
	s_delay_alu instid0(VALU_DEP_2) | instskip(SKIP_1) | instid1(VALU_DEP_2)
	v_cmp_eq_u32_e64 s2, 1, v6
	v_dual_cndmask_b32 v1, v1, v3 :: v_dual_cndmask_b32 v2, v2, v4
	v_cndmask_b32_e64 v7, v9, v7, s2
	s_delay_alu instid0(VALU_DEP_2) | instskip(NEXT) | instid1(VALU_DEP_3)
	v_cndmask_b32_e64 v1, v3, v1, s2
	v_cndmask_b32_e64 v2, v4, v2, s2
	s_delay_alu instid0(VALU_DEP_3)
	v_and_b32_e32 v6, 0xff, v7
.LBB424_222:
	s_or_b32 exec_lo, exec_lo, s4
	s_delay_alu instid0(SALU_CYCLE_1)
	s_mov_b32 s2, exec_lo
	v_cmpx_eq_u32_e32 0, v5
	s_cbranch_execz .LBB424_224
; %bb.223:
	s_waitcnt lgkmcnt(1)
	v_lshrrev_b32_e32 v3, 1, v0
	s_delay_alu instid0(VALU_DEP_1)
	v_and_b32_e32 v3, 0x70, v3
	ds_store_b8 v3, v7 offset:512
	ds_store_b64 v3, v[1:2] offset:520
.LBB424_224:
	s_or_b32 exec_lo, exec_lo, s2
	s_delay_alu instid0(SALU_CYCLE_1)
	s_mov_b32 s4, exec_lo
	s_waitcnt lgkmcnt(0)
	s_barrier
	buffer_gl0_inv
	v_cmpx_gt_u32_e32 8, v0
	s_cbranch_execz .LBB424_232
; %bb.225:
	v_lshlrev_b32_e32 v1, 4, v5
	v_and_b32_e32 v8, 7, v5
	s_add_i32 s3, s3, 31
	s_mov_b32 s5, exec_lo
	s_lshr_b32 s3, s3, 5
	ds_load_u8 v7, v1 offset:512
	ds_load_b64 v[1:2], v1 offset:520
	v_cmp_ne_u32_e32 vcc_lo, 7, v8
	v_add_nc_u32_e32 v10, 1, v8
	v_add_co_ci_u32_e32 v3, vcc_lo, 0, v5, vcc_lo
	s_delay_alu instid0(VALU_DEP_1)
	v_lshlrev_b32_e32 v4, 2, v3
	s_waitcnt lgkmcnt(1)
	v_and_b32_e32 v6, 0xff, v7
	s_waitcnt lgkmcnt(0)
	ds_bpermute_b32 v3, v4, v1
	ds_bpermute_b32 v9, v4, v6
	;; [unrolled: 1-line block ×3, first 2 shown]
	v_cmpx_gt_u32_e64 s3, v10
	s_cbranch_execz .LBB424_227
; %bb.226:
	s_waitcnt lgkmcnt(1)
	v_and_b32_e32 v6, 1, v9
	s_waitcnt lgkmcnt(0)
	v_cmp_lt_i64_e32 vcc_lo, v[3:4], v[1:2]
	s_delay_alu instid0(VALU_DEP_2) | instskip(SKIP_1) | instid1(VALU_DEP_2)
	v_cmp_eq_u32_e64 s2, 1, v6
	v_and_b32_e32 v6, 1, v7
	v_cndmask_b32_e64 v7, v7, 1, s2
	s_and_b32 vcc_lo, s2, vcc_lo
	s_delay_alu instid0(VALU_DEP_2) | instskip(SKIP_1) | instid1(VALU_DEP_2)
	v_cmp_eq_u32_e64 s2, 1, v6
	v_dual_cndmask_b32 v1, v1, v3 :: v_dual_cndmask_b32 v2, v2, v4
	v_cndmask_b32_e64 v7, v9, v7, s2
	s_delay_alu instid0(VALU_DEP_2) | instskip(NEXT) | instid1(VALU_DEP_3)
	v_cndmask_b32_e64 v1, v3, v1, s2
	v_cndmask_b32_e64 v2, v4, v2, s2
	s_delay_alu instid0(VALU_DEP_3)
	v_and_b32_e32 v6, 0xff, v7
.LBB424_227:
	s_or_b32 exec_lo, exec_lo, s5
	v_cmp_gt_u32_e32 vcc_lo, 6, v8
	v_add_nc_u32_e32 v10, 2, v8
	s_mov_b32 s5, exec_lo
	s_waitcnt lgkmcnt(2)
	v_cndmask_b32_e64 v3, 0, 1, vcc_lo
	s_delay_alu instid0(VALU_DEP_1) | instskip(SKIP_1) | instid1(VALU_DEP_1)
	v_lshlrev_b32_e32 v3, 1, v3
	s_waitcnt lgkmcnt(0)
	v_add_lshl_u32 v4, v3, v5, 2
	ds_bpermute_b32 v9, v4, v6
	ds_bpermute_b32 v3, v4, v1
	;; [unrolled: 1-line block ×3, first 2 shown]
	v_cmpx_gt_u32_e64 s3, v10
	s_cbranch_execz .LBB424_229
; %bb.228:
	s_waitcnt lgkmcnt(2)
	v_and_b32_e32 v6, 1, v9
	s_waitcnt lgkmcnt(0)
	v_cmp_lt_i64_e32 vcc_lo, v[3:4], v[1:2]
	s_delay_alu instid0(VALU_DEP_2) | instskip(SKIP_1) | instid1(VALU_DEP_2)
	v_cmp_eq_u32_e64 s2, 1, v6
	v_and_b32_e32 v6, 1, v7
	v_cndmask_b32_e64 v7, v7, 1, s2
	s_and_b32 vcc_lo, s2, vcc_lo
	s_delay_alu instid0(VALU_DEP_2) | instskip(SKIP_1) | instid1(VALU_DEP_2)
	v_cmp_eq_u32_e64 s2, 1, v6
	v_dual_cndmask_b32 v1, v1, v3 :: v_dual_cndmask_b32 v2, v2, v4
	v_cndmask_b32_e64 v7, v9, v7, s2
	s_delay_alu instid0(VALU_DEP_2) | instskip(NEXT) | instid1(VALU_DEP_3)
	v_cndmask_b32_e64 v1, v3, v1, s2
	v_cndmask_b32_e64 v2, v4, v2, s2
	s_delay_alu instid0(VALU_DEP_3)
	v_and_b32_e32 v6, 0xff, v7
.LBB424_229:
	s_or_b32 exec_lo, exec_lo, s5
	v_cmp_gt_u32_e32 vcc_lo, 4, v8
	v_add_nc_u32_e32 v8, 4, v8
	s_waitcnt lgkmcnt(1)
	v_cndmask_b32_e64 v3, 0, 1, vcc_lo
	s_delay_alu instid0(VALU_DEP_2) | instskip(NEXT) | instid1(VALU_DEP_2)
	v_cmp_gt_u32_e32 vcc_lo, s3, v8
	v_lshlrev_b32_e32 v3, 2, v3
	s_waitcnt lgkmcnt(0)
	s_delay_alu instid0(VALU_DEP_1)
	v_add_lshl_u32 v4, v3, v5, 2
	ds_bpermute_b32 v5, v4, v6
	ds_bpermute_b32 v3, v4, v1
	;; [unrolled: 1-line block ×3, first 2 shown]
	s_and_saveexec_b32 s3, vcc_lo
	s_cbranch_execz .LBB424_231
; %bb.230:
	s_waitcnt lgkmcnt(2)
	v_and_b32_e32 v6, 1, v5
	s_waitcnt lgkmcnt(0)
	v_cmp_lt_i64_e32 vcc_lo, v[3:4], v[1:2]
	s_delay_alu instid0(VALU_DEP_2) | instskip(SKIP_1) | instid1(VALU_DEP_2)
	v_cmp_eq_u32_e64 s2, 1, v6
	v_and_b32_e32 v6, 1, v7
	v_cndmask_b32_e64 v7, v7, 1, s2
	s_and_b32 vcc_lo, s2, vcc_lo
	s_delay_alu instid0(VALU_DEP_2) | instskip(SKIP_1) | instid1(VALU_DEP_2)
	v_cmp_eq_u32_e64 s2, 1, v6
	v_dual_cndmask_b32 v1, v1, v3 :: v_dual_cndmask_b32 v2, v2, v4
	v_cndmask_b32_e64 v5, v5, v7, s2
	s_delay_alu instid0(VALU_DEP_2) | instskip(NEXT) | instid1(VALU_DEP_3)
	v_cndmask_b32_e64 v1, v3, v1, s2
	v_cndmask_b32_e64 v2, v4, v2, s2
	s_delay_alu instid0(VALU_DEP_3)
	v_and_b32_e32 v6, 0xff, v5
.LBB424_231:
	s_or_b32 exec_lo, exec_lo, s3
.LBB424_232:
	s_delay_alu instid0(SALU_CYCLE_1)
	s_or_b32 exec_lo, exec_lo, s4
.LBB424_233:
	s_delay_alu instid0(SALU_CYCLE_1)
	s_mov_b32 s4, exec_lo
                                        ; implicit-def: $vgpr3_vgpr4
                                        ; implicit-def: $vgpr5
	v_cmpx_eq_u32_e32 0, v0
	s_cbranch_execz .LBB424_237
; %bb.234:
	s_waitcnt lgkmcnt(0)
	v_dual_mov_b32 v3, s16 :: v_dual_mov_b32 v4, s17
	v_mov_b32_e32 v5, s18
	s_cmp_eq_u64 s[14:15], 0
	s_cbranch_scc1 .LBB424_236
; %bb.235:
	v_and_b32_e32 v0, 1, v6
	v_cmp_gt_i64_e32 vcc_lo, s[16:17], v[1:2]
	s_bitcmp1_b32 s18, 0
	s_cselect_b32 s3, -1, 0
	s_delay_alu instid0(VALU_DEP_2) | instskip(NEXT) | instid1(VALU_DEP_1)
	v_cmp_eq_u32_e64 s2, 1, v0
	s_and_b32 vcc_lo, s2, vcc_lo
	v_cndmask_b32_e64 v0, s18, 1, s2
	v_cndmask_b32_e32 v3, s16, v1, vcc_lo
	v_cndmask_b32_e32 v4, s17, v2, vcc_lo
	s_delay_alu instid0(VALU_DEP_3) | instskip(NEXT) | instid1(VALU_DEP_3)
	v_cndmask_b32_e64 v5, v6, v0, s3
	v_cndmask_b32_e64 v3, v1, v3, s3
	s_delay_alu instid0(VALU_DEP_3)
	v_cndmask_b32_e64 v4, v2, v4, s3
.LBB424_236:
	s_or_b32 s8, s8, exec_lo
.LBB424_237:
	s_or_b32 exec_lo, exec_lo, s4
	s_and_saveexec_b32 s2, s8
	s_cbranch_execnz .LBB424_207
	s_branch .LBB424_208
.LBB424_238:
	v_lshlrev_b32_e32 v3, 4, v25
	s_clause 0x1
	global_load_u8 v18, v3, s[8:9]
	global_load_b64 v[3:4], v3, s[8:9] offset:8
	s_or_b32 exec_lo, exec_lo, s22
	s_and_saveexec_b32 s9, s7
	s_cbranch_execz .LBB424_61
.LBB424_239:
	s_waitcnt vmcnt(1)
	v_and_b32_e32 v25, 1, v23
	s_waitcnt vmcnt(0)
	v_cmp_lt_i64_e64 s7, v[13:14], v[1:2]
	s_delay_alu instid0(VALU_DEP_2) | instskip(SKIP_1) | instid1(VALU_DEP_2)
	v_cmp_eq_u32_e64 s8, 1, v25
	v_and_b32_e32 v25, 1, v17
	s_and_b32 s7, s8, s7
	v_cndmask_b32_e64 v17, v17, 1, s8
	v_cndmask_b32_e64 v1, v1, v13, s7
	v_cndmask_b32_e64 v2, v2, v14, s7
	v_cmp_eq_u32_e64 s7, 1, v25
	s_delay_alu instid0(VALU_DEP_1) | instskip(NEXT) | instid1(VALU_DEP_3)
	v_cndmask_b32_e64 v17, v23, v17, s7
	v_cndmask_b32_e64 v2, v14, v2, s7
	;; [unrolled: 1-line block ×3, first 2 shown]
	s_or_b32 exec_lo, exec_lo, s9
	s_and_saveexec_b32 s8, s6
	s_cbranch_execz .LBB424_62
.LBB424_240:
	s_waitcnt vmcnt(0)
	v_and_b32_e32 v13, 1, v24
	v_cmp_lt_i64_e64 s6, v[15:16], v[1:2]
	s_delay_alu instid0(VALU_DEP_2) | instskip(SKIP_1) | instid1(VALU_DEP_2)
	v_cmp_eq_u32_e64 s7, 1, v13
	v_and_b32_e32 v13, 1, v17
	s_and_b32 s6, s7, s6
	v_cndmask_b32_e64 v14, v17, 1, s7
	v_cndmask_b32_e64 v1, v1, v15, s6
	;; [unrolled: 1-line block ×3, first 2 shown]
	v_cmp_eq_u32_e64 s6, 1, v13
	s_delay_alu instid0(VALU_DEP_1) | instskip(NEXT) | instid1(VALU_DEP_3)
	v_cndmask_b32_e64 v17, v24, v14, s6
	v_cndmask_b32_e64 v2, v16, v2, s6
	;; [unrolled: 1-line block ×3, first 2 shown]
	s_or_b32 exec_lo, exec_lo, s8
	s_and_saveexec_b32 s7, s5
	s_cbranch_execz .LBB424_63
.LBB424_241:
	s_waitcnt vmcnt(0)
	v_and_b32_e32 v13, 1, v21
	v_cmp_lt_i64_e64 s5, v[9:10], v[1:2]
	s_delay_alu instid0(VALU_DEP_2) | instskip(SKIP_1) | instid1(VALU_DEP_2)
	v_cmp_eq_u32_e64 s6, 1, v13
	v_and_b32_e32 v13, 1, v17
	s_and_b32 s5, s6, s5
	v_cndmask_b32_e64 v14, v17, 1, s6
	v_cndmask_b32_e64 v1, v1, v9, s5
	;; [unrolled: 1-line block ×3, first 2 shown]
	v_cmp_eq_u32_e64 s5, 1, v13
	s_delay_alu instid0(VALU_DEP_1) | instskip(NEXT) | instid1(VALU_DEP_3)
	v_cndmask_b32_e64 v17, v21, v14, s5
	v_cndmask_b32_e64 v2, v10, v2, s5
	;; [unrolled: 1-line block ×3, first 2 shown]
	s_or_b32 exec_lo, exec_lo, s7
	s_and_saveexec_b32 s6, s4
	s_cbranch_execz .LBB424_64
.LBB424_242:
	s_waitcnt vmcnt(0)
	v_and_b32_e32 v9, 1, v22
	v_cmp_lt_i64_e64 s4, v[11:12], v[1:2]
	s_delay_alu instid0(VALU_DEP_2) | instskip(SKIP_1) | instid1(VALU_DEP_2)
	v_cmp_eq_u32_e64 s5, 1, v9
	v_and_b32_e32 v9, 1, v17
	s_and_b32 s4, s5, s4
	v_cndmask_b32_e64 v10, v17, 1, s5
	v_cndmask_b32_e64 v1, v1, v11, s4
	v_cndmask_b32_e64 v2, v2, v12, s4
	v_cmp_eq_u32_e64 s4, 1, v9
	s_delay_alu instid0(VALU_DEP_1) | instskip(NEXT) | instid1(VALU_DEP_3)
	v_cndmask_b32_e64 v17, v22, v10, s4
	v_cndmask_b32_e64 v2, v12, v2, s4
	v_cndmask_b32_e64 v1, v11, v1, s4
	s_or_b32 exec_lo, exec_lo, s6
	s_and_saveexec_b32 s5, s3
	s_cbranch_execz .LBB424_65
.LBB424_243:
	s_waitcnt vmcnt(0)
	v_and_b32_e32 v9, 1, v19
	v_cmp_lt_i64_e64 s3, v[5:6], v[1:2]
	s_delay_alu instid0(VALU_DEP_2) | instskip(SKIP_1) | instid1(VALU_DEP_2)
	v_cmp_eq_u32_e64 s4, 1, v9
	v_and_b32_e32 v9, 1, v17
	s_and_b32 s3, s4, s3
	v_cndmask_b32_e64 v10, v17, 1, s4
	v_cndmask_b32_e64 v1, v1, v5, s3
	;; [unrolled: 1-line block ×3, first 2 shown]
	v_cmp_eq_u32_e64 s3, 1, v9
	s_delay_alu instid0(VALU_DEP_1) | instskip(NEXT) | instid1(VALU_DEP_3)
	v_cndmask_b32_e64 v17, v19, v10, s3
	v_cndmask_b32_e64 v2, v6, v2, s3
	;; [unrolled: 1-line block ×3, first 2 shown]
	s_or_b32 exec_lo, exec_lo, s5
	s_and_saveexec_b32 s4, s2
	s_cbranch_execz .LBB424_66
.LBB424_244:
	s_waitcnt vmcnt(0)
	v_and_b32_e32 v5, 1, v20
	v_cmp_lt_i64_e64 s2, v[7:8], v[1:2]
	s_delay_alu instid0(VALU_DEP_2) | instskip(SKIP_1) | instid1(VALU_DEP_2)
	v_cmp_eq_u32_e64 s3, 1, v5
	v_and_b32_e32 v5, 1, v17
	s_and_b32 s2, s3, s2
	v_cndmask_b32_e64 v6, v17, 1, s3
	v_cndmask_b32_e64 v1, v1, v7, s2
	;; [unrolled: 1-line block ×3, first 2 shown]
	v_cmp_eq_u32_e64 s2, 1, v5
	s_delay_alu instid0(VALU_DEP_1) | instskip(NEXT) | instid1(VALU_DEP_3)
	v_cndmask_b32_e64 v17, v20, v6, s2
	v_cndmask_b32_e64 v2, v8, v2, s2
	;; [unrolled: 1-line block ×3, first 2 shown]
	s_or_b32 exec_lo, exec_lo, s4
	s_and_saveexec_b32 s3, vcc_lo
	s_cbranch_execnz .LBB424_67
	s_branch .LBB424_68
.LBB424_245:
	v_lshlrev_b32_e32 v3, 4, v13
	s_clause 0x1
	global_load_u8 v10, v3, s[4:5]
	global_load_b64 v[3:4], v3, s[4:5] offset:8
	s_or_b32 exec_lo, exec_lo, s7
	s_and_saveexec_b32 s5, s3
	s_cbranch_execz .LBB424_104
.LBB424_246:
	s_waitcnt vmcnt(1)
	v_and_b32_e32 v13, 1, v11
	s_waitcnt vmcnt(0)
	v_cmp_lt_i64_e64 s3, v[5:6], v[1:2]
	s_delay_alu instid0(VALU_DEP_2) | instskip(SKIP_1) | instid1(VALU_DEP_2)
	v_cmp_eq_u32_e64 s4, 1, v13
	v_and_b32_e32 v13, 1, v9
	s_and_b32 s3, s4, s3
	v_cndmask_b32_e64 v9, v9, 1, s4
	v_cndmask_b32_e64 v1, v1, v5, s3
	;; [unrolled: 1-line block ×3, first 2 shown]
	v_cmp_eq_u32_e64 s3, 1, v13
	s_delay_alu instid0(VALU_DEP_1) | instskip(NEXT) | instid1(VALU_DEP_3)
	v_cndmask_b32_e64 v9, v11, v9, s3
	v_cndmask_b32_e64 v2, v6, v2, s3
	;; [unrolled: 1-line block ×3, first 2 shown]
	s_or_b32 exec_lo, exec_lo, s5
	s_and_saveexec_b32 s4, s2
	s_cbranch_execz .LBB424_105
.LBB424_247:
	s_waitcnt vmcnt(0)
	v_and_b32_e32 v5, 1, v12
	v_cmp_lt_i64_e64 s2, v[7:8], v[1:2]
	s_delay_alu instid0(VALU_DEP_2) | instskip(SKIP_1) | instid1(VALU_DEP_2)
	v_cmp_eq_u32_e64 s3, 1, v5
	v_and_b32_e32 v5, 1, v9
	s_and_b32 s2, s3, s2
	v_cndmask_b32_e64 v6, v9, 1, s3
	v_cndmask_b32_e64 v1, v1, v7, s2
	;; [unrolled: 1-line block ×3, first 2 shown]
	v_cmp_eq_u32_e64 s2, 1, v5
	s_delay_alu instid0(VALU_DEP_1) | instskip(NEXT) | instid1(VALU_DEP_3)
	v_cndmask_b32_e64 v9, v12, v6, s2
	v_cndmask_b32_e64 v2, v8, v2, s2
	;; [unrolled: 1-line block ×3, first 2 shown]
	s_or_b32 exec_lo, exec_lo, s4
	s_and_saveexec_b32 s3, vcc_lo
	s_cbranch_execnz .LBB424_106
	s_branch .LBB424_107
	.section	.rodata,"a",@progbits
	.p2align	6, 0x0
	.amdhsa_kernel _ZN7rocprim17ROCPRIM_400000_NS6detail17trampoline_kernelINS0_14default_configENS1_22reduce_config_selectorIN6thrust23THRUST_200600_302600_NS5tupleIblNS6_9null_typeES8_S8_S8_S8_S8_S8_S8_EEEEZNS1_11reduce_implILb1ES3_PS9_SC_S9_NS6_11hip_rocprim9__find_if7functorIS9_EEEE10hipError_tPvRmT1_T2_T3_mT4_P12ihipStream_tbEUlT_E1_NS1_11comp_targetILNS1_3genE9ELNS1_11target_archE1100ELNS1_3gpuE3ELNS1_3repE0EEENS1_30default_config_static_selectorELNS0_4arch9wavefront6targetE0EEEvSK_
		.amdhsa_group_segment_fixed_size 640
		.amdhsa_private_segment_fixed_size 0
		.amdhsa_kernarg_size 56
		.amdhsa_user_sgpr_count 15
		.amdhsa_user_sgpr_dispatch_ptr 0
		.amdhsa_user_sgpr_queue_ptr 0
		.amdhsa_user_sgpr_kernarg_segment_ptr 1
		.amdhsa_user_sgpr_dispatch_id 0
		.amdhsa_user_sgpr_private_segment_size 0
		.amdhsa_wavefront_size32 1
		.amdhsa_uses_dynamic_stack 0
		.amdhsa_enable_private_segment 0
		.amdhsa_system_sgpr_workgroup_id_x 1
		.amdhsa_system_sgpr_workgroup_id_y 0
		.amdhsa_system_sgpr_workgroup_id_z 0
		.amdhsa_system_sgpr_workgroup_info 0
		.amdhsa_system_vgpr_workitem_id 0
		.amdhsa_next_free_vgpr 30
		.amdhsa_next_free_sgpr 23
		.amdhsa_reserve_vcc 1
		.amdhsa_float_round_mode_32 0
		.amdhsa_float_round_mode_16_64 0
		.amdhsa_float_denorm_mode_32 3
		.amdhsa_float_denorm_mode_16_64 3
		.amdhsa_dx10_clamp 1
		.amdhsa_ieee_mode 1
		.amdhsa_fp16_overflow 0
		.amdhsa_workgroup_processor_mode 1
		.amdhsa_memory_ordered 1
		.amdhsa_forward_progress 0
		.amdhsa_shared_vgpr_count 0
		.amdhsa_exception_fp_ieee_invalid_op 0
		.amdhsa_exception_fp_denorm_src 0
		.amdhsa_exception_fp_ieee_div_zero 0
		.amdhsa_exception_fp_ieee_overflow 0
		.amdhsa_exception_fp_ieee_underflow 0
		.amdhsa_exception_fp_ieee_inexact 0
		.amdhsa_exception_int_div_zero 0
	.end_amdhsa_kernel
	.section	.text._ZN7rocprim17ROCPRIM_400000_NS6detail17trampoline_kernelINS0_14default_configENS1_22reduce_config_selectorIN6thrust23THRUST_200600_302600_NS5tupleIblNS6_9null_typeES8_S8_S8_S8_S8_S8_S8_EEEEZNS1_11reduce_implILb1ES3_PS9_SC_S9_NS6_11hip_rocprim9__find_if7functorIS9_EEEE10hipError_tPvRmT1_T2_T3_mT4_P12ihipStream_tbEUlT_E1_NS1_11comp_targetILNS1_3genE9ELNS1_11target_archE1100ELNS1_3gpuE3ELNS1_3repE0EEENS1_30default_config_static_selectorELNS0_4arch9wavefront6targetE0EEEvSK_,"axG",@progbits,_ZN7rocprim17ROCPRIM_400000_NS6detail17trampoline_kernelINS0_14default_configENS1_22reduce_config_selectorIN6thrust23THRUST_200600_302600_NS5tupleIblNS6_9null_typeES8_S8_S8_S8_S8_S8_S8_EEEEZNS1_11reduce_implILb1ES3_PS9_SC_S9_NS6_11hip_rocprim9__find_if7functorIS9_EEEE10hipError_tPvRmT1_T2_T3_mT4_P12ihipStream_tbEUlT_E1_NS1_11comp_targetILNS1_3genE9ELNS1_11target_archE1100ELNS1_3gpuE3ELNS1_3repE0EEENS1_30default_config_static_selectorELNS0_4arch9wavefront6targetE0EEEvSK_,comdat
.Lfunc_end424:
	.size	_ZN7rocprim17ROCPRIM_400000_NS6detail17trampoline_kernelINS0_14default_configENS1_22reduce_config_selectorIN6thrust23THRUST_200600_302600_NS5tupleIblNS6_9null_typeES8_S8_S8_S8_S8_S8_S8_EEEEZNS1_11reduce_implILb1ES3_PS9_SC_S9_NS6_11hip_rocprim9__find_if7functorIS9_EEEE10hipError_tPvRmT1_T2_T3_mT4_P12ihipStream_tbEUlT_E1_NS1_11comp_targetILNS1_3genE9ELNS1_11target_archE1100ELNS1_3gpuE3ELNS1_3repE0EEENS1_30default_config_static_selectorELNS0_4arch9wavefront6targetE0EEEvSK_, .Lfunc_end424-_ZN7rocprim17ROCPRIM_400000_NS6detail17trampoline_kernelINS0_14default_configENS1_22reduce_config_selectorIN6thrust23THRUST_200600_302600_NS5tupleIblNS6_9null_typeES8_S8_S8_S8_S8_S8_S8_EEEEZNS1_11reduce_implILb1ES3_PS9_SC_S9_NS6_11hip_rocprim9__find_if7functorIS9_EEEE10hipError_tPvRmT1_T2_T3_mT4_P12ihipStream_tbEUlT_E1_NS1_11comp_targetILNS1_3genE9ELNS1_11target_archE1100ELNS1_3gpuE3ELNS1_3repE0EEENS1_30default_config_static_selectorELNS0_4arch9wavefront6targetE0EEEvSK_
                                        ; -- End function
	.section	.AMDGPU.csdata,"",@progbits
; Kernel info:
; codeLenInByte = 16132
; NumSgprs: 25
; NumVgprs: 30
; ScratchSize: 0
; MemoryBound: 0
; FloatMode: 240
; IeeeMode: 1
; LDSByteSize: 640 bytes/workgroup (compile time only)
; SGPRBlocks: 3
; VGPRBlocks: 3
; NumSGPRsForWavesPerEU: 25
; NumVGPRsForWavesPerEU: 30
; Occupancy: 16
; WaveLimiterHint : 1
; COMPUTE_PGM_RSRC2:SCRATCH_EN: 0
; COMPUTE_PGM_RSRC2:USER_SGPR: 15
; COMPUTE_PGM_RSRC2:TRAP_HANDLER: 0
; COMPUTE_PGM_RSRC2:TGID_X_EN: 1
; COMPUTE_PGM_RSRC2:TGID_Y_EN: 0
; COMPUTE_PGM_RSRC2:TGID_Z_EN: 0
; COMPUTE_PGM_RSRC2:TIDIG_COMP_CNT: 0
	.section	.text._ZN7rocprim17ROCPRIM_400000_NS6detail17trampoline_kernelINS0_14default_configENS1_22reduce_config_selectorIN6thrust23THRUST_200600_302600_NS5tupleIblNS6_9null_typeES8_S8_S8_S8_S8_S8_S8_EEEEZNS1_11reduce_implILb1ES3_PS9_SC_S9_NS6_11hip_rocprim9__find_if7functorIS9_EEEE10hipError_tPvRmT1_T2_T3_mT4_P12ihipStream_tbEUlT_E1_NS1_11comp_targetILNS1_3genE8ELNS1_11target_archE1030ELNS1_3gpuE2ELNS1_3repE0EEENS1_30default_config_static_selectorELNS0_4arch9wavefront6targetE0EEEvSK_,"axG",@progbits,_ZN7rocprim17ROCPRIM_400000_NS6detail17trampoline_kernelINS0_14default_configENS1_22reduce_config_selectorIN6thrust23THRUST_200600_302600_NS5tupleIblNS6_9null_typeES8_S8_S8_S8_S8_S8_S8_EEEEZNS1_11reduce_implILb1ES3_PS9_SC_S9_NS6_11hip_rocprim9__find_if7functorIS9_EEEE10hipError_tPvRmT1_T2_T3_mT4_P12ihipStream_tbEUlT_E1_NS1_11comp_targetILNS1_3genE8ELNS1_11target_archE1030ELNS1_3gpuE2ELNS1_3repE0EEENS1_30default_config_static_selectorELNS0_4arch9wavefront6targetE0EEEvSK_,comdat
	.protected	_ZN7rocprim17ROCPRIM_400000_NS6detail17trampoline_kernelINS0_14default_configENS1_22reduce_config_selectorIN6thrust23THRUST_200600_302600_NS5tupleIblNS6_9null_typeES8_S8_S8_S8_S8_S8_S8_EEEEZNS1_11reduce_implILb1ES3_PS9_SC_S9_NS6_11hip_rocprim9__find_if7functorIS9_EEEE10hipError_tPvRmT1_T2_T3_mT4_P12ihipStream_tbEUlT_E1_NS1_11comp_targetILNS1_3genE8ELNS1_11target_archE1030ELNS1_3gpuE2ELNS1_3repE0EEENS1_30default_config_static_selectorELNS0_4arch9wavefront6targetE0EEEvSK_ ; -- Begin function _ZN7rocprim17ROCPRIM_400000_NS6detail17trampoline_kernelINS0_14default_configENS1_22reduce_config_selectorIN6thrust23THRUST_200600_302600_NS5tupleIblNS6_9null_typeES8_S8_S8_S8_S8_S8_S8_EEEEZNS1_11reduce_implILb1ES3_PS9_SC_S9_NS6_11hip_rocprim9__find_if7functorIS9_EEEE10hipError_tPvRmT1_T2_T3_mT4_P12ihipStream_tbEUlT_E1_NS1_11comp_targetILNS1_3genE8ELNS1_11target_archE1030ELNS1_3gpuE2ELNS1_3repE0EEENS1_30default_config_static_selectorELNS0_4arch9wavefront6targetE0EEEvSK_
	.globl	_ZN7rocprim17ROCPRIM_400000_NS6detail17trampoline_kernelINS0_14default_configENS1_22reduce_config_selectorIN6thrust23THRUST_200600_302600_NS5tupleIblNS6_9null_typeES8_S8_S8_S8_S8_S8_S8_EEEEZNS1_11reduce_implILb1ES3_PS9_SC_S9_NS6_11hip_rocprim9__find_if7functorIS9_EEEE10hipError_tPvRmT1_T2_T3_mT4_P12ihipStream_tbEUlT_E1_NS1_11comp_targetILNS1_3genE8ELNS1_11target_archE1030ELNS1_3gpuE2ELNS1_3repE0EEENS1_30default_config_static_selectorELNS0_4arch9wavefront6targetE0EEEvSK_
	.p2align	8
	.type	_ZN7rocprim17ROCPRIM_400000_NS6detail17trampoline_kernelINS0_14default_configENS1_22reduce_config_selectorIN6thrust23THRUST_200600_302600_NS5tupleIblNS6_9null_typeES8_S8_S8_S8_S8_S8_S8_EEEEZNS1_11reduce_implILb1ES3_PS9_SC_S9_NS6_11hip_rocprim9__find_if7functorIS9_EEEE10hipError_tPvRmT1_T2_T3_mT4_P12ihipStream_tbEUlT_E1_NS1_11comp_targetILNS1_3genE8ELNS1_11target_archE1030ELNS1_3gpuE2ELNS1_3repE0EEENS1_30default_config_static_selectorELNS0_4arch9wavefront6targetE0EEEvSK_,@function
_ZN7rocprim17ROCPRIM_400000_NS6detail17trampoline_kernelINS0_14default_configENS1_22reduce_config_selectorIN6thrust23THRUST_200600_302600_NS5tupleIblNS6_9null_typeES8_S8_S8_S8_S8_S8_S8_EEEEZNS1_11reduce_implILb1ES3_PS9_SC_S9_NS6_11hip_rocprim9__find_if7functorIS9_EEEE10hipError_tPvRmT1_T2_T3_mT4_P12ihipStream_tbEUlT_E1_NS1_11comp_targetILNS1_3genE8ELNS1_11target_archE1030ELNS1_3gpuE2ELNS1_3repE0EEENS1_30default_config_static_selectorELNS0_4arch9wavefront6targetE0EEEvSK_: ; @_ZN7rocprim17ROCPRIM_400000_NS6detail17trampoline_kernelINS0_14default_configENS1_22reduce_config_selectorIN6thrust23THRUST_200600_302600_NS5tupleIblNS6_9null_typeES8_S8_S8_S8_S8_S8_S8_EEEEZNS1_11reduce_implILb1ES3_PS9_SC_S9_NS6_11hip_rocprim9__find_if7functorIS9_EEEE10hipError_tPvRmT1_T2_T3_mT4_P12ihipStream_tbEUlT_E1_NS1_11comp_targetILNS1_3genE8ELNS1_11target_archE1030ELNS1_3gpuE2ELNS1_3repE0EEENS1_30default_config_static_selectorELNS0_4arch9wavefront6targetE0EEEvSK_
; %bb.0:
	.section	.rodata,"a",@progbits
	.p2align	6, 0x0
	.amdhsa_kernel _ZN7rocprim17ROCPRIM_400000_NS6detail17trampoline_kernelINS0_14default_configENS1_22reduce_config_selectorIN6thrust23THRUST_200600_302600_NS5tupleIblNS6_9null_typeES8_S8_S8_S8_S8_S8_S8_EEEEZNS1_11reduce_implILb1ES3_PS9_SC_S9_NS6_11hip_rocprim9__find_if7functorIS9_EEEE10hipError_tPvRmT1_T2_T3_mT4_P12ihipStream_tbEUlT_E1_NS1_11comp_targetILNS1_3genE8ELNS1_11target_archE1030ELNS1_3gpuE2ELNS1_3repE0EEENS1_30default_config_static_selectorELNS0_4arch9wavefront6targetE0EEEvSK_
		.amdhsa_group_segment_fixed_size 0
		.amdhsa_private_segment_fixed_size 0
		.amdhsa_kernarg_size 56
		.amdhsa_user_sgpr_count 15
		.amdhsa_user_sgpr_dispatch_ptr 0
		.amdhsa_user_sgpr_queue_ptr 0
		.amdhsa_user_sgpr_kernarg_segment_ptr 1
		.amdhsa_user_sgpr_dispatch_id 0
		.amdhsa_user_sgpr_private_segment_size 0
		.amdhsa_wavefront_size32 1
		.amdhsa_uses_dynamic_stack 0
		.amdhsa_enable_private_segment 0
		.amdhsa_system_sgpr_workgroup_id_x 1
		.amdhsa_system_sgpr_workgroup_id_y 0
		.amdhsa_system_sgpr_workgroup_id_z 0
		.amdhsa_system_sgpr_workgroup_info 0
		.amdhsa_system_vgpr_workitem_id 0
		.amdhsa_next_free_vgpr 1
		.amdhsa_next_free_sgpr 1
		.amdhsa_reserve_vcc 0
		.amdhsa_float_round_mode_32 0
		.amdhsa_float_round_mode_16_64 0
		.amdhsa_float_denorm_mode_32 3
		.amdhsa_float_denorm_mode_16_64 3
		.amdhsa_dx10_clamp 1
		.amdhsa_ieee_mode 1
		.amdhsa_fp16_overflow 0
		.amdhsa_workgroup_processor_mode 1
		.amdhsa_memory_ordered 1
		.amdhsa_forward_progress 0
		.amdhsa_shared_vgpr_count 0
		.amdhsa_exception_fp_ieee_invalid_op 0
		.amdhsa_exception_fp_denorm_src 0
		.amdhsa_exception_fp_ieee_div_zero 0
		.amdhsa_exception_fp_ieee_overflow 0
		.amdhsa_exception_fp_ieee_underflow 0
		.amdhsa_exception_fp_ieee_inexact 0
		.amdhsa_exception_int_div_zero 0
	.end_amdhsa_kernel
	.section	.text._ZN7rocprim17ROCPRIM_400000_NS6detail17trampoline_kernelINS0_14default_configENS1_22reduce_config_selectorIN6thrust23THRUST_200600_302600_NS5tupleIblNS6_9null_typeES8_S8_S8_S8_S8_S8_S8_EEEEZNS1_11reduce_implILb1ES3_PS9_SC_S9_NS6_11hip_rocprim9__find_if7functorIS9_EEEE10hipError_tPvRmT1_T2_T3_mT4_P12ihipStream_tbEUlT_E1_NS1_11comp_targetILNS1_3genE8ELNS1_11target_archE1030ELNS1_3gpuE2ELNS1_3repE0EEENS1_30default_config_static_selectorELNS0_4arch9wavefront6targetE0EEEvSK_,"axG",@progbits,_ZN7rocprim17ROCPRIM_400000_NS6detail17trampoline_kernelINS0_14default_configENS1_22reduce_config_selectorIN6thrust23THRUST_200600_302600_NS5tupleIblNS6_9null_typeES8_S8_S8_S8_S8_S8_S8_EEEEZNS1_11reduce_implILb1ES3_PS9_SC_S9_NS6_11hip_rocprim9__find_if7functorIS9_EEEE10hipError_tPvRmT1_T2_T3_mT4_P12ihipStream_tbEUlT_E1_NS1_11comp_targetILNS1_3genE8ELNS1_11target_archE1030ELNS1_3gpuE2ELNS1_3repE0EEENS1_30default_config_static_selectorELNS0_4arch9wavefront6targetE0EEEvSK_,comdat
.Lfunc_end425:
	.size	_ZN7rocprim17ROCPRIM_400000_NS6detail17trampoline_kernelINS0_14default_configENS1_22reduce_config_selectorIN6thrust23THRUST_200600_302600_NS5tupleIblNS6_9null_typeES8_S8_S8_S8_S8_S8_S8_EEEEZNS1_11reduce_implILb1ES3_PS9_SC_S9_NS6_11hip_rocprim9__find_if7functorIS9_EEEE10hipError_tPvRmT1_T2_T3_mT4_P12ihipStream_tbEUlT_E1_NS1_11comp_targetILNS1_3genE8ELNS1_11target_archE1030ELNS1_3gpuE2ELNS1_3repE0EEENS1_30default_config_static_selectorELNS0_4arch9wavefront6targetE0EEEvSK_, .Lfunc_end425-_ZN7rocprim17ROCPRIM_400000_NS6detail17trampoline_kernelINS0_14default_configENS1_22reduce_config_selectorIN6thrust23THRUST_200600_302600_NS5tupleIblNS6_9null_typeES8_S8_S8_S8_S8_S8_S8_EEEEZNS1_11reduce_implILb1ES3_PS9_SC_S9_NS6_11hip_rocprim9__find_if7functorIS9_EEEE10hipError_tPvRmT1_T2_T3_mT4_P12ihipStream_tbEUlT_E1_NS1_11comp_targetILNS1_3genE8ELNS1_11target_archE1030ELNS1_3gpuE2ELNS1_3repE0EEENS1_30default_config_static_selectorELNS0_4arch9wavefront6targetE0EEEvSK_
                                        ; -- End function
	.section	.AMDGPU.csdata,"",@progbits
; Kernel info:
; codeLenInByte = 0
; NumSgprs: 0
; NumVgprs: 0
; ScratchSize: 0
; MemoryBound: 0
; FloatMode: 240
; IeeeMode: 1
; LDSByteSize: 0 bytes/workgroup (compile time only)
; SGPRBlocks: 0
; VGPRBlocks: 0
; NumSGPRsForWavesPerEU: 1
; NumVGPRsForWavesPerEU: 1
; Occupancy: 16
; WaveLimiterHint : 0
; COMPUTE_PGM_RSRC2:SCRATCH_EN: 0
; COMPUTE_PGM_RSRC2:USER_SGPR: 15
; COMPUTE_PGM_RSRC2:TRAP_HANDLER: 0
; COMPUTE_PGM_RSRC2:TGID_X_EN: 1
; COMPUTE_PGM_RSRC2:TGID_Y_EN: 0
; COMPUTE_PGM_RSRC2:TGID_Z_EN: 0
; COMPUTE_PGM_RSRC2:TIDIG_COMP_CNT: 0
	.section	.text._ZN7rocprim17ROCPRIM_400000_NS6detail17trampoline_kernelINS0_14default_configENS1_22reduce_config_selectorIN6thrust23THRUST_200600_302600_NS5tupleIblNS6_9null_typeES8_S8_S8_S8_S8_S8_S8_EEEEZNS1_11reduce_implILb1ES3_NS6_12zip_iteratorINS7_INS6_11hip_rocprim26transform_input_iterator_tIbNSD_35transform_pair_of_input_iterators_tIbNS6_6detail15normal_iteratorINS6_10device_ptrIKdEEEESL_NS6_8equal_toIdEEEENSG_9not_fun_tINSD_8identityEEEEENSD_19counting_iterator_tIlEES8_S8_S8_S8_S8_S8_S8_S8_EEEEPS9_S9_NSD_9__find_if7functorIS9_EEEE10hipError_tPvRmT1_T2_T3_mT4_P12ihipStream_tbEUlT_E0_NS1_11comp_targetILNS1_3genE0ELNS1_11target_archE4294967295ELNS1_3gpuE0ELNS1_3repE0EEENS1_30default_config_static_selectorELNS0_4arch9wavefront6targetE0EEEvS14_,"axG",@progbits,_ZN7rocprim17ROCPRIM_400000_NS6detail17trampoline_kernelINS0_14default_configENS1_22reduce_config_selectorIN6thrust23THRUST_200600_302600_NS5tupleIblNS6_9null_typeES8_S8_S8_S8_S8_S8_S8_EEEEZNS1_11reduce_implILb1ES3_NS6_12zip_iteratorINS7_INS6_11hip_rocprim26transform_input_iterator_tIbNSD_35transform_pair_of_input_iterators_tIbNS6_6detail15normal_iteratorINS6_10device_ptrIKdEEEESL_NS6_8equal_toIdEEEENSG_9not_fun_tINSD_8identityEEEEENSD_19counting_iterator_tIlEES8_S8_S8_S8_S8_S8_S8_S8_EEEEPS9_S9_NSD_9__find_if7functorIS9_EEEE10hipError_tPvRmT1_T2_T3_mT4_P12ihipStream_tbEUlT_E0_NS1_11comp_targetILNS1_3genE0ELNS1_11target_archE4294967295ELNS1_3gpuE0ELNS1_3repE0EEENS1_30default_config_static_selectorELNS0_4arch9wavefront6targetE0EEEvS14_,comdat
	.protected	_ZN7rocprim17ROCPRIM_400000_NS6detail17trampoline_kernelINS0_14default_configENS1_22reduce_config_selectorIN6thrust23THRUST_200600_302600_NS5tupleIblNS6_9null_typeES8_S8_S8_S8_S8_S8_S8_EEEEZNS1_11reduce_implILb1ES3_NS6_12zip_iteratorINS7_INS6_11hip_rocprim26transform_input_iterator_tIbNSD_35transform_pair_of_input_iterators_tIbNS6_6detail15normal_iteratorINS6_10device_ptrIKdEEEESL_NS6_8equal_toIdEEEENSG_9not_fun_tINSD_8identityEEEEENSD_19counting_iterator_tIlEES8_S8_S8_S8_S8_S8_S8_S8_EEEEPS9_S9_NSD_9__find_if7functorIS9_EEEE10hipError_tPvRmT1_T2_T3_mT4_P12ihipStream_tbEUlT_E0_NS1_11comp_targetILNS1_3genE0ELNS1_11target_archE4294967295ELNS1_3gpuE0ELNS1_3repE0EEENS1_30default_config_static_selectorELNS0_4arch9wavefront6targetE0EEEvS14_ ; -- Begin function _ZN7rocprim17ROCPRIM_400000_NS6detail17trampoline_kernelINS0_14default_configENS1_22reduce_config_selectorIN6thrust23THRUST_200600_302600_NS5tupleIblNS6_9null_typeES8_S8_S8_S8_S8_S8_S8_EEEEZNS1_11reduce_implILb1ES3_NS6_12zip_iteratorINS7_INS6_11hip_rocprim26transform_input_iterator_tIbNSD_35transform_pair_of_input_iterators_tIbNS6_6detail15normal_iteratorINS6_10device_ptrIKdEEEESL_NS6_8equal_toIdEEEENSG_9not_fun_tINSD_8identityEEEEENSD_19counting_iterator_tIlEES8_S8_S8_S8_S8_S8_S8_S8_EEEEPS9_S9_NSD_9__find_if7functorIS9_EEEE10hipError_tPvRmT1_T2_T3_mT4_P12ihipStream_tbEUlT_E0_NS1_11comp_targetILNS1_3genE0ELNS1_11target_archE4294967295ELNS1_3gpuE0ELNS1_3repE0EEENS1_30default_config_static_selectorELNS0_4arch9wavefront6targetE0EEEvS14_
	.globl	_ZN7rocprim17ROCPRIM_400000_NS6detail17trampoline_kernelINS0_14default_configENS1_22reduce_config_selectorIN6thrust23THRUST_200600_302600_NS5tupleIblNS6_9null_typeES8_S8_S8_S8_S8_S8_S8_EEEEZNS1_11reduce_implILb1ES3_NS6_12zip_iteratorINS7_INS6_11hip_rocprim26transform_input_iterator_tIbNSD_35transform_pair_of_input_iterators_tIbNS6_6detail15normal_iteratorINS6_10device_ptrIKdEEEESL_NS6_8equal_toIdEEEENSG_9not_fun_tINSD_8identityEEEEENSD_19counting_iterator_tIlEES8_S8_S8_S8_S8_S8_S8_S8_EEEEPS9_S9_NSD_9__find_if7functorIS9_EEEE10hipError_tPvRmT1_T2_T3_mT4_P12ihipStream_tbEUlT_E0_NS1_11comp_targetILNS1_3genE0ELNS1_11target_archE4294967295ELNS1_3gpuE0ELNS1_3repE0EEENS1_30default_config_static_selectorELNS0_4arch9wavefront6targetE0EEEvS14_
	.p2align	8
	.type	_ZN7rocprim17ROCPRIM_400000_NS6detail17trampoline_kernelINS0_14default_configENS1_22reduce_config_selectorIN6thrust23THRUST_200600_302600_NS5tupleIblNS6_9null_typeES8_S8_S8_S8_S8_S8_S8_EEEEZNS1_11reduce_implILb1ES3_NS6_12zip_iteratorINS7_INS6_11hip_rocprim26transform_input_iterator_tIbNSD_35transform_pair_of_input_iterators_tIbNS6_6detail15normal_iteratorINS6_10device_ptrIKdEEEESL_NS6_8equal_toIdEEEENSG_9not_fun_tINSD_8identityEEEEENSD_19counting_iterator_tIlEES8_S8_S8_S8_S8_S8_S8_S8_EEEEPS9_S9_NSD_9__find_if7functorIS9_EEEE10hipError_tPvRmT1_T2_T3_mT4_P12ihipStream_tbEUlT_E0_NS1_11comp_targetILNS1_3genE0ELNS1_11target_archE4294967295ELNS1_3gpuE0ELNS1_3repE0EEENS1_30default_config_static_selectorELNS0_4arch9wavefront6targetE0EEEvS14_,@function
_ZN7rocprim17ROCPRIM_400000_NS6detail17trampoline_kernelINS0_14default_configENS1_22reduce_config_selectorIN6thrust23THRUST_200600_302600_NS5tupleIblNS6_9null_typeES8_S8_S8_S8_S8_S8_S8_EEEEZNS1_11reduce_implILb1ES3_NS6_12zip_iteratorINS7_INS6_11hip_rocprim26transform_input_iterator_tIbNSD_35transform_pair_of_input_iterators_tIbNS6_6detail15normal_iteratorINS6_10device_ptrIKdEEEESL_NS6_8equal_toIdEEEENSG_9not_fun_tINSD_8identityEEEEENSD_19counting_iterator_tIlEES8_S8_S8_S8_S8_S8_S8_S8_EEEEPS9_S9_NSD_9__find_if7functorIS9_EEEE10hipError_tPvRmT1_T2_T3_mT4_P12ihipStream_tbEUlT_E0_NS1_11comp_targetILNS1_3genE0ELNS1_11target_archE4294967295ELNS1_3gpuE0ELNS1_3repE0EEENS1_30default_config_static_selectorELNS0_4arch9wavefront6targetE0EEEvS14_: ; @_ZN7rocprim17ROCPRIM_400000_NS6detail17trampoline_kernelINS0_14default_configENS1_22reduce_config_selectorIN6thrust23THRUST_200600_302600_NS5tupleIblNS6_9null_typeES8_S8_S8_S8_S8_S8_S8_EEEEZNS1_11reduce_implILb1ES3_NS6_12zip_iteratorINS7_INS6_11hip_rocprim26transform_input_iterator_tIbNSD_35transform_pair_of_input_iterators_tIbNS6_6detail15normal_iteratorINS6_10device_ptrIKdEEEESL_NS6_8equal_toIdEEEENSG_9not_fun_tINSD_8identityEEEEENSD_19counting_iterator_tIlEES8_S8_S8_S8_S8_S8_S8_S8_EEEEPS9_S9_NSD_9__find_if7functorIS9_EEEE10hipError_tPvRmT1_T2_T3_mT4_P12ihipStream_tbEUlT_E0_NS1_11comp_targetILNS1_3genE0ELNS1_11target_archE4294967295ELNS1_3gpuE0ELNS1_3repE0EEENS1_30default_config_static_selectorELNS0_4arch9wavefront6targetE0EEEvS14_
; %bb.0:
	.section	.rodata,"a",@progbits
	.p2align	6, 0x0
	.amdhsa_kernel _ZN7rocprim17ROCPRIM_400000_NS6detail17trampoline_kernelINS0_14default_configENS1_22reduce_config_selectorIN6thrust23THRUST_200600_302600_NS5tupleIblNS6_9null_typeES8_S8_S8_S8_S8_S8_S8_EEEEZNS1_11reduce_implILb1ES3_NS6_12zip_iteratorINS7_INS6_11hip_rocprim26transform_input_iterator_tIbNSD_35transform_pair_of_input_iterators_tIbNS6_6detail15normal_iteratorINS6_10device_ptrIKdEEEESL_NS6_8equal_toIdEEEENSG_9not_fun_tINSD_8identityEEEEENSD_19counting_iterator_tIlEES8_S8_S8_S8_S8_S8_S8_S8_EEEEPS9_S9_NSD_9__find_if7functorIS9_EEEE10hipError_tPvRmT1_T2_T3_mT4_P12ihipStream_tbEUlT_E0_NS1_11comp_targetILNS1_3genE0ELNS1_11target_archE4294967295ELNS1_3gpuE0ELNS1_3repE0EEENS1_30default_config_static_selectorELNS0_4arch9wavefront6targetE0EEEvS14_
		.amdhsa_group_segment_fixed_size 0
		.amdhsa_private_segment_fixed_size 0
		.amdhsa_kernarg_size 104
		.amdhsa_user_sgpr_count 15
		.amdhsa_user_sgpr_dispatch_ptr 0
		.amdhsa_user_sgpr_queue_ptr 0
		.amdhsa_user_sgpr_kernarg_segment_ptr 1
		.amdhsa_user_sgpr_dispatch_id 0
		.amdhsa_user_sgpr_private_segment_size 0
		.amdhsa_wavefront_size32 1
		.amdhsa_uses_dynamic_stack 0
		.amdhsa_enable_private_segment 0
		.amdhsa_system_sgpr_workgroup_id_x 1
		.amdhsa_system_sgpr_workgroup_id_y 0
		.amdhsa_system_sgpr_workgroup_id_z 0
		.amdhsa_system_sgpr_workgroup_info 0
		.amdhsa_system_vgpr_workitem_id 0
		.amdhsa_next_free_vgpr 1
		.amdhsa_next_free_sgpr 1
		.amdhsa_reserve_vcc 0
		.amdhsa_float_round_mode_32 0
		.amdhsa_float_round_mode_16_64 0
		.amdhsa_float_denorm_mode_32 3
		.amdhsa_float_denorm_mode_16_64 3
		.amdhsa_dx10_clamp 1
		.amdhsa_ieee_mode 1
		.amdhsa_fp16_overflow 0
		.amdhsa_workgroup_processor_mode 1
		.amdhsa_memory_ordered 1
		.amdhsa_forward_progress 0
		.amdhsa_shared_vgpr_count 0
		.amdhsa_exception_fp_ieee_invalid_op 0
		.amdhsa_exception_fp_denorm_src 0
		.amdhsa_exception_fp_ieee_div_zero 0
		.amdhsa_exception_fp_ieee_overflow 0
		.amdhsa_exception_fp_ieee_underflow 0
		.amdhsa_exception_fp_ieee_inexact 0
		.amdhsa_exception_int_div_zero 0
	.end_amdhsa_kernel
	.section	.text._ZN7rocprim17ROCPRIM_400000_NS6detail17trampoline_kernelINS0_14default_configENS1_22reduce_config_selectorIN6thrust23THRUST_200600_302600_NS5tupleIblNS6_9null_typeES8_S8_S8_S8_S8_S8_S8_EEEEZNS1_11reduce_implILb1ES3_NS6_12zip_iteratorINS7_INS6_11hip_rocprim26transform_input_iterator_tIbNSD_35transform_pair_of_input_iterators_tIbNS6_6detail15normal_iteratorINS6_10device_ptrIKdEEEESL_NS6_8equal_toIdEEEENSG_9not_fun_tINSD_8identityEEEEENSD_19counting_iterator_tIlEES8_S8_S8_S8_S8_S8_S8_S8_EEEEPS9_S9_NSD_9__find_if7functorIS9_EEEE10hipError_tPvRmT1_T2_T3_mT4_P12ihipStream_tbEUlT_E0_NS1_11comp_targetILNS1_3genE0ELNS1_11target_archE4294967295ELNS1_3gpuE0ELNS1_3repE0EEENS1_30default_config_static_selectorELNS0_4arch9wavefront6targetE0EEEvS14_,"axG",@progbits,_ZN7rocprim17ROCPRIM_400000_NS6detail17trampoline_kernelINS0_14default_configENS1_22reduce_config_selectorIN6thrust23THRUST_200600_302600_NS5tupleIblNS6_9null_typeES8_S8_S8_S8_S8_S8_S8_EEEEZNS1_11reduce_implILb1ES3_NS6_12zip_iteratorINS7_INS6_11hip_rocprim26transform_input_iterator_tIbNSD_35transform_pair_of_input_iterators_tIbNS6_6detail15normal_iteratorINS6_10device_ptrIKdEEEESL_NS6_8equal_toIdEEEENSG_9not_fun_tINSD_8identityEEEEENSD_19counting_iterator_tIlEES8_S8_S8_S8_S8_S8_S8_S8_EEEEPS9_S9_NSD_9__find_if7functorIS9_EEEE10hipError_tPvRmT1_T2_T3_mT4_P12ihipStream_tbEUlT_E0_NS1_11comp_targetILNS1_3genE0ELNS1_11target_archE4294967295ELNS1_3gpuE0ELNS1_3repE0EEENS1_30default_config_static_selectorELNS0_4arch9wavefront6targetE0EEEvS14_,comdat
.Lfunc_end426:
	.size	_ZN7rocprim17ROCPRIM_400000_NS6detail17trampoline_kernelINS0_14default_configENS1_22reduce_config_selectorIN6thrust23THRUST_200600_302600_NS5tupleIblNS6_9null_typeES8_S8_S8_S8_S8_S8_S8_EEEEZNS1_11reduce_implILb1ES3_NS6_12zip_iteratorINS7_INS6_11hip_rocprim26transform_input_iterator_tIbNSD_35transform_pair_of_input_iterators_tIbNS6_6detail15normal_iteratorINS6_10device_ptrIKdEEEESL_NS6_8equal_toIdEEEENSG_9not_fun_tINSD_8identityEEEEENSD_19counting_iterator_tIlEES8_S8_S8_S8_S8_S8_S8_S8_EEEEPS9_S9_NSD_9__find_if7functorIS9_EEEE10hipError_tPvRmT1_T2_T3_mT4_P12ihipStream_tbEUlT_E0_NS1_11comp_targetILNS1_3genE0ELNS1_11target_archE4294967295ELNS1_3gpuE0ELNS1_3repE0EEENS1_30default_config_static_selectorELNS0_4arch9wavefront6targetE0EEEvS14_, .Lfunc_end426-_ZN7rocprim17ROCPRIM_400000_NS6detail17trampoline_kernelINS0_14default_configENS1_22reduce_config_selectorIN6thrust23THRUST_200600_302600_NS5tupleIblNS6_9null_typeES8_S8_S8_S8_S8_S8_S8_EEEEZNS1_11reduce_implILb1ES3_NS6_12zip_iteratorINS7_INS6_11hip_rocprim26transform_input_iterator_tIbNSD_35transform_pair_of_input_iterators_tIbNS6_6detail15normal_iteratorINS6_10device_ptrIKdEEEESL_NS6_8equal_toIdEEEENSG_9not_fun_tINSD_8identityEEEEENSD_19counting_iterator_tIlEES8_S8_S8_S8_S8_S8_S8_S8_EEEEPS9_S9_NSD_9__find_if7functorIS9_EEEE10hipError_tPvRmT1_T2_T3_mT4_P12ihipStream_tbEUlT_E0_NS1_11comp_targetILNS1_3genE0ELNS1_11target_archE4294967295ELNS1_3gpuE0ELNS1_3repE0EEENS1_30default_config_static_selectorELNS0_4arch9wavefront6targetE0EEEvS14_
                                        ; -- End function
	.section	.AMDGPU.csdata,"",@progbits
; Kernel info:
; codeLenInByte = 0
; NumSgprs: 0
; NumVgprs: 0
; ScratchSize: 0
; MemoryBound: 0
; FloatMode: 240
; IeeeMode: 1
; LDSByteSize: 0 bytes/workgroup (compile time only)
; SGPRBlocks: 0
; VGPRBlocks: 0
; NumSGPRsForWavesPerEU: 1
; NumVGPRsForWavesPerEU: 1
; Occupancy: 16
; WaveLimiterHint : 0
; COMPUTE_PGM_RSRC2:SCRATCH_EN: 0
; COMPUTE_PGM_RSRC2:USER_SGPR: 15
; COMPUTE_PGM_RSRC2:TRAP_HANDLER: 0
; COMPUTE_PGM_RSRC2:TGID_X_EN: 1
; COMPUTE_PGM_RSRC2:TGID_Y_EN: 0
; COMPUTE_PGM_RSRC2:TGID_Z_EN: 0
; COMPUTE_PGM_RSRC2:TIDIG_COMP_CNT: 0
	.section	.text._ZN7rocprim17ROCPRIM_400000_NS6detail17trampoline_kernelINS0_14default_configENS1_22reduce_config_selectorIN6thrust23THRUST_200600_302600_NS5tupleIblNS6_9null_typeES8_S8_S8_S8_S8_S8_S8_EEEEZNS1_11reduce_implILb1ES3_NS6_12zip_iteratorINS7_INS6_11hip_rocprim26transform_input_iterator_tIbNSD_35transform_pair_of_input_iterators_tIbNS6_6detail15normal_iteratorINS6_10device_ptrIKdEEEESL_NS6_8equal_toIdEEEENSG_9not_fun_tINSD_8identityEEEEENSD_19counting_iterator_tIlEES8_S8_S8_S8_S8_S8_S8_S8_EEEEPS9_S9_NSD_9__find_if7functorIS9_EEEE10hipError_tPvRmT1_T2_T3_mT4_P12ihipStream_tbEUlT_E0_NS1_11comp_targetILNS1_3genE5ELNS1_11target_archE942ELNS1_3gpuE9ELNS1_3repE0EEENS1_30default_config_static_selectorELNS0_4arch9wavefront6targetE0EEEvS14_,"axG",@progbits,_ZN7rocprim17ROCPRIM_400000_NS6detail17trampoline_kernelINS0_14default_configENS1_22reduce_config_selectorIN6thrust23THRUST_200600_302600_NS5tupleIblNS6_9null_typeES8_S8_S8_S8_S8_S8_S8_EEEEZNS1_11reduce_implILb1ES3_NS6_12zip_iteratorINS7_INS6_11hip_rocprim26transform_input_iterator_tIbNSD_35transform_pair_of_input_iterators_tIbNS6_6detail15normal_iteratorINS6_10device_ptrIKdEEEESL_NS6_8equal_toIdEEEENSG_9not_fun_tINSD_8identityEEEEENSD_19counting_iterator_tIlEES8_S8_S8_S8_S8_S8_S8_S8_EEEEPS9_S9_NSD_9__find_if7functorIS9_EEEE10hipError_tPvRmT1_T2_T3_mT4_P12ihipStream_tbEUlT_E0_NS1_11comp_targetILNS1_3genE5ELNS1_11target_archE942ELNS1_3gpuE9ELNS1_3repE0EEENS1_30default_config_static_selectorELNS0_4arch9wavefront6targetE0EEEvS14_,comdat
	.protected	_ZN7rocprim17ROCPRIM_400000_NS6detail17trampoline_kernelINS0_14default_configENS1_22reduce_config_selectorIN6thrust23THRUST_200600_302600_NS5tupleIblNS6_9null_typeES8_S8_S8_S8_S8_S8_S8_EEEEZNS1_11reduce_implILb1ES3_NS6_12zip_iteratorINS7_INS6_11hip_rocprim26transform_input_iterator_tIbNSD_35transform_pair_of_input_iterators_tIbNS6_6detail15normal_iteratorINS6_10device_ptrIKdEEEESL_NS6_8equal_toIdEEEENSG_9not_fun_tINSD_8identityEEEEENSD_19counting_iterator_tIlEES8_S8_S8_S8_S8_S8_S8_S8_EEEEPS9_S9_NSD_9__find_if7functorIS9_EEEE10hipError_tPvRmT1_T2_T3_mT4_P12ihipStream_tbEUlT_E0_NS1_11comp_targetILNS1_3genE5ELNS1_11target_archE942ELNS1_3gpuE9ELNS1_3repE0EEENS1_30default_config_static_selectorELNS0_4arch9wavefront6targetE0EEEvS14_ ; -- Begin function _ZN7rocprim17ROCPRIM_400000_NS6detail17trampoline_kernelINS0_14default_configENS1_22reduce_config_selectorIN6thrust23THRUST_200600_302600_NS5tupleIblNS6_9null_typeES8_S8_S8_S8_S8_S8_S8_EEEEZNS1_11reduce_implILb1ES3_NS6_12zip_iteratorINS7_INS6_11hip_rocprim26transform_input_iterator_tIbNSD_35transform_pair_of_input_iterators_tIbNS6_6detail15normal_iteratorINS6_10device_ptrIKdEEEESL_NS6_8equal_toIdEEEENSG_9not_fun_tINSD_8identityEEEEENSD_19counting_iterator_tIlEES8_S8_S8_S8_S8_S8_S8_S8_EEEEPS9_S9_NSD_9__find_if7functorIS9_EEEE10hipError_tPvRmT1_T2_T3_mT4_P12ihipStream_tbEUlT_E0_NS1_11comp_targetILNS1_3genE5ELNS1_11target_archE942ELNS1_3gpuE9ELNS1_3repE0EEENS1_30default_config_static_selectorELNS0_4arch9wavefront6targetE0EEEvS14_
	.globl	_ZN7rocprim17ROCPRIM_400000_NS6detail17trampoline_kernelINS0_14default_configENS1_22reduce_config_selectorIN6thrust23THRUST_200600_302600_NS5tupleIblNS6_9null_typeES8_S8_S8_S8_S8_S8_S8_EEEEZNS1_11reduce_implILb1ES3_NS6_12zip_iteratorINS7_INS6_11hip_rocprim26transform_input_iterator_tIbNSD_35transform_pair_of_input_iterators_tIbNS6_6detail15normal_iteratorINS6_10device_ptrIKdEEEESL_NS6_8equal_toIdEEEENSG_9not_fun_tINSD_8identityEEEEENSD_19counting_iterator_tIlEES8_S8_S8_S8_S8_S8_S8_S8_EEEEPS9_S9_NSD_9__find_if7functorIS9_EEEE10hipError_tPvRmT1_T2_T3_mT4_P12ihipStream_tbEUlT_E0_NS1_11comp_targetILNS1_3genE5ELNS1_11target_archE942ELNS1_3gpuE9ELNS1_3repE0EEENS1_30default_config_static_selectorELNS0_4arch9wavefront6targetE0EEEvS14_
	.p2align	8
	.type	_ZN7rocprim17ROCPRIM_400000_NS6detail17trampoline_kernelINS0_14default_configENS1_22reduce_config_selectorIN6thrust23THRUST_200600_302600_NS5tupleIblNS6_9null_typeES8_S8_S8_S8_S8_S8_S8_EEEEZNS1_11reduce_implILb1ES3_NS6_12zip_iteratorINS7_INS6_11hip_rocprim26transform_input_iterator_tIbNSD_35transform_pair_of_input_iterators_tIbNS6_6detail15normal_iteratorINS6_10device_ptrIKdEEEESL_NS6_8equal_toIdEEEENSG_9not_fun_tINSD_8identityEEEEENSD_19counting_iterator_tIlEES8_S8_S8_S8_S8_S8_S8_S8_EEEEPS9_S9_NSD_9__find_if7functorIS9_EEEE10hipError_tPvRmT1_T2_T3_mT4_P12ihipStream_tbEUlT_E0_NS1_11comp_targetILNS1_3genE5ELNS1_11target_archE942ELNS1_3gpuE9ELNS1_3repE0EEENS1_30default_config_static_selectorELNS0_4arch9wavefront6targetE0EEEvS14_,@function
_ZN7rocprim17ROCPRIM_400000_NS6detail17trampoline_kernelINS0_14default_configENS1_22reduce_config_selectorIN6thrust23THRUST_200600_302600_NS5tupleIblNS6_9null_typeES8_S8_S8_S8_S8_S8_S8_EEEEZNS1_11reduce_implILb1ES3_NS6_12zip_iteratorINS7_INS6_11hip_rocprim26transform_input_iterator_tIbNSD_35transform_pair_of_input_iterators_tIbNS6_6detail15normal_iteratorINS6_10device_ptrIKdEEEESL_NS6_8equal_toIdEEEENSG_9not_fun_tINSD_8identityEEEEENSD_19counting_iterator_tIlEES8_S8_S8_S8_S8_S8_S8_S8_EEEEPS9_S9_NSD_9__find_if7functorIS9_EEEE10hipError_tPvRmT1_T2_T3_mT4_P12ihipStream_tbEUlT_E0_NS1_11comp_targetILNS1_3genE5ELNS1_11target_archE942ELNS1_3gpuE9ELNS1_3repE0EEENS1_30default_config_static_selectorELNS0_4arch9wavefront6targetE0EEEvS14_: ; @_ZN7rocprim17ROCPRIM_400000_NS6detail17trampoline_kernelINS0_14default_configENS1_22reduce_config_selectorIN6thrust23THRUST_200600_302600_NS5tupleIblNS6_9null_typeES8_S8_S8_S8_S8_S8_S8_EEEEZNS1_11reduce_implILb1ES3_NS6_12zip_iteratorINS7_INS6_11hip_rocprim26transform_input_iterator_tIbNSD_35transform_pair_of_input_iterators_tIbNS6_6detail15normal_iteratorINS6_10device_ptrIKdEEEESL_NS6_8equal_toIdEEEENSG_9not_fun_tINSD_8identityEEEEENSD_19counting_iterator_tIlEES8_S8_S8_S8_S8_S8_S8_S8_EEEEPS9_S9_NSD_9__find_if7functorIS9_EEEE10hipError_tPvRmT1_T2_T3_mT4_P12ihipStream_tbEUlT_E0_NS1_11comp_targetILNS1_3genE5ELNS1_11target_archE942ELNS1_3gpuE9ELNS1_3repE0EEENS1_30default_config_static_selectorELNS0_4arch9wavefront6targetE0EEEvS14_
; %bb.0:
	.section	.rodata,"a",@progbits
	.p2align	6, 0x0
	.amdhsa_kernel _ZN7rocprim17ROCPRIM_400000_NS6detail17trampoline_kernelINS0_14default_configENS1_22reduce_config_selectorIN6thrust23THRUST_200600_302600_NS5tupleIblNS6_9null_typeES8_S8_S8_S8_S8_S8_S8_EEEEZNS1_11reduce_implILb1ES3_NS6_12zip_iteratorINS7_INS6_11hip_rocprim26transform_input_iterator_tIbNSD_35transform_pair_of_input_iterators_tIbNS6_6detail15normal_iteratorINS6_10device_ptrIKdEEEESL_NS6_8equal_toIdEEEENSG_9not_fun_tINSD_8identityEEEEENSD_19counting_iterator_tIlEES8_S8_S8_S8_S8_S8_S8_S8_EEEEPS9_S9_NSD_9__find_if7functorIS9_EEEE10hipError_tPvRmT1_T2_T3_mT4_P12ihipStream_tbEUlT_E0_NS1_11comp_targetILNS1_3genE5ELNS1_11target_archE942ELNS1_3gpuE9ELNS1_3repE0EEENS1_30default_config_static_selectorELNS0_4arch9wavefront6targetE0EEEvS14_
		.amdhsa_group_segment_fixed_size 0
		.amdhsa_private_segment_fixed_size 0
		.amdhsa_kernarg_size 104
		.amdhsa_user_sgpr_count 15
		.amdhsa_user_sgpr_dispatch_ptr 0
		.amdhsa_user_sgpr_queue_ptr 0
		.amdhsa_user_sgpr_kernarg_segment_ptr 1
		.amdhsa_user_sgpr_dispatch_id 0
		.amdhsa_user_sgpr_private_segment_size 0
		.amdhsa_wavefront_size32 1
		.amdhsa_uses_dynamic_stack 0
		.amdhsa_enable_private_segment 0
		.amdhsa_system_sgpr_workgroup_id_x 1
		.amdhsa_system_sgpr_workgroup_id_y 0
		.amdhsa_system_sgpr_workgroup_id_z 0
		.amdhsa_system_sgpr_workgroup_info 0
		.amdhsa_system_vgpr_workitem_id 0
		.amdhsa_next_free_vgpr 1
		.amdhsa_next_free_sgpr 1
		.amdhsa_reserve_vcc 0
		.amdhsa_float_round_mode_32 0
		.amdhsa_float_round_mode_16_64 0
		.amdhsa_float_denorm_mode_32 3
		.amdhsa_float_denorm_mode_16_64 3
		.amdhsa_dx10_clamp 1
		.amdhsa_ieee_mode 1
		.amdhsa_fp16_overflow 0
		.amdhsa_workgroup_processor_mode 1
		.amdhsa_memory_ordered 1
		.amdhsa_forward_progress 0
		.amdhsa_shared_vgpr_count 0
		.amdhsa_exception_fp_ieee_invalid_op 0
		.amdhsa_exception_fp_denorm_src 0
		.amdhsa_exception_fp_ieee_div_zero 0
		.amdhsa_exception_fp_ieee_overflow 0
		.amdhsa_exception_fp_ieee_underflow 0
		.amdhsa_exception_fp_ieee_inexact 0
		.amdhsa_exception_int_div_zero 0
	.end_amdhsa_kernel
	.section	.text._ZN7rocprim17ROCPRIM_400000_NS6detail17trampoline_kernelINS0_14default_configENS1_22reduce_config_selectorIN6thrust23THRUST_200600_302600_NS5tupleIblNS6_9null_typeES8_S8_S8_S8_S8_S8_S8_EEEEZNS1_11reduce_implILb1ES3_NS6_12zip_iteratorINS7_INS6_11hip_rocprim26transform_input_iterator_tIbNSD_35transform_pair_of_input_iterators_tIbNS6_6detail15normal_iteratorINS6_10device_ptrIKdEEEESL_NS6_8equal_toIdEEEENSG_9not_fun_tINSD_8identityEEEEENSD_19counting_iterator_tIlEES8_S8_S8_S8_S8_S8_S8_S8_EEEEPS9_S9_NSD_9__find_if7functorIS9_EEEE10hipError_tPvRmT1_T2_T3_mT4_P12ihipStream_tbEUlT_E0_NS1_11comp_targetILNS1_3genE5ELNS1_11target_archE942ELNS1_3gpuE9ELNS1_3repE0EEENS1_30default_config_static_selectorELNS0_4arch9wavefront6targetE0EEEvS14_,"axG",@progbits,_ZN7rocprim17ROCPRIM_400000_NS6detail17trampoline_kernelINS0_14default_configENS1_22reduce_config_selectorIN6thrust23THRUST_200600_302600_NS5tupleIblNS6_9null_typeES8_S8_S8_S8_S8_S8_S8_EEEEZNS1_11reduce_implILb1ES3_NS6_12zip_iteratorINS7_INS6_11hip_rocprim26transform_input_iterator_tIbNSD_35transform_pair_of_input_iterators_tIbNS6_6detail15normal_iteratorINS6_10device_ptrIKdEEEESL_NS6_8equal_toIdEEEENSG_9not_fun_tINSD_8identityEEEEENSD_19counting_iterator_tIlEES8_S8_S8_S8_S8_S8_S8_S8_EEEEPS9_S9_NSD_9__find_if7functorIS9_EEEE10hipError_tPvRmT1_T2_T3_mT4_P12ihipStream_tbEUlT_E0_NS1_11comp_targetILNS1_3genE5ELNS1_11target_archE942ELNS1_3gpuE9ELNS1_3repE0EEENS1_30default_config_static_selectorELNS0_4arch9wavefront6targetE0EEEvS14_,comdat
.Lfunc_end427:
	.size	_ZN7rocprim17ROCPRIM_400000_NS6detail17trampoline_kernelINS0_14default_configENS1_22reduce_config_selectorIN6thrust23THRUST_200600_302600_NS5tupleIblNS6_9null_typeES8_S8_S8_S8_S8_S8_S8_EEEEZNS1_11reduce_implILb1ES3_NS6_12zip_iteratorINS7_INS6_11hip_rocprim26transform_input_iterator_tIbNSD_35transform_pair_of_input_iterators_tIbNS6_6detail15normal_iteratorINS6_10device_ptrIKdEEEESL_NS6_8equal_toIdEEEENSG_9not_fun_tINSD_8identityEEEEENSD_19counting_iterator_tIlEES8_S8_S8_S8_S8_S8_S8_S8_EEEEPS9_S9_NSD_9__find_if7functorIS9_EEEE10hipError_tPvRmT1_T2_T3_mT4_P12ihipStream_tbEUlT_E0_NS1_11comp_targetILNS1_3genE5ELNS1_11target_archE942ELNS1_3gpuE9ELNS1_3repE0EEENS1_30default_config_static_selectorELNS0_4arch9wavefront6targetE0EEEvS14_, .Lfunc_end427-_ZN7rocprim17ROCPRIM_400000_NS6detail17trampoline_kernelINS0_14default_configENS1_22reduce_config_selectorIN6thrust23THRUST_200600_302600_NS5tupleIblNS6_9null_typeES8_S8_S8_S8_S8_S8_S8_EEEEZNS1_11reduce_implILb1ES3_NS6_12zip_iteratorINS7_INS6_11hip_rocprim26transform_input_iterator_tIbNSD_35transform_pair_of_input_iterators_tIbNS6_6detail15normal_iteratorINS6_10device_ptrIKdEEEESL_NS6_8equal_toIdEEEENSG_9not_fun_tINSD_8identityEEEEENSD_19counting_iterator_tIlEES8_S8_S8_S8_S8_S8_S8_S8_EEEEPS9_S9_NSD_9__find_if7functorIS9_EEEE10hipError_tPvRmT1_T2_T3_mT4_P12ihipStream_tbEUlT_E0_NS1_11comp_targetILNS1_3genE5ELNS1_11target_archE942ELNS1_3gpuE9ELNS1_3repE0EEENS1_30default_config_static_selectorELNS0_4arch9wavefront6targetE0EEEvS14_
                                        ; -- End function
	.section	.AMDGPU.csdata,"",@progbits
; Kernel info:
; codeLenInByte = 0
; NumSgprs: 0
; NumVgprs: 0
; ScratchSize: 0
; MemoryBound: 0
; FloatMode: 240
; IeeeMode: 1
; LDSByteSize: 0 bytes/workgroup (compile time only)
; SGPRBlocks: 0
; VGPRBlocks: 0
; NumSGPRsForWavesPerEU: 1
; NumVGPRsForWavesPerEU: 1
; Occupancy: 16
; WaveLimiterHint : 0
; COMPUTE_PGM_RSRC2:SCRATCH_EN: 0
; COMPUTE_PGM_RSRC2:USER_SGPR: 15
; COMPUTE_PGM_RSRC2:TRAP_HANDLER: 0
; COMPUTE_PGM_RSRC2:TGID_X_EN: 1
; COMPUTE_PGM_RSRC2:TGID_Y_EN: 0
; COMPUTE_PGM_RSRC2:TGID_Z_EN: 0
; COMPUTE_PGM_RSRC2:TIDIG_COMP_CNT: 0
	.section	.text._ZN7rocprim17ROCPRIM_400000_NS6detail17trampoline_kernelINS0_14default_configENS1_22reduce_config_selectorIN6thrust23THRUST_200600_302600_NS5tupleIblNS6_9null_typeES8_S8_S8_S8_S8_S8_S8_EEEEZNS1_11reduce_implILb1ES3_NS6_12zip_iteratorINS7_INS6_11hip_rocprim26transform_input_iterator_tIbNSD_35transform_pair_of_input_iterators_tIbNS6_6detail15normal_iteratorINS6_10device_ptrIKdEEEESL_NS6_8equal_toIdEEEENSG_9not_fun_tINSD_8identityEEEEENSD_19counting_iterator_tIlEES8_S8_S8_S8_S8_S8_S8_S8_EEEEPS9_S9_NSD_9__find_if7functorIS9_EEEE10hipError_tPvRmT1_T2_T3_mT4_P12ihipStream_tbEUlT_E0_NS1_11comp_targetILNS1_3genE4ELNS1_11target_archE910ELNS1_3gpuE8ELNS1_3repE0EEENS1_30default_config_static_selectorELNS0_4arch9wavefront6targetE0EEEvS14_,"axG",@progbits,_ZN7rocprim17ROCPRIM_400000_NS6detail17trampoline_kernelINS0_14default_configENS1_22reduce_config_selectorIN6thrust23THRUST_200600_302600_NS5tupleIblNS6_9null_typeES8_S8_S8_S8_S8_S8_S8_EEEEZNS1_11reduce_implILb1ES3_NS6_12zip_iteratorINS7_INS6_11hip_rocprim26transform_input_iterator_tIbNSD_35transform_pair_of_input_iterators_tIbNS6_6detail15normal_iteratorINS6_10device_ptrIKdEEEESL_NS6_8equal_toIdEEEENSG_9not_fun_tINSD_8identityEEEEENSD_19counting_iterator_tIlEES8_S8_S8_S8_S8_S8_S8_S8_EEEEPS9_S9_NSD_9__find_if7functorIS9_EEEE10hipError_tPvRmT1_T2_T3_mT4_P12ihipStream_tbEUlT_E0_NS1_11comp_targetILNS1_3genE4ELNS1_11target_archE910ELNS1_3gpuE8ELNS1_3repE0EEENS1_30default_config_static_selectorELNS0_4arch9wavefront6targetE0EEEvS14_,comdat
	.protected	_ZN7rocprim17ROCPRIM_400000_NS6detail17trampoline_kernelINS0_14default_configENS1_22reduce_config_selectorIN6thrust23THRUST_200600_302600_NS5tupleIblNS6_9null_typeES8_S8_S8_S8_S8_S8_S8_EEEEZNS1_11reduce_implILb1ES3_NS6_12zip_iteratorINS7_INS6_11hip_rocprim26transform_input_iterator_tIbNSD_35transform_pair_of_input_iterators_tIbNS6_6detail15normal_iteratorINS6_10device_ptrIKdEEEESL_NS6_8equal_toIdEEEENSG_9not_fun_tINSD_8identityEEEEENSD_19counting_iterator_tIlEES8_S8_S8_S8_S8_S8_S8_S8_EEEEPS9_S9_NSD_9__find_if7functorIS9_EEEE10hipError_tPvRmT1_T2_T3_mT4_P12ihipStream_tbEUlT_E0_NS1_11comp_targetILNS1_3genE4ELNS1_11target_archE910ELNS1_3gpuE8ELNS1_3repE0EEENS1_30default_config_static_selectorELNS0_4arch9wavefront6targetE0EEEvS14_ ; -- Begin function _ZN7rocprim17ROCPRIM_400000_NS6detail17trampoline_kernelINS0_14default_configENS1_22reduce_config_selectorIN6thrust23THRUST_200600_302600_NS5tupleIblNS6_9null_typeES8_S8_S8_S8_S8_S8_S8_EEEEZNS1_11reduce_implILb1ES3_NS6_12zip_iteratorINS7_INS6_11hip_rocprim26transform_input_iterator_tIbNSD_35transform_pair_of_input_iterators_tIbNS6_6detail15normal_iteratorINS6_10device_ptrIKdEEEESL_NS6_8equal_toIdEEEENSG_9not_fun_tINSD_8identityEEEEENSD_19counting_iterator_tIlEES8_S8_S8_S8_S8_S8_S8_S8_EEEEPS9_S9_NSD_9__find_if7functorIS9_EEEE10hipError_tPvRmT1_T2_T3_mT4_P12ihipStream_tbEUlT_E0_NS1_11comp_targetILNS1_3genE4ELNS1_11target_archE910ELNS1_3gpuE8ELNS1_3repE0EEENS1_30default_config_static_selectorELNS0_4arch9wavefront6targetE0EEEvS14_
	.globl	_ZN7rocprim17ROCPRIM_400000_NS6detail17trampoline_kernelINS0_14default_configENS1_22reduce_config_selectorIN6thrust23THRUST_200600_302600_NS5tupleIblNS6_9null_typeES8_S8_S8_S8_S8_S8_S8_EEEEZNS1_11reduce_implILb1ES3_NS6_12zip_iteratorINS7_INS6_11hip_rocprim26transform_input_iterator_tIbNSD_35transform_pair_of_input_iterators_tIbNS6_6detail15normal_iteratorINS6_10device_ptrIKdEEEESL_NS6_8equal_toIdEEEENSG_9not_fun_tINSD_8identityEEEEENSD_19counting_iterator_tIlEES8_S8_S8_S8_S8_S8_S8_S8_EEEEPS9_S9_NSD_9__find_if7functorIS9_EEEE10hipError_tPvRmT1_T2_T3_mT4_P12ihipStream_tbEUlT_E0_NS1_11comp_targetILNS1_3genE4ELNS1_11target_archE910ELNS1_3gpuE8ELNS1_3repE0EEENS1_30default_config_static_selectorELNS0_4arch9wavefront6targetE0EEEvS14_
	.p2align	8
	.type	_ZN7rocprim17ROCPRIM_400000_NS6detail17trampoline_kernelINS0_14default_configENS1_22reduce_config_selectorIN6thrust23THRUST_200600_302600_NS5tupleIblNS6_9null_typeES8_S8_S8_S8_S8_S8_S8_EEEEZNS1_11reduce_implILb1ES3_NS6_12zip_iteratorINS7_INS6_11hip_rocprim26transform_input_iterator_tIbNSD_35transform_pair_of_input_iterators_tIbNS6_6detail15normal_iteratorINS6_10device_ptrIKdEEEESL_NS6_8equal_toIdEEEENSG_9not_fun_tINSD_8identityEEEEENSD_19counting_iterator_tIlEES8_S8_S8_S8_S8_S8_S8_S8_EEEEPS9_S9_NSD_9__find_if7functorIS9_EEEE10hipError_tPvRmT1_T2_T3_mT4_P12ihipStream_tbEUlT_E0_NS1_11comp_targetILNS1_3genE4ELNS1_11target_archE910ELNS1_3gpuE8ELNS1_3repE0EEENS1_30default_config_static_selectorELNS0_4arch9wavefront6targetE0EEEvS14_,@function
_ZN7rocprim17ROCPRIM_400000_NS6detail17trampoline_kernelINS0_14default_configENS1_22reduce_config_selectorIN6thrust23THRUST_200600_302600_NS5tupleIblNS6_9null_typeES8_S8_S8_S8_S8_S8_S8_EEEEZNS1_11reduce_implILb1ES3_NS6_12zip_iteratorINS7_INS6_11hip_rocprim26transform_input_iterator_tIbNSD_35transform_pair_of_input_iterators_tIbNS6_6detail15normal_iteratorINS6_10device_ptrIKdEEEESL_NS6_8equal_toIdEEEENSG_9not_fun_tINSD_8identityEEEEENSD_19counting_iterator_tIlEES8_S8_S8_S8_S8_S8_S8_S8_EEEEPS9_S9_NSD_9__find_if7functorIS9_EEEE10hipError_tPvRmT1_T2_T3_mT4_P12ihipStream_tbEUlT_E0_NS1_11comp_targetILNS1_3genE4ELNS1_11target_archE910ELNS1_3gpuE8ELNS1_3repE0EEENS1_30default_config_static_selectorELNS0_4arch9wavefront6targetE0EEEvS14_: ; @_ZN7rocprim17ROCPRIM_400000_NS6detail17trampoline_kernelINS0_14default_configENS1_22reduce_config_selectorIN6thrust23THRUST_200600_302600_NS5tupleIblNS6_9null_typeES8_S8_S8_S8_S8_S8_S8_EEEEZNS1_11reduce_implILb1ES3_NS6_12zip_iteratorINS7_INS6_11hip_rocprim26transform_input_iterator_tIbNSD_35transform_pair_of_input_iterators_tIbNS6_6detail15normal_iteratorINS6_10device_ptrIKdEEEESL_NS6_8equal_toIdEEEENSG_9not_fun_tINSD_8identityEEEEENSD_19counting_iterator_tIlEES8_S8_S8_S8_S8_S8_S8_S8_EEEEPS9_S9_NSD_9__find_if7functorIS9_EEEE10hipError_tPvRmT1_T2_T3_mT4_P12ihipStream_tbEUlT_E0_NS1_11comp_targetILNS1_3genE4ELNS1_11target_archE910ELNS1_3gpuE8ELNS1_3repE0EEENS1_30default_config_static_selectorELNS0_4arch9wavefront6targetE0EEEvS14_
; %bb.0:
	.section	.rodata,"a",@progbits
	.p2align	6, 0x0
	.amdhsa_kernel _ZN7rocprim17ROCPRIM_400000_NS6detail17trampoline_kernelINS0_14default_configENS1_22reduce_config_selectorIN6thrust23THRUST_200600_302600_NS5tupleIblNS6_9null_typeES8_S8_S8_S8_S8_S8_S8_EEEEZNS1_11reduce_implILb1ES3_NS6_12zip_iteratorINS7_INS6_11hip_rocprim26transform_input_iterator_tIbNSD_35transform_pair_of_input_iterators_tIbNS6_6detail15normal_iteratorINS6_10device_ptrIKdEEEESL_NS6_8equal_toIdEEEENSG_9not_fun_tINSD_8identityEEEEENSD_19counting_iterator_tIlEES8_S8_S8_S8_S8_S8_S8_S8_EEEEPS9_S9_NSD_9__find_if7functorIS9_EEEE10hipError_tPvRmT1_T2_T3_mT4_P12ihipStream_tbEUlT_E0_NS1_11comp_targetILNS1_3genE4ELNS1_11target_archE910ELNS1_3gpuE8ELNS1_3repE0EEENS1_30default_config_static_selectorELNS0_4arch9wavefront6targetE0EEEvS14_
		.amdhsa_group_segment_fixed_size 0
		.amdhsa_private_segment_fixed_size 0
		.amdhsa_kernarg_size 104
		.amdhsa_user_sgpr_count 15
		.amdhsa_user_sgpr_dispatch_ptr 0
		.amdhsa_user_sgpr_queue_ptr 0
		.amdhsa_user_sgpr_kernarg_segment_ptr 1
		.amdhsa_user_sgpr_dispatch_id 0
		.amdhsa_user_sgpr_private_segment_size 0
		.amdhsa_wavefront_size32 1
		.amdhsa_uses_dynamic_stack 0
		.amdhsa_enable_private_segment 0
		.amdhsa_system_sgpr_workgroup_id_x 1
		.amdhsa_system_sgpr_workgroup_id_y 0
		.amdhsa_system_sgpr_workgroup_id_z 0
		.amdhsa_system_sgpr_workgroup_info 0
		.amdhsa_system_vgpr_workitem_id 0
		.amdhsa_next_free_vgpr 1
		.amdhsa_next_free_sgpr 1
		.amdhsa_reserve_vcc 0
		.amdhsa_float_round_mode_32 0
		.amdhsa_float_round_mode_16_64 0
		.amdhsa_float_denorm_mode_32 3
		.amdhsa_float_denorm_mode_16_64 3
		.amdhsa_dx10_clamp 1
		.amdhsa_ieee_mode 1
		.amdhsa_fp16_overflow 0
		.amdhsa_workgroup_processor_mode 1
		.amdhsa_memory_ordered 1
		.amdhsa_forward_progress 0
		.amdhsa_shared_vgpr_count 0
		.amdhsa_exception_fp_ieee_invalid_op 0
		.amdhsa_exception_fp_denorm_src 0
		.amdhsa_exception_fp_ieee_div_zero 0
		.amdhsa_exception_fp_ieee_overflow 0
		.amdhsa_exception_fp_ieee_underflow 0
		.amdhsa_exception_fp_ieee_inexact 0
		.amdhsa_exception_int_div_zero 0
	.end_amdhsa_kernel
	.section	.text._ZN7rocprim17ROCPRIM_400000_NS6detail17trampoline_kernelINS0_14default_configENS1_22reduce_config_selectorIN6thrust23THRUST_200600_302600_NS5tupleIblNS6_9null_typeES8_S8_S8_S8_S8_S8_S8_EEEEZNS1_11reduce_implILb1ES3_NS6_12zip_iteratorINS7_INS6_11hip_rocprim26transform_input_iterator_tIbNSD_35transform_pair_of_input_iterators_tIbNS6_6detail15normal_iteratorINS6_10device_ptrIKdEEEESL_NS6_8equal_toIdEEEENSG_9not_fun_tINSD_8identityEEEEENSD_19counting_iterator_tIlEES8_S8_S8_S8_S8_S8_S8_S8_EEEEPS9_S9_NSD_9__find_if7functorIS9_EEEE10hipError_tPvRmT1_T2_T3_mT4_P12ihipStream_tbEUlT_E0_NS1_11comp_targetILNS1_3genE4ELNS1_11target_archE910ELNS1_3gpuE8ELNS1_3repE0EEENS1_30default_config_static_selectorELNS0_4arch9wavefront6targetE0EEEvS14_,"axG",@progbits,_ZN7rocprim17ROCPRIM_400000_NS6detail17trampoline_kernelINS0_14default_configENS1_22reduce_config_selectorIN6thrust23THRUST_200600_302600_NS5tupleIblNS6_9null_typeES8_S8_S8_S8_S8_S8_S8_EEEEZNS1_11reduce_implILb1ES3_NS6_12zip_iteratorINS7_INS6_11hip_rocprim26transform_input_iterator_tIbNSD_35transform_pair_of_input_iterators_tIbNS6_6detail15normal_iteratorINS6_10device_ptrIKdEEEESL_NS6_8equal_toIdEEEENSG_9not_fun_tINSD_8identityEEEEENSD_19counting_iterator_tIlEES8_S8_S8_S8_S8_S8_S8_S8_EEEEPS9_S9_NSD_9__find_if7functorIS9_EEEE10hipError_tPvRmT1_T2_T3_mT4_P12ihipStream_tbEUlT_E0_NS1_11comp_targetILNS1_3genE4ELNS1_11target_archE910ELNS1_3gpuE8ELNS1_3repE0EEENS1_30default_config_static_selectorELNS0_4arch9wavefront6targetE0EEEvS14_,comdat
.Lfunc_end428:
	.size	_ZN7rocprim17ROCPRIM_400000_NS6detail17trampoline_kernelINS0_14default_configENS1_22reduce_config_selectorIN6thrust23THRUST_200600_302600_NS5tupleIblNS6_9null_typeES8_S8_S8_S8_S8_S8_S8_EEEEZNS1_11reduce_implILb1ES3_NS6_12zip_iteratorINS7_INS6_11hip_rocprim26transform_input_iterator_tIbNSD_35transform_pair_of_input_iterators_tIbNS6_6detail15normal_iteratorINS6_10device_ptrIKdEEEESL_NS6_8equal_toIdEEEENSG_9not_fun_tINSD_8identityEEEEENSD_19counting_iterator_tIlEES8_S8_S8_S8_S8_S8_S8_S8_EEEEPS9_S9_NSD_9__find_if7functorIS9_EEEE10hipError_tPvRmT1_T2_T3_mT4_P12ihipStream_tbEUlT_E0_NS1_11comp_targetILNS1_3genE4ELNS1_11target_archE910ELNS1_3gpuE8ELNS1_3repE0EEENS1_30default_config_static_selectorELNS0_4arch9wavefront6targetE0EEEvS14_, .Lfunc_end428-_ZN7rocprim17ROCPRIM_400000_NS6detail17trampoline_kernelINS0_14default_configENS1_22reduce_config_selectorIN6thrust23THRUST_200600_302600_NS5tupleIblNS6_9null_typeES8_S8_S8_S8_S8_S8_S8_EEEEZNS1_11reduce_implILb1ES3_NS6_12zip_iteratorINS7_INS6_11hip_rocprim26transform_input_iterator_tIbNSD_35transform_pair_of_input_iterators_tIbNS6_6detail15normal_iteratorINS6_10device_ptrIKdEEEESL_NS6_8equal_toIdEEEENSG_9not_fun_tINSD_8identityEEEEENSD_19counting_iterator_tIlEES8_S8_S8_S8_S8_S8_S8_S8_EEEEPS9_S9_NSD_9__find_if7functorIS9_EEEE10hipError_tPvRmT1_T2_T3_mT4_P12ihipStream_tbEUlT_E0_NS1_11comp_targetILNS1_3genE4ELNS1_11target_archE910ELNS1_3gpuE8ELNS1_3repE0EEENS1_30default_config_static_selectorELNS0_4arch9wavefront6targetE0EEEvS14_
                                        ; -- End function
	.section	.AMDGPU.csdata,"",@progbits
; Kernel info:
; codeLenInByte = 0
; NumSgprs: 0
; NumVgprs: 0
; ScratchSize: 0
; MemoryBound: 0
; FloatMode: 240
; IeeeMode: 1
; LDSByteSize: 0 bytes/workgroup (compile time only)
; SGPRBlocks: 0
; VGPRBlocks: 0
; NumSGPRsForWavesPerEU: 1
; NumVGPRsForWavesPerEU: 1
; Occupancy: 16
; WaveLimiterHint : 0
; COMPUTE_PGM_RSRC2:SCRATCH_EN: 0
; COMPUTE_PGM_RSRC2:USER_SGPR: 15
; COMPUTE_PGM_RSRC2:TRAP_HANDLER: 0
; COMPUTE_PGM_RSRC2:TGID_X_EN: 1
; COMPUTE_PGM_RSRC2:TGID_Y_EN: 0
; COMPUTE_PGM_RSRC2:TGID_Z_EN: 0
; COMPUTE_PGM_RSRC2:TIDIG_COMP_CNT: 0
	.section	.text._ZN7rocprim17ROCPRIM_400000_NS6detail17trampoline_kernelINS0_14default_configENS1_22reduce_config_selectorIN6thrust23THRUST_200600_302600_NS5tupleIblNS6_9null_typeES8_S8_S8_S8_S8_S8_S8_EEEEZNS1_11reduce_implILb1ES3_NS6_12zip_iteratorINS7_INS6_11hip_rocprim26transform_input_iterator_tIbNSD_35transform_pair_of_input_iterators_tIbNS6_6detail15normal_iteratorINS6_10device_ptrIKdEEEESL_NS6_8equal_toIdEEEENSG_9not_fun_tINSD_8identityEEEEENSD_19counting_iterator_tIlEES8_S8_S8_S8_S8_S8_S8_S8_EEEEPS9_S9_NSD_9__find_if7functorIS9_EEEE10hipError_tPvRmT1_T2_T3_mT4_P12ihipStream_tbEUlT_E0_NS1_11comp_targetILNS1_3genE3ELNS1_11target_archE908ELNS1_3gpuE7ELNS1_3repE0EEENS1_30default_config_static_selectorELNS0_4arch9wavefront6targetE0EEEvS14_,"axG",@progbits,_ZN7rocprim17ROCPRIM_400000_NS6detail17trampoline_kernelINS0_14default_configENS1_22reduce_config_selectorIN6thrust23THRUST_200600_302600_NS5tupleIblNS6_9null_typeES8_S8_S8_S8_S8_S8_S8_EEEEZNS1_11reduce_implILb1ES3_NS6_12zip_iteratorINS7_INS6_11hip_rocprim26transform_input_iterator_tIbNSD_35transform_pair_of_input_iterators_tIbNS6_6detail15normal_iteratorINS6_10device_ptrIKdEEEESL_NS6_8equal_toIdEEEENSG_9not_fun_tINSD_8identityEEEEENSD_19counting_iterator_tIlEES8_S8_S8_S8_S8_S8_S8_S8_EEEEPS9_S9_NSD_9__find_if7functorIS9_EEEE10hipError_tPvRmT1_T2_T3_mT4_P12ihipStream_tbEUlT_E0_NS1_11comp_targetILNS1_3genE3ELNS1_11target_archE908ELNS1_3gpuE7ELNS1_3repE0EEENS1_30default_config_static_selectorELNS0_4arch9wavefront6targetE0EEEvS14_,comdat
	.protected	_ZN7rocprim17ROCPRIM_400000_NS6detail17trampoline_kernelINS0_14default_configENS1_22reduce_config_selectorIN6thrust23THRUST_200600_302600_NS5tupleIblNS6_9null_typeES8_S8_S8_S8_S8_S8_S8_EEEEZNS1_11reduce_implILb1ES3_NS6_12zip_iteratorINS7_INS6_11hip_rocprim26transform_input_iterator_tIbNSD_35transform_pair_of_input_iterators_tIbNS6_6detail15normal_iteratorINS6_10device_ptrIKdEEEESL_NS6_8equal_toIdEEEENSG_9not_fun_tINSD_8identityEEEEENSD_19counting_iterator_tIlEES8_S8_S8_S8_S8_S8_S8_S8_EEEEPS9_S9_NSD_9__find_if7functorIS9_EEEE10hipError_tPvRmT1_T2_T3_mT4_P12ihipStream_tbEUlT_E0_NS1_11comp_targetILNS1_3genE3ELNS1_11target_archE908ELNS1_3gpuE7ELNS1_3repE0EEENS1_30default_config_static_selectorELNS0_4arch9wavefront6targetE0EEEvS14_ ; -- Begin function _ZN7rocprim17ROCPRIM_400000_NS6detail17trampoline_kernelINS0_14default_configENS1_22reduce_config_selectorIN6thrust23THRUST_200600_302600_NS5tupleIblNS6_9null_typeES8_S8_S8_S8_S8_S8_S8_EEEEZNS1_11reduce_implILb1ES3_NS6_12zip_iteratorINS7_INS6_11hip_rocprim26transform_input_iterator_tIbNSD_35transform_pair_of_input_iterators_tIbNS6_6detail15normal_iteratorINS6_10device_ptrIKdEEEESL_NS6_8equal_toIdEEEENSG_9not_fun_tINSD_8identityEEEEENSD_19counting_iterator_tIlEES8_S8_S8_S8_S8_S8_S8_S8_EEEEPS9_S9_NSD_9__find_if7functorIS9_EEEE10hipError_tPvRmT1_T2_T3_mT4_P12ihipStream_tbEUlT_E0_NS1_11comp_targetILNS1_3genE3ELNS1_11target_archE908ELNS1_3gpuE7ELNS1_3repE0EEENS1_30default_config_static_selectorELNS0_4arch9wavefront6targetE0EEEvS14_
	.globl	_ZN7rocprim17ROCPRIM_400000_NS6detail17trampoline_kernelINS0_14default_configENS1_22reduce_config_selectorIN6thrust23THRUST_200600_302600_NS5tupleIblNS6_9null_typeES8_S8_S8_S8_S8_S8_S8_EEEEZNS1_11reduce_implILb1ES3_NS6_12zip_iteratorINS7_INS6_11hip_rocprim26transform_input_iterator_tIbNSD_35transform_pair_of_input_iterators_tIbNS6_6detail15normal_iteratorINS6_10device_ptrIKdEEEESL_NS6_8equal_toIdEEEENSG_9not_fun_tINSD_8identityEEEEENSD_19counting_iterator_tIlEES8_S8_S8_S8_S8_S8_S8_S8_EEEEPS9_S9_NSD_9__find_if7functorIS9_EEEE10hipError_tPvRmT1_T2_T3_mT4_P12ihipStream_tbEUlT_E0_NS1_11comp_targetILNS1_3genE3ELNS1_11target_archE908ELNS1_3gpuE7ELNS1_3repE0EEENS1_30default_config_static_selectorELNS0_4arch9wavefront6targetE0EEEvS14_
	.p2align	8
	.type	_ZN7rocprim17ROCPRIM_400000_NS6detail17trampoline_kernelINS0_14default_configENS1_22reduce_config_selectorIN6thrust23THRUST_200600_302600_NS5tupleIblNS6_9null_typeES8_S8_S8_S8_S8_S8_S8_EEEEZNS1_11reduce_implILb1ES3_NS6_12zip_iteratorINS7_INS6_11hip_rocprim26transform_input_iterator_tIbNSD_35transform_pair_of_input_iterators_tIbNS6_6detail15normal_iteratorINS6_10device_ptrIKdEEEESL_NS6_8equal_toIdEEEENSG_9not_fun_tINSD_8identityEEEEENSD_19counting_iterator_tIlEES8_S8_S8_S8_S8_S8_S8_S8_EEEEPS9_S9_NSD_9__find_if7functorIS9_EEEE10hipError_tPvRmT1_T2_T3_mT4_P12ihipStream_tbEUlT_E0_NS1_11comp_targetILNS1_3genE3ELNS1_11target_archE908ELNS1_3gpuE7ELNS1_3repE0EEENS1_30default_config_static_selectorELNS0_4arch9wavefront6targetE0EEEvS14_,@function
_ZN7rocprim17ROCPRIM_400000_NS6detail17trampoline_kernelINS0_14default_configENS1_22reduce_config_selectorIN6thrust23THRUST_200600_302600_NS5tupleIblNS6_9null_typeES8_S8_S8_S8_S8_S8_S8_EEEEZNS1_11reduce_implILb1ES3_NS6_12zip_iteratorINS7_INS6_11hip_rocprim26transform_input_iterator_tIbNSD_35transform_pair_of_input_iterators_tIbNS6_6detail15normal_iteratorINS6_10device_ptrIKdEEEESL_NS6_8equal_toIdEEEENSG_9not_fun_tINSD_8identityEEEEENSD_19counting_iterator_tIlEES8_S8_S8_S8_S8_S8_S8_S8_EEEEPS9_S9_NSD_9__find_if7functorIS9_EEEE10hipError_tPvRmT1_T2_T3_mT4_P12ihipStream_tbEUlT_E0_NS1_11comp_targetILNS1_3genE3ELNS1_11target_archE908ELNS1_3gpuE7ELNS1_3repE0EEENS1_30default_config_static_selectorELNS0_4arch9wavefront6targetE0EEEvS14_: ; @_ZN7rocprim17ROCPRIM_400000_NS6detail17trampoline_kernelINS0_14default_configENS1_22reduce_config_selectorIN6thrust23THRUST_200600_302600_NS5tupleIblNS6_9null_typeES8_S8_S8_S8_S8_S8_S8_EEEEZNS1_11reduce_implILb1ES3_NS6_12zip_iteratorINS7_INS6_11hip_rocprim26transform_input_iterator_tIbNSD_35transform_pair_of_input_iterators_tIbNS6_6detail15normal_iteratorINS6_10device_ptrIKdEEEESL_NS6_8equal_toIdEEEENSG_9not_fun_tINSD_8identityEEEEENSD_19counting_iterator_tIlEES8_S8_S8_S8_S8_S8_S8_S8_EEEEPS9_S9_NSD_9__find_if7functorIS9_EEEE10hipError_tPvRmT1_T2_T3_mT4_P12ihipStream_tbEUlT_E0_NS1_11comp_targetILNS1_3genE3ELNS1_11target_archE908ELNS1_3gpuE7ELNS1_3repE0EEENS1_30default_config_static_selectorELNS0_4arch9wavefront6targetE0EEEvS14_
; %bb.0:
	.section	.rodata,"a",@progbits
	.p2align	6, 0x0
	.amdhsa_kernel _ZN7rocprim17ROCPRIM_400000_NS6detail17trampoline_kernelINS0_14default_configENS1_22reduce_config_selectorIN6thrust23THRUST_200600_302600_NS5tupleIblNS6_9null_typeES8_S8_S8_S8_S8_S8_S8_EEEEZNS1_11reduce_implILb1ES3_NS6_12zip_iteratorINS7_INS6_11hip_rocprim26transform_input_iterator_tIbNSD_35transform_pair_of_input_iterators_tIbNS6_6detail15normal_iteratorINS6_10device_ptrIKdEEEESL_NS6_8equal_toIdEEEENSG_9not_fun_tINSD_8identityEEEEENSD_19counting_iterator_tIlEES8_S8_S8_S8_S8_S8_S8_S8_EEEEPS9_S9_NSD_9__find_if7functorIS9_EEEE10hipError_tPvRmT1_T2_T3_mT4_P12ihipStream_tbEUlT_E0_NS1_11comp_targetILNS1_3genE3ELNS1_11target_archE908ELNS1_3gpuE7ELNS1_3repE0EEENS1_30default_config_static_selectorELNS0_4arch9wavefront6targetE0EEEvS14_
		.amdhsa_group_segment_fixed_size 0
		.amdhsa_private_segment_fixed_size 0
		.amdhsa_kernarg_size 104
		.amdhsa_user_sgpr_count 15
		.amdhsa_user_sgpr_dispatch_ptr 0
		.amdhsa_user_sgpr_queue_ptr 0
		.amdhsa_user_sgpr_kernarg_segment_ptr 1
		.amdhsa_user_sgpr_dispatch_id 0
		.amdhsa_user_sgpr_private_segment_size 0
		.amdhsa_wavefront_size32 1
		.amdhsa_uses_dynamic_stack 0
		.amdhsa_enable_private_segment 0
		.amdhsa_system_sgpr_workgroup_id_x 1
		.amdhsa_system_sgpr_workgroup_id_y 0
		.amdhsa_system_sgpr_workgroup_id_z 0
		.amdhsa_system_sgpr_workgroup_info 0
		.amdhsa_system_vgpr_workitem_id 0
		.amdhsa_next_free_vgpr 1
		.amdhsa_next_free_sgpr 1
		.amdhsa_reserve_vcc 0
		.amdhsa_float_round_mode_32 0
		.amdhsa_float_round_mode_16_64 0
		.amdhsa_float_denorm_mode_32 3
		.amdhsa_float_denorm_mode_16_64 3
		.amdhsa_dx10_clamp 1
		.amdhsa_ieee_mode 1
		.amdhsa_fp16_overflow 0
		.amdhsa_workgroup_processor_mode 1
		.amdhsa_memory_ordered 1
		.amdhsa_forward_progress 0
		.amdhsa_shared_vgpr_count 0
		.amdhsa_exception_fp_ieee_invalid_op 0
		.amdhsa_exception_fp_denorm_src 0
		.amdhsa_exception_fp_ieee_div_zero 0
		.amdhsa_exception_fp_ieee_overflow 0
		.amdhsa_exception_fp_ieee_underflow 0
		.amdhsa_exception_fp_ieee_inexact 0
		.amdhsa_exception_int_div_zero 0
	.end_amdhsa_kernel
	.section	.text._ZN7rocprim17ROCPRIM_400000_NS6detail17trampoline_kernelINS0_14default_configENS1_22reduce_config_selectorIN6thrust23THRUST_200600_302600_NS5tupleIblNS6_9null_typeES8_S8_S8_S8_S8_S8_S8_EEEEZNS1_11reduce_implILb1ES3_NS6_12zip_iteratorINS7_INS6_11hip_rocprim26transform_input_iterator_tIbNSD_35transform_pair_of_input_iterators_tIbNS6_6detail15normal_iteratorINS6_10device_ptrIKdEEEESL_NS6_8equal_toIdEEEENSG_9not_fun_tINSD_8identityEEEEENSD_19counting_iterator_tIlEES8_S8_S8_S8_S8_S8_S8_S8_EEEEPS9_S9_NSD_9__find_if7functorIS9_EEEE10hipError_tPvRmT1_T2_T3_mT4_P12ihipStream_tbEUlT_E0_NS1_11comp_targetILNS1_3genE3ELNS1_11target_archE908ELNS1_3gpuE7ELNS1_3repE0EEENS1_30default_config_static_selectorELNS0_4arch9wavefront6targetE0EEEvS14_,"axG",@progbits,_ZN7rocprim17ROCPRIM_400000_NS6detail17trampoline_kernelINS0_14default_configENS1_22reduce_config_selectorIN6thrust23THRUST_200600_302600_NS5tupleIblNS6_9null_typeES8_S8_S8_S8_S8_S8_S8_EEEEZNS1_11reduce_implILb1ES3_NS6_12zip_iteratorINS7_INS6_11hip_rocprim26transform_input_iterator_tIbNSD_35transform_pair_of_input_iterators_tIbNS6_6detail15normal_iteratorINS6_10device_ptrIKdEEEESL_NS6_8equal_toIdEEEENSG_9not_fun_tINSD_8identityEEEEENSD_19counting_iterator_tIlEES8_S8_S8_S8_S8_S8_S8_S8_EEEEPS9_S9_NSD_9__find_if7functorIS9_EEEE10hipError_tPvRmT1_T2_T3_mT4_P12ihipStream_tbEUlT_E0_NS1_11comp_targetILNS1_3genE3ELNS1_11target_archE908ELNS1_3gpuE7ELNS1_3repE0EEENS1_30default_config_static_selectorELNS0_4arch9wavefront6targetE0EEEvS14_,comdat
.Lfunc_end429:
	.size	_ZN7rocprim17ROCPRIM_400000_NS6detail17trampoline_kernelINS0_14default_configENS1_22reduce_config_selectorIN6thrust23THRUST_200600_302600_NS5tupleIblNS6_9null_typeES8_S8_S8_S8_S8_S8_S8_EEEEZNS1_11reduce_implILb1ES3_NS6_12zip_iteratorINS7_INS6_11hip_rocprim26transform_input_iterator_tIbNSD_35transform_pair_of_input_iterators_tIbNS6_6detail15normal_iteratorINS6_10device_ptrIKdEEEESL_NS6_8equal_toIdEEEENSG_9not_fun_tINSD_8identityEEEEENSD_19counting_iterator_tIlEES8_S8_S8_S8_S8_S8_S8_S8_EEEEPS9_S9_NSD_9__find_if7functorIS9_EEEE10hipError_tPvRmT1_T2_T3_mT4_P12ihipStream_tbEUlT_E0_NS1_11comp_targetILNS1_3genE3ELNS1_11target_archE908ELNS1_3gpuE7ELNS1_3repE0EEENS1_30default_config_static_selectorELNS0_4arch9wavefront6targetE0EEEvS14_, .Lfunc_end429-_ZN7rocprim17ROCPRIM_400000_NS6detail17trampoline_kernelINS0_14default_configENS1_22reduce_config_selectorIN6thrust23THRUST_200600_302600_NS5tupleIblNS6_9null_typeES8_S8_S8_S8_S8_S8_S8_EEEEZNS1_11reduce_implILb1ES3_NS6_12zip_iteratorINS7_INS6_11hip_rocprim26transform_input_iterator_tIbNSD_35transform_pair_of_input_iterators_tIbNS6_6detail15normal_iteratorINS6_10device_ptrIKdEEEESL_NS6_8equal_toIdEEEENSG_9not_fun_tINSD_8identityEEEEENSD_19counting_iterator_tIlEES8_S8_S8_S8_S8_S8_S8_S8_EEEEPS9_S9_NSD_9__find_if7functorIS9_EEEE10hipError_tPvRmT1_T2_T3_mT4_P12ihipStream_tbEUlT_E0_NS1_11comp_targetILNS1_3genE3ELNS1_11target_archE908ELNS1_3gpuE7ELNS1_3repE0EEENS1_30default_config_static_selectorELNS0_4arch9wavefront6targetE0EEEvS14_
                                        ; -- End function
	.section	.AMDGPU.csdata,"",@progbits
; Kernel info:
; codeLenInByte = 0
; NumSgprs: 0
; NumVgprs: 0
; ScratchSize: 0
; MemoryBound: 0
; FloatMode: 240
; IeeeMode: 1
; LDSByteSize: 0 bytes/workgroup (compile time only)
; SGPRBlocks: 0
; VGPRBlocks: 0
; NumSGPRsForWavesPerEU: 1
; NumVGPRsForWavesPerEU: 1
; Occupancy: 16
; WaveLimiterHint : 0
; COMPUTE_PGM_RSRC2:SCRATCH_EN: 0
; COMPUTE_PGM_RSRC2:USER_SGPR: 15
; COMPUTE_PGM_RSRC2:TRAP_HANDLER: 0
; COMPUTE_PGM_RSRC2:TGID_X_EN: 1
; COMPUTE_PGM_RSRC2:TGID_Y_EN: 0
; COMPUTE_PGM_RSRC2:TGID_Z_EN: 0
; COMPUTE_PGM_RSRC2:TIDIG_COMP_CNT: 0
	.section	.text._ZN7rocprim17ROCPRIM_400000_NS6detail17trampoline_kernelINS0_14default_configENS1_22reduce_config_selectorIN6thrust23THRUST_200600_302600_NS5tupleIblNS6_9null_typeES8_S8_S8_S8_S8_S8_S8_EEEEZNS1_11reduce_implILb1ES3_NS6_12zip_iteratorINS7_INS6_11hip_rocprim26transform_input_iterator_tIbNSD_35transform_pair_of_input_iterators_tIbNS6_6detail15normal_iteratorINS6_10device_ptrIKdEEEESL_NS6_8equal_toIdEEEENSG_9not_fun_tINSD_8identityEEEEENSD_19counting_iterator_tIlEES8_S8_S8_S8_S8_S8_S8_S8_EEEEPS9_S9_NSD_9__find_if7functorIS9_EEEE10hipError_tPvRmT1_T2_T3_mT4_P12ihipStream_tbEUlT_E0_NS1_11comp_targetILNS1_3genE2ELNS1_11target_archE906ELNS1_3gpuE6ELNS1_3repE0EEENS1_30default_config_static_selectorELNS0_4arch9wavefront6targetE0EEEvS14_,"axG",@progbits,_ZN7rocprim17ROCPRIM_400000_NS6detail17trampoline_kernelINS0_14default_configENS1_22reduce_config_selectorIN6thrust23THRUST_200600_302600_NS5tupleIblNS6_9null_typeES8_S8_S8_S8_S8_S8_S8_EEEEZNS1_11reduce_implILb1ES3_NS6_12zip_iteratorINS7_INS6_11hip_rocprim26transform_input_iterator_tIbNSD_35transform_pair_of_input_iterators_tIbNS6_6detail15normal_iteratorINS6_10device_ptrIKdEEEESL_NS6_8equal_toIdEEEENSG_9not_fun_tINSD_8identityEEEEENSD_19counting_iterator_tIlEES8_S8_S8_S8_S8_S8_S8_S8_EEEEPS9_S9_NSD_9__find_if7functorIS9_EEEE10hipError_tPvRmT1_T2_T3_mT4_P12ihipStream_tbEUlT_E0_NS1_11comp_targetILNS1_3genE2ELNS1_11target_archE906ELNS1_3gpuE6ELNS1_3repE0EEENS1_30default_config_static_selectorELNS0_4arch9wavefront6targetE0EEEvS14_,comdat
	.protected	_ZN7rocprim17ROCPRIM_400000_NS6detail17trampoline_kernelINS0_14default_configENS1_22reduce_config_selectorIN6thrust23THRUST_200600_302600_NS5tupleIblNS6_9null_typeES8_S8_S8_S8_S8_S8_S8_EEEEZNS1_11reduce_implILb1ES3_NS6_12zip_iteratorINS7_INS6_11hip_rocprim26transform_input_iterator_tIbNSD_35transform_pair_of_input_iterators_tIbNS6_6detail15normal_iteratorINS6_10device_ptrIKdEEEESL_NS6_8equal_toIdEEEENSG_9not_fun_tINSD_8identityEEEEENSD_19counting_iterator_tIlEES8_S8_S8_S8_S8_S8_S8_S8_EEEEPS9_S9_NSD_9__find_if7functorIS9_EEEE10hipError_tPvRmT1_T2_T3_mT4_P12ihipStream_tbEUlT_E0_NS1_11comp_targetILNS1_3genE2ELNS1_11target_archE906ELNS1_3gpuE6ELNS1_3repE0EEENS1_30default_config_static_selectorELNS0_4arch9wavefront6targetE0EEEvS14_ ; -- Begin function _ZN7rocprim17ROCPRIM_400000_NS6detail17trampoline_kernelINS0_14default_configENS1_22reduce_config_selectorIN6thrust23THRUST_200600_302600_NS5tupleIblNS6_9null_typeES8_S8_S8_S8_S8_S8_S8_EEEEZNS1_11reduce_implILb1ES3_NS6_12zip_iteratorINS7_INS6_11hip_rocprim26transform_input_iterator_tIbNSD_35transform_pair_of_input_iterators_tIbNS6_6detail15normal_iteratorINS6_10device_ptrIKdEEEESL_NS6_8equal_toIdEEEENSG_9not_fun_tINSD_8identityEEEEENSD_19counting_iterator_tIlEES8_S8_S8_S8_S8_S8_S8_S8_EEEEPS9_S9_NSD_9__find_if7functorIS9_EEEE10hipError_tPvRmT1_T2_T3_mT4_P12ihipStream_tbEUlT_E0_NS1_11comp_targetILNS1_3genE2ELNS1_11target_archE906ELNS1_3gpuE6ELNS1_3repE0EEENS1_30default_config_static_selectorELNS0_4arch9wavefront6targetE0EEEvS14_
	.globl	_ZN7rocprim17ROCPRIM_400000_NS6detail17trampoline_kernelINS0_14default_configENS1_22reduce_config_selectorIN6thrust23THRUST_200600_302600_NS5tupleIblNS6_9null_typeES8_S8_S8_S8_S8_S8_S8_EEEEZNS1_11reduce_implILb1ES3_NS6_12zip_iteratorINS7_INS6_11hip_rocprim26transform_input_iterator_tIbNSD_35transform_pair_of_input_iterators_tIbNS6_6detail15normal_iteratorINS6_10device_ptrIKdEEEESL_NS6_8equal_toIdEEEENSG_9not_fun_tINSD_8identityEEEEENSD_19counting_iterator_tIlEES8_S8_S8_S8_S8_S8_S8_S8_EEEEPS9_S9_NSD_9__find_if7functorIS9_EEEE10hipError_tPvRmT1_T2_T3_mT4_P12ihipStream_tbEUlT_E0_NS1_11comp_targetILNS1_3genE2ELNS1_11target_archE906ELNS1_3gpuE6ELNS1_3repE0EEENS1_30default_config_static_selectorELNS0_4arch9wavefront6targetE0EEEvS14_
	.p2align	8
	.type	_ZN7rocprim17ROCPRIM_400000_NS6detail17trampoline_kernelINS0_14default_configENS1_22reduce_config_selectorIN6thrust23THRUST_200600_302600_NS5tupleIblNS6_9null_typeES8_S8_S8_S8_S8_S8_S8_EEEEZNS1_11reduce_implILb1ES3_NS6_12zip_iteratorINS7_INS6_11hip_rocprim26transform_input_iterator_tIbNSD_35transform_pair_of_input_iterators_tIbNS6_6detail15normal_iteratorINS6_10device_ptrIKdEEEESL_NS6_8equal_toIdEEEENSG_9not_fun_tINSD_8identityEEEEENSD_19counting_iterator_tIlEES8_S8_S8_S8_S8_S8_S8_S8_EEEEPS9_S9_NSD_9__find_if7functorIS9_EEEE10hipError_tPvRmT1_T2_T3_mT4_P12ihipStream_tbEUlT_E0_NS1_11comp_targetILNS1_3genE2ELNS1_11target_archE906ELNS1_3gpuE6ELNS1_3repE0EEENS1_30default_config_static_selectorELNS0_4arch9wavefront6targetE0EEEvS14_,@function
_ZN7rocprim17ROCPRIM_400000_NS6detail17trampoline_kernelINS0_14default_configENS1_22reduce_config_selectorIN6thrust23THRUST_200600_302600_NS5tupleIblNS6_9null_typeES8_S8_S8_S8_S8_S8_S8_EEEEZNS1_11reduce_implILb1ES3_NS6_12zip_iteratorINS7_INS6_11hip_rocprim26transform_input_iterator_tIbNSD_35transform_pair_of_input_iterators_tIbNS6_6detail15normal_iteratorINS6_10device_ptrIKdEEEESL_NS6_8equal_toIdEEEENSG_9not_fun_tINSD_8identityEEEEENSD_19counting_iterator_tIlEES8_S8_S8_S8_S8_S8_S8_S8_EEEEPS9_S9_NSD_9__find_if7functorIS9_EEEE10hipError_tPvRmT1_T2_T3_mT4_P12ihipStream_tbEUlT_E0_NS1_11comp_targetILNS1_3genE2ELNS1_11target_archE906ELNS1_3gpuE6ELNS1_3repE0EEENS1_30default_config_static_selectorELNS0_4arch9wavefront6targetE0EEEvS14_: ; @_ZN7rocprim17ROCPRIM_400000_NS6detail17trampoline_kernelINS0_14default_configENS1_22reduce_config_selectorIN6thrust23THRUST_200600_302600_NS5tupleIblNS6_9null_typeES8_S8_S8_S8_S8_S8_S8_EEEEZNS1_11reduce_implILb1ES3_NS6_12zip_iteratorINS7_INS6_11hip_rocprim26transform_input_iterator_tIbNSD_35transform_pair_of_input_iterators_tIbNS6_6detail15normal_iteratorINS6_10device_ptrIKdEEEESL_NS6_8equal_toIdEEEENSG_9not_fun_tINSD_8identityEEEEENSD_19counting_iterator_tIlEES8_S8_S8_S8_S8_S8_S8_S8_EEEEPS9_S9_NSD_9__find_if7functorIS9_EEEE10hipError_tPvRmT1_T2_T3_mT4_P12ihipStream_tbEUlT_E0_NS1_11comp_targetILNS1_3genE2ELNS1_11target_archE906ELNS1_3gpuE6ELNS1_3repE0EEENS1_30default_config_static_selectorELNS0_4arch9wavefront6targetE0EEEvS14_
; %bb.0:
	.section	.rodata,"a",@progbits
	.p2align	6, 0x0
	.amdhsa_kernel _ZN7rocprim17ROCPRIM_400000_NS6detail17trampoline_kernelINS0_14default_configENS1_22reduce_config_selectorIN6thrust23THRUST_200600_302600_NS5tupleIblNS6_9null_typeES8_S8_S8_S8_S8_S8_S8_EEEEZNS1_11reduce_implILb1ES3_NS6_12zip_iteratorINS7_INS6_11hip_rocprim26transform_input_iterator_tIbNSD_35transform_pair_of_input_iterators_tIbNS6_6detail15normal_iteratorINS6_10device_ptrIKdEEEESL_NS6_8equal_toIdEEEENSG_9not_fun_tINSD_8identityEEEEENSD_19counting_iterator_tIlEES8_S8_S8_S8_S8_S8_S8_S8_EEEEPS9_S9_NSD_9__find_if7functorIS9_EEEE10hipError_tPvRmT1_T2_T3_mT4_P12ihipStream_tbEUlT_E0_NS1_11comp_targetILNS1_3genE2ELNS1_11target_archE906ELNS1_3gpuE6ELNS1_3repE0EEENS1_30default_config_static_selectorELNS0_4arch9wavefront6targetE0EEEvS14_
		.amdhsa_group_segment_fixed_size 0
		.amdhsa_private_segment_fixed_size 0
		.amdhsa_kernarg_size 104
		.amdhsa_user_sgpr_count 15
		.amdhsa_user_sgpr_dispatch_ptr 0
		.amdhsa_user_sgpr_queue_ptr 0
		.amdhsa_user_sgpr_kernarg_segment_ptr 1
		.amdhsa_user_sgpr_dispatch_id 0
		.amdhsa_user_sgpr_private_segment_size 0
		.amdhsa_wavefront_size32 1
		.amdhsa_uses_dynamic_stack 0
		.amdhsa_enable_private_segment 0
		.amdhsa_system_sgpr_workgroup_id_x 1
		.amdhsa_system_sgpr_workgroup_id_y 0
		.amdhsa_system_sgpr_workgroup_id_z 0
		.amdhsa_system_sgpr_workgroup_info 0
		.amdhsa_system_vgpr_workitem_id 0
		.amdhsa_next_free_vgpr 1
		.amdhsa_next_free_sgpr 1
		.amdhsa_reserve_vcc 0
		.amdhsa_float_round_mode_32 0
		.amdhsa_float_round_mode_16_64 0
		.amdhsa_float_denorm_mode_32 3
		.amdhsa_float_denorm_mode_16_64 3
		.amdhsa_dx10_clamp 1
		.amdhsa_ieee_mode 1
		.amdhsa_fp16_overflow 0
		.amdhsa_workgroup_processor_mode 1
		.amdhsa_memory_ordered 1
		.amdhsa_forward_progress 0
		.amdhsa_shared_vgpr_count 0
		.amdhsa_exception_fp_ieee_invalid_op 0
		.amdhsa_exception_fp_denorm_src 0
		.amdhsa_exception_fp_ieee_div_zero 0
		.amdhsa_exception_fp_ieee_overflow 0
		.amdhsa_exception_fp_ieee_underflow 0
		.amdhsa_exception_fp_ieee_inexact 0
		.amdhsa_exception_int_div_zero 0
	.end_amdhsa_kernel
	.section	.text._ZN7rocprim17ROCPRIM_400000_NS6detail17trampoline_kernelINS0_14default_configENS1_22reduce_config_selectorIN6thrust23THRUST_200600_302600_NS5tupleIblNS6_9null_typeES8_S8_S8_S8_S8_S8_S8_EEEEZNS1_11reduce_implILb1ES3_NS6_12zip_iteratorINS7_INS6_11hip_rocprim26transform_input_iterator_tIbNSD_35transform_pair_of_input_iterators_tIbNS6_6detail15normal_iteratorINS6_10device_ptrIKdEEEESL_NS6_8equal_toIdEEEENSG_9not_fun_tINSD_8identityEEEEENSD_19counting_iterator_tIlEES8_S8_S8_S8_S8_S8_S8_S8_EEEEPS9_S9_NSD_9__find_if7functorIS9_EEEE10hipError_tPvRmT1_T2_T3_mT4_P12ihipStream_tbEUlT_E0_NS1_11comp_targetILNS1_3genE2ELNS1_11target_archE906ELNS1_3gpuE6ELNS1_3repE0EEENS1_30default_config_static_selectorELNS0_4arch9wavefront6targetE0EEEvS14_,"axG",@progbits,_ZN7rocprim17ROCPRIM_400000_NS6detail17trampoline_kernelINS0_14default_configENS1_22reduce_config_selectorIN6thrust23THRUST_200600_302600_NS5tupleIblNS6_9null_typeES8_S8_S8_S8_S8_S8_S8_EEEEZNS1_11reduce_implILb1ES3_NS6_12zip_iteratorINS7_INS6_11hip_rocprim26transform_input_iterator_tIbNSD_35transform_pair_of_input_iterators_tIbNS6_6detail15normal_iteratorINS6_10device_ptrIKdEEEESL_NS6_8equal_toIdEEEENSG_9not_fun_tINSD_8identityEEEEENSD_19counting_iterator_tIlEES8_S8_S8_S8_S8_S8_S8_S8_EEEEPS9_S9_NSD_9__find_if7functorIS9_EEEE10hipError_tPvRmT1_T2_T3_mT4_P12ihipStream_tbEUlT_E0_NS1_11comp_targetILNS1_3genE2ELNS1_11target_archE906ELNS1_3gpuE6ELNS1_3repE0EEENS1_30default_config_static_selectorELNS0_4arch9wavefront6targetE0EEEvS14_,comdat
.Lfunc_end430:
	.size	_ZN7rocprim17ROCPRIM_400000_NS6detail17trampoline_kernelINS0_14default_configENS1_22reduce_config_selectorIN6thrust23THRUST_200600_302600_NS5tupleIblNS6_9null_typeES8_S8_S8_S8_S8_S8_S8_EEEEZNS1_11reduce_implILb1ES3_NS6_12zip_iteratorINS7_INS6_11hip_rocprim26transform_input_iterator_tIbNSD_35transform_pair_of_input_iterators_tIbNS6_6detail15normal_iteratorINS6_10device_ptrIKdEEEESL_NS6_8equal_toIdEEEENSG_9not_fun_tINSD_8identityEEEEENSD_19counting_iterator_tIlEES8_S8_S8_S8_S8_S8_S8_S8_EEEEPS9_S9_NSD_9__find_if7functorIS9_EEEE10hipError_tPvRmT1_T2_T3_mT4_P12ihipStream_tbEUlT_E0_NS1_11comp_targetILNS1_3genE2ELNS1_11target_archE906ELNS1_3gpuE6ELNS1_3repE0EEENS1_30default_config_static_selectorELNS0_4arch9wavefront6targetE0EEEvS14_, .Lfunc_end430-_ZN7rocprim17ROCPRIM_400000_NS6detail17trampoline_kernelINS0_14default_configENS1_22reduce_config_selectorIN6thrust23THRUST_200600_302600_NS5tupleIblNS6_9null_typeES8_S8_S8_S8_S8_S8_S8_EEEEZNS1_11reduce_implILb1ES3_NS6_12zip_iteratorINS7_INS6_11hip_rocprim26transform_input_iterator_tIbNSD_35transform_pair_of_input_iterators_tIbNS6_6detail15normal_iteratorINS6_10device_ptrIKdEEEESL_NS6_8equal_toIdEEEENSG_9not_fun_tINSD_8identityEEEEENSD_19counting_iterator_tIlEES8_S8_S8_S8_S8_S8_S8_S8_EEEEPS9_S9_NSD_9__find_if7functorIS9_EEEE10hipError_tPvRmT1_T2_T3_mT4_P12ihipStream_tbEUlT_E0_NS1_11comp_targetILNS1_3genE2ELNS1_11target_archE906ELNS1_3gpuE6ELNS1_3repE0EEENS1_30default_config_static_selectorELNS0_4arch9wavefront6targetE0EEEvS14_
                                        ; -- End function
	.section	.AMDGPU.csdata,"",@progbits
; Kernel info:
; codeLenInByte = 0
; NumSgprs: 0
; NumVgprs: 0
; ScratchSize: 0
; MemoryBound: 0
; FloatMode: 240
; IeeeMode: 1
; LDSByteSize: 0 bytes/workgroup (compile time only)
; SGPRBlocks: 0
; VGPRBlocks: 0
; NumSGPRsForWavesPerEU: 1
; NumVGPRsForWavesPerEU: 1
; Occupancy: 16
; WaveLimiterHint : 0
; COMPUTE_PGM_RSRC2:SCRATCH_EN: 0
; COMPUTE_PGM_RSRC2:USER_SGPR: 15
; COMPUTE_PGM_RSRC2:TRAP_HANDLER: 0
; COMPUTE_PGM_RSRC2:TGID_X_EN: 1
; COMPUTE_PGM_RSRC2:TGID_Y_EN: 0
; COMPUTE_PGM_RSRC2:TGID_Z_EN: 0
; COMPUTE_PGM_RSRC2:TIDIG_COMP_CNT: 0
	.section	.text._ZN7rocprim17ROCPRIM_400000_NS6detail17trampoline_kernelINS0_14default_configENS1_22reduce_config_selectorIN6thrust23THRUST_200600_302600_NS5tupleIblNS6_9null_typeES8_S8_S8_S8_S8_S8_S8_EEEEZNS1_11reduce_implILb1ES3_NS6_12zip_iteratorINS7_INS6_11hip_rocprim26transform_input_iterator_tIbNSD_35transform_pair_of_input_iterators_tIbNS6_6detail15normal_iteratorINS6_10device_ptrIKdEEEESL_NS6_8equal_toIdEEEENSG_9not_fun_tINSD_8identityEEEEENSD_19counting_iterator_tIlEES8_S8_S8_S8_S8_S8_S8_S8_EEEEPS9_S9_NSD_9__find_if7functorIS9_EEEE10hipError_tPvRmT1_T2_T3_mT4_P12ihipStream_tbEUlT_E0_NS1_11comp_targetILNS1_3genE10ELNS1_11target_archE1201ELNS1_3gpuE5ELNS1_3repE0EEENS1_30default_config_static_selectorELNS0_4arch9wavefront6targetE0EEEvS14_,"axG",@progbits,_ZN7rocprim17ROCPRIM_400000_NS6detail17trampoline_kernelINS0_14default_configENS1_22reduce_config_selectorIN6thrust23THRUST_200600_302600_NS5tupleIblNS6_9null_typeES8_S8_S8_S8_S8_S8_S8_EEEEZNS1_11reduce_implILb1ES3_NS6_12zip_iteratorINS7_INS6_11hip_rocprim26transform_input_iterator_tIbNSD_35transform_pair_of_input_iterators_tIbNS6_6detail15normal_iteratorINS6_10device_ptrIKdEEEESL_NS6_8equal_toIdEEEENSG_9not_fun_tINSD_8identityEEEEENSD_19counting_iterator_tIlEES8_S8_S8_S8_S8_S8_S8_S8_EEEEPS9_S9_NSD_9__find_if7functorIS9_EEEE10hipError_tPvRmT1_T2_T3_mT4_P12ihipStream_tbEUlT_E0_NS1_11comp_targetILNS1_3genE10ELNS1_11target_archE1201ELNS1_3gpuE5ELNS1_3repE0EEENS1_30default_config_static_selectorELNS0_4arch9wavefront6targetE0EEEvS14_,comdat
	.protected	_ZN7rocprim17ROCPRIM_400000_NS6detail17trampoline_kernelINS0_14default_configENS1_22reduce_config_selectorIN6thrust23THRUST_200600_302600_NS5tupleIblNS6_9null_typeES8_S8_S8_S8_S8_S8_S8_EEEEZNS1_11reduce_implILb1ES3_NS6_12zip_iteratorINS7_INS6_11hip_rocprim26transform_input_iterator_tIbNSD_35transform_pair_of_input_iterators_tIbNS6_6detail15normal_iteratorINS6_10device_ptrIKdEEEESL_NS6_8equal_toIdEEEENSG_9not_fun_tINSD_8identityEEEEENSD_19counting_iterator_tIlEES8_S8_S8_S8_S8_S8_S8_S8_EEEEPS9_S9_NSD_9__find_if7functorIS9_EEEE10hipError_tPvRmT1_T2_T3_mT4_P12ihipStream_tbEUlT_E0_NS1_11comp_targetILNS1_3genE10ELNS1_11target_archE1201ELNS1_3gpuE5ELNS1_3repE0EEENS1_30default_config_static_selectorELNS0_4arch9wavefront6targetE0EEEvS14_ ; -- Begin function _ZN7rocprim17ROCPRIM_400000_NS6detail17trampoline_kernelINS0_14default_configENS1_22reduce_config_selectorIN6thrust23THRUST_200600_302600_NS5tupleIblNS6_9null_typeES8_S8_S8_S8_S8_S8_S8_EEEEZNS1_11reduce_implILb1ES3_NS6_12zip_iteratorINS7_INS6_11hip_rocprim26transform_input_iterator_tIbNSD_35transform_pair_of_input_iterators_tIbNS6_6detail15normal_iteratorINS6_10device_ptrIKdEEEESL_NS6_8equal_toIdEEEENSG_9not_fun_tINSD_8identityEEEEENSD_19counting_iterator_tIlEES8_S8_S8_S8_S8_S8_S8_S8_EEEEPS9_S9_NSD_9__find_if7functorIS9_EEEE10hipError_tPvRmT1_T2_T3_mT4_P12ihipStream_tbEUlT_E0_NS1_11comp_targetILNS1_3genE10ELNS1_11target_archE1201ELNS1_3gpuE5ELNS1_3repE0EEENS1_30default_config_static_selectorELNS0_4arch9wavefront6targetE0EEEvS14_
	.globl	_ZN7rocprim17ROCPRIM_400000_NS6detail17trampoline_kernelINS0_14default_configENS1_22reduce_config_selectorIN6thrust23THRUST_200600_302600_NS5tupleIblNS6_9null_typeES8_S8_S8_S8_S8_S8_S8_EEEEZNS1_11reduce_implILb1ES3_NS6_12zip_iteratorINS7_INS6_11hip_rocprim26transform_input_iterator_tIbNSD_35transform_pair_of_input_iterators_tIbNS6_6detail15normal_iteratorINS6_10device_ptrIKdEEEESL_NS6_8equal_toIdEEEENSG_9not_fun_tINSD_8identityEEEEENSD_19counting_iterator_tIlEES8_S8_S8_S8_S8_S8_S8_S8_EEEEPS9_S9_NSD_9__find_if7functorIS9_EEEE10hipError_tPvRmT1_T2_T3_mT4_P12ihipStream_tbEUlT_E0_NS1_11comp_targetILNS1_3genE10ELNS1_11target_archE1201ELNS1_3gpuE5ELNS1_3repE0EEENS1_30default_config_static_selectorELNS0_4arch9wavefront6targetE0EEEvS14_
	.p2align	8
	.type	_ZN7rocprim17ROCPRIM_400000_NS6detail17trampoline_kernelINS0_14default_configENS1_22reduce_config_selectorIN6thrust23THRUST_200600_302600_NS5tupleIblNS6_9null_typeES8_S8_S8_S8_S8_S8_S8_EEEEZNS1_11reduce_implILb1ES3_NS6_12zip_iteratorINS7_INS6_11hip_rocprim26transform_input_iterator_tIbNSD_35transform_pair_of_input_iterators_tIbNS6_6detail15normal_iteratorINS6_10device_ptrIKdEEEESL_NS6_8equal_toIdEEEENSG_9not_fun_tINSD_8identityEEEEENSD_19counting_iterator_tIlEES8_S8_S8_S8_S8_S8_S8_S8_EEEEPS9_S9_NSD_9__find_if7functorIS9_EEEE10hipError_tPvRmT1_T2_T3_mT4_P12ihipStream_tbEUlT_E0_NS1_11comp_targetILNS1_3genE10ELNS1_11target_archE1201ELNS1_3gpuE5ELNS1_3repE0EEENS1_30default_config_static_selectorELNS0_4arch9wavefront6targetE0EEEvS14_,@function
_ZN7rocprim17ROCPRIM_400000_NS6detail17trampoline_kernelINS0_14default_configENS1_22reduce_config_selectorIN6thrust23THRUST_200600_302600_NS5tupleIblNS6_9null_typeES8_S8_S8_S8_S8_S8_S8_EEEEZNS1_11reduce_implILb1ES3_NS6_12zip_iteratorINS7_INS6_11hip_rocprim26transform_input_iterator_tIbNSD_35transform_pair_of_input_iterators_tIbNS6_6detail15normal_iteratorINS6_10device_ptrIKdEEEESL_NS6_8equal_toIdEEEENSG_9not_fun_tINSD_8identityEEEEENSD_19counting_iterator_tIlEES8_S8_S8_S8_S8_S8_S8_S8_EEEEPS9_S9_NSD_9__find_if7functorIS9_EEEE10hipError_tPvRmT1_T2_T3_mT4_P12ihipStream_tbEUlT_E0_NS1_11comp_targetILNS1_3genE10ELNS1_11target_archE1201ELNS1_3gpuE5ELNS1_3repE0EEENS1_30default_config_static_selectorELNS0_4arch9wavefront6targetE0EEEvS14_: ; @_ZN7rocprim17ROCPRIM_400000_NS6detail17trampoline_kernelINS0_14default_configENS1_22reduce_config_selectorIN6thrust23THRUST_200600_302600_NS5tupleIblNS6_9null_typeES8_S8_S8_S8_S8_S8_S8_EEEEZNS1_11reduce_implILb1ES3_NS6_12zip_iteratorINS7_INS6_11hip_rocprim26transform_input_iterator_tIbNSD_35transform_pair_of_input_iterators_tIbNS6_6detail15normal_iteratorINS6_10device_ptrIKdEEEESL_NS6_8equal_toIdEEEENSG_9not_fun_tINSD_8identityEEEEENSD_19counting_iterator_tIlEES8_S8_S8_S8_S8_S8_S8_S8_EEEEPS9_S9_NSD_9__find_if7functorIS9_EEEE10hipError_tPvRmT1_T2_T3_mT4_P12ihipStream_tbEUlT_E0_NS1_11comp_targetILNS1_3genE10ELNS1_11target_archE1201ELNS1_3gpuE5ELNS1_3repE0EEENS1_30default_config_static_selectorELNS0_4arch9wavefront6targetE0EEEvS14_
; %bb.0:
	.section	.rodata,"a",@progbits
	.p2align	6, 0x0
	.amdhsa_kernel _ZN7rocprim17ROCPRIM_400000_NS6detail17trampoline_kernelINS0_14default_configENS1_22reduce_config_selectorIN6thrust23THRUST_200600_302600_NS5tupleIblNS6_9null_typeES8_S8_S8_S8_S8_S8_S8_EEEEZNS1_11reduce_implILb1ES3_NS6_12zip_iteratorINS7_INS6_11hip_rocprim26transform_input_iterator_tIbNSD_35transform_pair_of_input_iterators_tIbNS6_6detail15normal_iteratorINS6_10device_ptrIKdEEEESL_NS6_8equal_toIdEEEENSG_9not_fun_tINSD_8identityEEEEENSD_19counting_iterator_tIlEES8_S8_S8_S8_S8_S8_S8_S8_EEEEPS9_S9_NSD_9__find_if7functorIS9_EEEE10hipError_tPvRmT1_T2_T3_mT4_P12ihipStream_tbEUlT_E0_NS1_11comp_targetILNS1_3genE10ELNS1_11target_archE1201ELNS1_3gpuE5ELNS1_3repE0EEENS1_30default_config_static_selectorELNS0_4arch9wavefront6targetE0EEEvS14_
		.amdhsa_group_segment_fixed_size 0
		.amdhsa_private_segment_fixed_size 0
		.amdhsa_kernarg_size 104
		.amdhsa_user_sgpr_count 15
		.amdhsa_user_sgpr_dispatch_ptr 0
		.amdhsa_user_sgpr_queue_ptr 0
		.amdhsa_user_sgpr_kernarg_segment_ptr 1
		.amdhsa_user_sgpr_dispatch_id 0
		.amdhsa_user_sgpr_private_segment_size 0
		.amdhsa_wavefront_size32 1
		.amdhsa_uses_dynamic_stack 0
		.amdhsa_enable_private_segment 0
		.amdhsa_system_sgpr_workgroup_id_x 1
		.amdhsa_system_sgpr_workgroup_id_y 0
		.amdhsa_system_sgpr_workgroup_id_z 0
		.amdhsa_system_sgpr_workgroup_info 0
		.amdhsa_system_vgpr_workitem_id 0
		.amdhsa_next_free_vgpr 1
		.amdhsa_next_free_sgpr 1
		.amdhsa_reserve_vcc 0
		.amdhsa_float_round_mode_32 0
		.amdhsa_float_round_mode_16_64 0
		.amdhsa_float_denorm_mode_32 3
		.amdhsa_float_denorm_mode_16_64 3
		.amdhsa_dx10_clamp 1
		.amdhsa_ieee_mode 1
		.amdhsa_fp16_overflow 0
		.amdhsa_workgroup_processor_mode 1
		.amdhsa_memory_ordered 1
		.amdhsa_forward_progress 0
		.amdhsa_shared_vgpr_count 0
		.amdhsa_exception_fp_ieee_invalid_op 0
		.amdhsa_exception_fp_denorm_src 0
		.amdhsa_exception_fp_ieee_div_zero 0
		.amdhsa_exception_fp_ieee_overflow 0
		.amdhsa_exception_fp_ieee_underflow 0
		.amdhsa_exception_fp_ieee_inexact 0
		.amdhsa_exception_int_div_zero 0
	.end_amdhsa_kernel
	.section	.text._ZN7rocprim17ROCPRIM_400000_NS6detail17trampoline_kernelINS0_14default_configENS1_22reduce_config_selectorIN6thrust23THRUST_200600_302600_NS5tupleIblNS6_9null_typeES8_S8_S8_S8_S8_S8_S8_EEEEZNS1_11reduce_implILb1ES3_NS6_12zip_iteratorINS7_INS6_11hip_rocprim26transform_input_iterator_tIbNSD_35transform_pair_of_input_iterators_tIbNS6_6detail15normal_iteratorINS6_10device_ptrIKdEEEESL_NS6_8equal_toIdEEEENSG_9not_fun_tINSD_8identityEEEEENSD_19counting_iterator_tIlEES8_S8_S8_S8_S8_S8_S8_S8_EEEEPS9_S9_NSD_9__find_if7functorIS9_EEEE10hipError_tPvRmT1_T2_T3_mT4_P12ihipStream_tbEUlT_E0_NS1_11comp_targetILNS1_3genE10ELNS1_11target_archE1201ELNS1_3gpuE5ELNS1_3repE0EEENS1_30default_config_static_selectorELNS0_4arch9wavefront6targetE0EEEvS14_,"axG",@progbits,_ZN7rocprim17ROCPRIM_400000_NS6detail17trampoline_kernelINS0_14default_configENS1_22reduce_config_selectorIN6thrust23THRUST_200600_302600_NS5tupleIblNS6_9null_typeES8_S8_S8_S8_S8_S8_S8_EEEEZNS1_11reduce_implILb1ES3_NS6_12zip_iteratorINS7_INS6_11hip_rocprim26transform_input_iterator_tIbNSD_35transform_pair_of_input_iterators_tIbNS6_6detail15normal_iteratorINS6_10device_ptrIKdEEEESL_NS6_8equal_toIdEEEENSG_9not_fun_tINSD_8identityEEEEENSD_19counting_iterator_tIlEES8_S8_S8_S8_S8_S8_S8_S8_EEEEPS9_S9_NSD_9__find_if7functorIS9_EEEE10hipError_tPvRmT1_T2_T3_mT4_P12ihipStream_tbEUlT_E0_NS1_11comp_targetILNS1_3genE10ELNS1_11target_archE1201ELNS1_3gpuE5ELNS1_3repE0EEENS1_30default_config_static_selectorELNS0_4arch9wavefront6targetE0EEEvS14_,comdat
.Lfunc_end431:
	.size	_ZN7rocprim17ROCPRIM_400000_NS6detail17trampoline_kernelINS0_14default_configENS1_22reduce_config_selectorIN6thrust23THRUST_200600_302600_NS5tupleIblNS6_9null_typeES8_S8_S8_S8_S8_S8_S8_EEEEZNS1_11reduce_implILb1ES3_NS6_12zip_iteratorINS7_INS6_11hip_rocprim26transform_input_iterator_tIbNSD_35transform_pair_of_input_iterators_tIbNS6_6detail15normal_iteratorINS6_10device_ptrIKdEEEESL_NS6_8equal_toIdEEEENSG_9not_fun_tINSD_8identityEEEEENSD_19counting_iterator_tIlEES8_S8_S8_S8_S8_S8_S8_S8_EEEEPS9_S9_NSD_9__find_if7functorIS9_EEEE10hipError_tPvRmT1_T2_T3_mT4_P12ihipStream_tbEUlT_E0_NS1_11comp_targetILNS1_3genE10ELNS1_11target_archE1201ELNS1_3gpuE5ELNS1_3repE0EEENS1_30default_config_static_selectorELNS0_4arch9wavefront6targetE0EEEvS14_, .Lfunc_end431-_ZN7rocprim17ROCPRIM_400000_NS6detail17trampoline_kernelINS0_14default_configENS1_22reduce_config_selectorIN6thrust23THRUST_200600_302600_NS5tupleIblNS6_9null_typeES8_S8_S8_S8_S8_S8_S8_EEEEZNS1_11reduce_implILb1ES3_NS6_12zip_iteratorINS7_INS6_11hip_rocprim26transform_input_iterator_tIbNSD_35transform_pair_of_input_iterators_tIbNS6_6detail15normal_iteratorINS6_10device_ptrIKdEEEESL_NS6_8equal_toIdEEEENSG_9not_fun_tINSD_8identityEEEEENSD_19counting_iterator_tIlEES8_S8_S8_S8_S8_S8_S8_S8_EEEEPS9_S9_NSD_9__find_if7functorIS9_EEEE10hipError_tPvRmT1_T2_T3_mT4_P12ihipStream_tbEUlT_E0_NS1_11comp_targetILNS1_3genE10ELNS1_11target_archE1201ELNS1_3gpuE5ELNS1_3repE0EEENS1_30default_config_static_selectorELNS0_4arch9wavefront6targetE0EEEvS14_
                                        ; -- End function
	.section	.AMDGPU.csdata,"",@progbits
; Kernel info:
; codeLenInByte = 0
; NumSgprs: 0
; NumVgprs: 0
; ScratchSize: 0
; MemoryBound: 0
; FloatMode: 240
; IeeeMode: 1
; LDSByteSize: 0 bytes/workgroup (compile time only)
; SGPRBlocks: 0
; VGPRBlocks: 0
; NumSGPRsForWavesPerEU: 1
; NumVGPRsForWavesPerEU: 1
; Occupancy: 16
; WaveLimiterHint : 0
; COMPUTE_PGM_RSRC2:SCRATCH_EN: 0
; COMPUTE_PGM_RSRC2:USER_SGPR: 15
; COMPUTE_PGM_RSRC2:TRAP_HANDLER: 0
; COMPUTE_PGM_RSRC2:TGID_X_EN: 1
; COMPUTE_PGM_RSRC2:TGID_Y_EN: 0
; COMPUTE_PGM_RSRC2:TGID_Z_EN: 0
; COMPUTE_PGM_RSRC2:TIDIG_COMP_CNT: 0
	.section	.text._ZN7rocprim17ROCPRIM_400000_NS6detail17trampoline_kernelINS0_14default_configENS1_22reduce_config_selectorIN6thrust23THRUST_200600_302600_NS5tupleIblNS6_9null_typeES8_S8_S8_S8_S8_S8_S8_EEEEZNS1_11reduce_implILb1ES3_NS6_12zip_iteratorINS7_INS6_11hip_rocprim26transform_input_iterator_tIbNSD_35transform_pair_of_input_iterators_tIbNS6_6detail15normal_iteratorINS6_10device_ptrIKdEEEESL_NS6_8equal_toIdEEEENSG_9not_fun_tINSD_8identityEEEEENSD_19counting_iterator_tIlEES8_S8_S8_S8_S8_S8_S8_S8_EEEEPS9_S9_NSD_9__find_if7functorIS9_EEEE10hipError_tPvRmT1_T2_T3_mT4_P12ihipStream_tbEUlT_E0_NS1_11comp_targetILNS1_3genE10ELNS1_11target_archE1200ELNS1_3gpuE4ELNS1_3repE0EEENS1_30default_config_static_selectorELNS0_4arch9wavefront6targetE0EEEvS14_,"axG",@progbits,_ZN7rocprim17ROCPRIM_400000_NS6detail17trampoline_kernelINS0_14default_configENS1_22reduce_config_selectorIN6thrust23THRUST_200600_302600_NS5tupleIblNS6_9null_typeES8_S8_S8_S8_S8_S8_S8_EEEEZNS1_11reduce_implILb1ES3_NS6_12zip_iteratorINS7_INS6_11hip_rocprim26transform_input_iterator_tIbNSD_35transform_pair_of_input_iterators_tIbNS6_6detail15normal_iteratorINS6_10device_ptrIKdEEEESL_NS6_8equal_toIdEEEENSG_9not_fun_tINSD_8identityEEEEENSD_19counting_iterator_tIlEES8_S8_S8_S8_S8_S8_S8_S8_EEEEPS9_S9_NSD_9__find_if7functorIS9_EEEE10hipError_tPvRmT1_T2_T3_mT4_P12ihipStream_tbEUlT_E0_NS1_11comp_targetILNS1_3genE10ELNS1_11target_archE1200ELNS1_3gpuE4ELNS1_3repE0EEENS1_30default_config_static_selectorELNS0_4arch9wavefront6targetE0EEEvS14_,comdat
	.protected	_ZN7rocprim17ROCPRIM_400000_NS6detail17trampoline_kernelINS0_14default_configENS1_22reduce_config_selectorIN6thrust23THRUST_200600_302600_NS5tupleIblNS6_9null_typeES8_S8_S8_S8_S8_S8_S8_EEEEZNS1_11reduce_implILb1ES3_NS6_12zip_iteratorINS7_INS6_11hip_rocprim26transform_input_iterator_tIbNSD_35transform_pair_of_input_iterators_tIbNS6_6detail15normal_iteratorINS6_10device_ptrIKdEEEESL_NS6_8equal_toIdEEEENSG_9not_fun_tINSD_8identityEEEEENSD_19counting_iterator_tIlEES8_S8_S8_S8_S8_S8_S8_S8_EEEEPS9_S9_NSD_9__find_if7functorIS9_EEEE10hipError_tPvRmT1_T2_T3_mT4_P12ihipStream_tbEUlT_E0_NS1_11comp_targetILNS1_3genE10ELNS1_11target_archE1200ELNS1_3gpuE4ELNS1_3repE0EEENS1_30default_config_static_selectorELNS0_4arch9wavefront6targetE0EEEvS14_ ; -- Begin function _ZN7rocprim17ROCPRIM_400000_NS6detail17trampoline_kernelINS0_14default_configENS1_22reduce_config_selectorIN6thrust23THRUST_200600_302600_NS5tupleIblNS6_9null_typeES8_S8_S8_S8_S8_S8_S8_EEEEZNS1_11reduce_implILb1ES3_NS6_12zip_iteratorINS7_INS6_11hip_rocprim26transform_input_iterator_tIbNSD_35transform_pair_of_input_iterators_tIbNS6_6detail15normal_iteratorINS6_10device_ptrIKdEEEESL_NS6_8equal_toIdEEEENSG_9not_fun_tINSD_8identityEEEEENSD_19counting_iterator_tIlEES8_S8_S8_S8_S8_S8_S8_S8_EEEEPS9_S9_NSD_9__find_if7functorIS9_EEEE10hipError_tPvRmT1_T2_T3_mT4_P12ihipStream_tbEUlT_E0_NS1_11comp_targetILNS1_3genE10ELNS1_11target_archE1200ELNS1_3gpuE4ELNS1_3repE0EEENS1_30default_config_static_selectorELNS0_4arch9wavefront6targetE0EEEvS14_
	.globl	_ZN7rocprim17ROCPRIM_400000_NS6detail17trampoline_kernelINS0_14default_configENS1_22reduce_config_selectorIN6thrust23THRUST_200600_302600_NS5tupleIblNS6_9null_typeES8_S8_S8_S8_S8_S8_S8_EEEEZNS1_11reduce_implILb1ES3_NS6_12zip_iteratorINS7_INS6_11hip_rocprim26transform_input_iterator_tIbNSD_35transform_pair_of_input_iterators_tIbNS6_6detail15normal_iteratorINS6_10device_ptrIKdEEEESL_NS6_8equal_toIdEEEENSG_9not_fun_tINSD_8identityEEEEENSD_19counting_iterator_tIlEES8_S8_S8_S8_S8_S8_S8_S8_EEEEPS9_S9_NSD_9__find_if7functorIS9_EEEE10hipError_tPvRmT1_T2_T3_mT4_P12ihipStream_tbEUlT_E0_NS1_11comp_targetILNS1_3genE10ELNS1_11target_archE1200ELNS1_3gpuE4ELNS1_3repE0EEENS1_30default_config_static_selectorELNS0_4arch9wavefront6targetE0EEEvS14_
	.p2align	8
	.type	_ZN7rocprim17ROCPRIM_400000_NS6detail17trampoline_kernelINS0_14default_configENS1_22reduce_config_selectorIN6thrust23THRUST_200600_302600_NS5tupleIblNS6_9null_typeES8_S8_S8_S8_S8_S8_S8_EEEEZNS1_11reduce_implILb1ES3_NS6_12zip_iteratorINS7_INS6_11hip_rocprim26transform_input_iterator_tIbNSD_35transform_pair_of_input_iterators_tIbNS6_6detail15normal_iteratorINS6_10device_ptrIKdEEEESL_NS6_8equal_toIdEEEENSG_9not_fun_tINSD_8identityEEEEENSD_19counting_iterator_tIlEES8_S8_S8_S8_S8_S8_S8_S8_EEEEPS9_S9_NSD_9__find_if7functorIS9_EEEE10hipError_tPvRmT1_T2_T3_mT4_P12ihipStream_tbEUlT_E0_NS1_11comp_targetILNS1_3genE10ELNS1_11target_archE1200ELNS1_3gpuE4ELNS1_3repE0EEENS1_30default_config_static_selectorELNS0_4arch9wavefront6targetE0EEEvS14_,@function
_ZN7rocprim17ROCPRIM_400000_NS6detail17trampoline_kernelINS0_14default_configENS1_22reduce_config_selectorIN6thrust23THRUST_200600_302600_NS5tupleIblNS6_9null_typeES8_S8_S8_S8_S8_S8_S8_EEEEZNS1_11reduce_implILb1ES3_NS6_12zip_iteratorINS7_INS6_11hip_rocprim26transform_input_iterator_tIbNSD_35transform_pair_of_input_iterators_tIbNS6_6detail15normal_iteratorINS6_10device_ptrIKdEEEESL_NS6_8equal_toIdEEEENSG_9not_fun_tINSD_8identityEEEEENSD_19counting_iterator_tIlEES8_S8_S8_S8_S8_S8_S8_S8_EEEEPS9_S9_NSD_9__find_if7functorIS9_EEEE10hipError_tPvRmT1_T2_T3_mT4_P12ihipStream_tbEUlT_E0_NS1_11comp_targetILNS1_3genE10ELNS1_11target_archE1200ELNS1_3gpuE4ELNS1_3repE0EEENS1_30default_config_static_selectorELNS0_4arch9wavefront6targetE0EEEvS14_: ; @_ZN7rocprim17ROCPRIM_400000_NS6detail17trampoline_kernelINS0_14default_configENS1_22reduce_config_selectorIN6thrust23THRUST_200600_302600_NS5tupleIblNS6_9null_typeES8_S8_S8_S8_S8_S8_S8_EEEEZNS1_11reduce_implILb1ES3_NS6_12zip_iteratorINS7_INS6_11hip_rocprim26transform_input_iterator_tIbNSD_35transform_pair_of_input_iterators_tIbNS6_6detail15normal_iteratorINS6_10device_ptrIKdEEEESL_NS6_8equal_toIdEEEENSG_9not_fun_tINSD_8identityEEEEENSD_19counting_iterator_tIlEES8_S8_S8_S8_S8_S8_S8_S8_EEEEPS9_S9_NSD_9__find_if7functorIS9_EEEE10hipError_tPvRmT1_T2_T3_mT4_P12ihipStream_tbEUlT_E0_NS1_11comp_targetILNS1_3genE10ELNS1_11target_archE1200ELNS1_3gpuE4ELNS1_3repE0EEENS1_30default_config_static_selectorELNS0_4arch9wavefront6targetE0EEEvS14_
; %bb.0:
	.section	.rodata,"a",@progbits
	.p2align	6, 0x0
	.amdhsa_kernel _ZN7rocprim17ROCPRIM_400000_NS6detail17trampoline_kernelINS0_14default_configENS1_22reduce_config_selectorIN6thrust23THRUST_200600_302600_NS5tupleIblNS6_9null_typeES8_S8_S8_S8_S8_S8_S8_EEEEZNS1_11reduce_implILb1ES3_NS6_12zip_iteratorINS7_INS6_11hip_rocprim26transform_input_iterator_tIbNSD_35transform_pair_of_input_iterators_tIbNS6_6detail15normal_iteratorINS6_10device_ptrIKdEEEESL_NS6_8equal_toIdEEEENSG_9not_fun_tINSD_8identityEEEEENSD_19counting_iterator_tIlEES8_S8_S8_S8_S8_S8_S8_S8_EEEEPS9_S9_NSD_9__find_if7functorIS9_EEEE10hipError_tPvRmT1_T2_T3_mT4_P12ihipStream_tbEUlT_E0_NS1_11comp_targetILNS1_3genE10ELNS1_11target_archE1200ELNS1_3gpuE4ELNS1_3repE0EEENS1_30default_config_static_selectorELNS0_4arch9wavefront6targetE0EEEvS14_
		.amdhsa_group_segment_fixed_size 0
		.amdhsa_private_segment_fixed_size 0
		.amdhsa_kernarg_size 104
		.amdhsa_user_sgpr_count 15
		.amdhsa_user_sgpr_dispatch_ptr 0
		.amdhsa_user_sgpr_queue_ptr 0
		.amdhsa_user_sgpr_kernarg_segment_ptr 1
		.amdhsa_user_sgpr_dispatch_id 0
		.amdhsa_user_sgpr_private_segment_size 0
		.amdhsa_wavefront_size32 1
		.amdhsa_uses_dynamic_stack 0
		.amdhsa_enable_private_segment 0
		.amdhsa_system_sgpr_workgroup_id_x 1
		.amdhsa_system_sgpr_workgroup_id_y 0
		.amdhsa_system_sgpr_workgroup_id_z 0
		.amdhsa_system_sgpr_workgroup_info 0
		.amdhsa_system_vgpr_workitem_id 0
		.amdhsa_next_free_vgpr 1
		.amdhsa_next_free_sgpr 1
		.amdhsa_reserve_vcc 0
		.amdhsa_float_round_mode_32 0
		.amdhsa_float_round_mode_16_64 0
		.amdhsa_float_denorm_mode_32 3
		.amdhsa_float_denorm_mode_16_64 3
		.amdhsa_dx10_clamp 1
		.amdhsa_ieee_mode 1
		.amdhsa_fp16_overflow 0
		.amdhsa_workgroup_processor_mode 1
		.amdhsa_memory_ordered 1
		.amdhsa_forward_progress 0
		.amdhsa_shared_vgpr_count 0
		.amdhsa_exception_fp_ieee_invalid_op 0
		.amdhsa_exception_fp_denorm_src 0
		.amdhsa_exception_fp_ieee_div_zero 0
		.amdhsa_exception_fp_ieee_overflow 0
		.amdhsa_exception_fp_ieee_underflow 0
		.amdhsa_exception_fp_ieee_inexact 0
		.amdhsa_exception_int_div_zero 0
	.end_amdhsa_kernel
	.section	.text._ZN7rocprim17ROCPRIM_400000_NS6detail17trampoline_kernelINS0_14default_configENS1_22reduce_config_selectorIN6thrust23THRUST_200600_302600_NS5tupleIblNS6_9null_typeES8_S8_S8_S8_S8_S8_S8_EEEEZNS1_11reduce_implILb1ES3_NS6_12zip_iteratorINS7_INS6_11hip_rocprim26transform_input_iterator_tIbNSD_35transform_pair_of_input_iterators_tIbNS6_6detail15normal_iteratorINS6_10device_ptrIKdEEEESL_NS6_8equal_toIdEEEENSG_9not_fun_tINSD_8identityEEEEENSD_19counting_iterator_tIlEES8_S8_S8_S8_S8_S8_S8_S8_EEEEPS9_S9_NSD_9__find_if7functorIS9_EEEE10hipError_tPvRmT1_T2_T3_mT4_P12ihipStream_tbEUlT_E0_NS1_11comp_targetILNS1_3genE10ELNS1_11target_archE1200ELNS1_3gpuE4ELNS1_3repE0EEENS1_30default_config_static_selectorELNS0_4arch9wavefront6targetE0EEEvS14_,"axG",@progbits,_ZN7rocprim17ROCPRIM_400000_NS6detail17trampoline_kernelINS0_14default_configENS1_22reduce_config_selectorIN6thrust23THRUST_200600_302600_NS5tupleIblNS6_9null_typeES8_S8_S8_S8_S8_S8_S8_EEEEZNS1_11reduce_implILb1ES3_NS6_12zip_iteratorINS7_INS6_11hip_rocprim26transform_input_iterator_tIbNSD_35transform_pair_of_input_iterators_tIbNS6_6detail15normal_iteratorINS6_10device_ptrIKdEEEESL_NS6_8equal_toIdEEEENSG_9not_fun_tINSD_8identityEEEEENSD_19counting_iterator_tIlEES8_S8_S8_S8_S8_S8_S8_S8_EEEEPS9_S9_NSD_9__find_if7functorIS9_EEEE10hipError_tPvRmT1_T2_T3_mT4_P12ihipStream_tbEUlT_E0_NS1_11comp_targetILNS1_3genE10ELNS1_11target_archE1200ELNS1_3gpuE4ELNS1_3repE0EEENS1_30default_config_static_selectorELNS0_4arch9wavefront6targetE0EEEvS14_,comdat
.Lfunc_end432:
	.size	_ZN7rocprim17ROCPRIM_400000_NS6detail17trampoline_kernelINS0_14default_configENS1_22reduce_config_selectorIN6thrust23THRUST_200600_302600_NS5tupleIblNS6_9null_typeES8_S8_S8_S8_S8_S8_S8_EEEEZNS1_11reduce_implILb1ES3_NS6_12zip_iteratorINS7_INS6_11hip_rocprim26transform_input_iterator_tIbNSD_35transform_pair_of_input_iterators_tIbNS6_6detail15normal_iteratorINS6_10device_ptrIKdEEEESL_NS6_8equal_toIdEEEENSG_9not_fun_tINSD_8identityEEEEENSD_19counting_iterator_tIlEES8_S8_S8_S8_S8_S8_S8_S8_EEEEPS9_S9_NSD_9__find_if7functorIS9_EEEE10hipError_tPvRmT1_T2_T3_mT4_P12ihipStream_tbEUlT_E0_NS1_11comp_targetILNS1_3genE10ELNS1_11target_archE1200ELNS1_3gpuE4ELNS1_3repE0EEENS1_30default_config_static_selectorELNS0_4arch9wavefront6targetE0EEEvS14_, .Lfunc_end432-_ZN7rocprim17ROCPRIM_400000_NS6detail17trampoline_kernelINS0_14default_configENS1_22reduce_config_selectorIN6thrust23THRUST_200600_302600_NS5tupleIblNS6_9null_typeES8_S8_S8_S8_S8_S8_S8_EEEEZNS1_11reduce_implILb1ES3_NS6_12zip_iteratorINS7_INS6_11hip_rocprim26transform_input_iterator_tIbNSD_35transform_pair_of_input_iterators_tIbNS6_6detail15normal_iteratorINS6_10device_ptrIKdEEEESL_NS6_8equal_toIdEEEENSG_9not_fun_tINSD_8identityEEEEENSD_19counting_iterator_tIlEES8_S8_S8_S8_S8_S8_S8_S8_EEEEPS9_S9_NSD_9__find_if7functorIS9_EEEE10hipError_tPvRmT1_T2_T3_mT4_P12ihipStream_tbEUlT_E0_NS1_11comp_targetILNS1_3genE10ELNS1_11target_archE1200ELNS1_3gpuE4ELNS1_3repE0EEENS1_30default_config_static_selectorELNS0_4arch9wavefront6targetE0EEEvS14_
                                        ; -- End function
	.section	.AMDGPU.csdata,"",@progbits
; Kernel info:
; codeLenInByte = 0
; NumSgprs: 0
; NumVgprs: 0
; ScratchSize: 0
; MemoryBound: 0
; FloatMode: 240
; IeeeMode: 1
; LDSByteSize: 0 bytes/workgroup (compile time only)
; SGPRBlocks: 0
; VGPRBlocks: 0
; NumSGPRsForWavesPerEU: 1
; NumVGPRsForWavesPerEU: 1
; Occupancy: 16
; WaveLimiterHint : 0
; COMPUTE_PGM_RSRC2:SCRATCH_EN: 0
; COMPUTE_PGM_RSRC2:USER_SGPR: 15
; COMPUTE_PGM_RSRC2:TRAP_HANDLER: 0
; COMPUTE_PGM_RSRC2:TGID_X_EN: 1
; COMPUTE_PGM_RSRC2:TGID_Y_EN: 0
; COMPUTE_PGM_RSRC2:TGID_Z_EN: 0
; COMPUTE_PGM_RSRC2:TIDIG_COMP_CNT: 0
	.section	.text._ZN7rocprim17ROCPRIM_400000_NS6detail17trampoline_kernelINS0_14default_configENS1_22reduce_config_selectorIN6thrust23THRUST_200600_302600_NS5tupleIblNS6_9null_typeES8_S8_S8_S8_S8_S8_S8_EEEEZNS1_11reduce_implILb1ES3_NS6_12zip_iteratorINS7_INS6_11hip_rocprim26transform_input_iterator_tIbNSD_35transform_pair_of_input_iterators_tIbNS6_6detail15normal_iteratorINS6_10device_ptrIKdEEEESL_NS6_8equal_toIdEEEENSG_9not_fun_tINSD_8identityEEEEENSD_19counting_iterator_tIlEES8_S8_S8_S8_S8_S8_S8_S8_EEEEPS9_S9_NSD_9__find_if7functorIS9_EEEE10hipError_tPvRmT1_T2_T3_mT4_P12ihipStream_tbEUlT_E0_NS1_11comp_targetILNS1_3genE9ELNS1_11target_archE1100ELNS1_3gpuE3ELNS1_3repE0EEENS1_30default_config_static_selectorELNS0_4arch9wavefront6targetE0EEEvS14_,"axG",@progbits,_ZN7rocprim17ROCPRIM_400000_NS6detail17trampoline_kernelINS0_14default_configENS1_22reduce_config_selectorIN6thrust23THRUST_200600_302600_NS5tupleIblNS6_9null_typeES8_S8_S8_S8_S8_S8_S8_EEEEZNS1_11reduce_implILb1ES3_NS6_12zip_iteratorINS7_INS6_11hip_rocprim26transform_input_iterator_tIbNSD_35transform_pair_of_input_iterators_tIbNS6_6detail15normal_iteratorINS6_10device_ptrIKdEEEESL_NS6_8equal_toIdEEEENSG_9not_fun_tINSD_8identityEEEEENSD_19counting_iterator_tIlEES8_S8_S8_S8_S8_S8_S8_S8_EEEEPS9_S9_NSD_9__find_if7functorIS9_EEEE10hipError_tPvRmT1_T2_T3_mT4_P12ihipStream_tbEUlT_E0_NS1_11comp_targetILNS1_3genE9ELNS1_11target_archE1100ELNS1_3gpuE3ELNS1_3repE0EEENS1_30default_config_static_selectorELNS0_4arch9wavefront6targetE0EEEvS14_,comdat
	.protected	_ZN7rocprim17ROCPRIM_400000_NS6detail17trampoline_kernelINS0_14default_configENS1_22reduce_config_selectorIN6thrust23THRUST_200600_302600_NS5tupleIblNS6_9null_typeES8_S8_S8_S8_S8_S8_S8_EEEEZNS1_11reduce_implILb1ES3_NS6_12zip_iteratorINS7_INS6_11hip_rocprim26transform_input_iterator_tIbNSD_35transform_pair_of_input_iterators_tIbNS6_6detail15normal_iteratorINS6_10device_ptrIKdEEEESL_NS6_8equal_toIdEEEENSG_9not_fun_tINSD_8identityEEEEENSD_19counting_iterator_tIlEES8_S8_S8_S8_S8_S8_S8_S8_EEEEPS9_S9_NSD_9__find_if7functorIS9_EEEE10hipError_tPvRmT1_T2_T3_mT4_P12ihipStream_tbEUlT_E0_NS1_11comp_targetILNS1_3genE9ELNS1_11target_archE1100ELNS1_3gpuE3ELNS1_3repE0EEENS1_30default_config_static_selectorELNS0_4arch9wavefront6targetE0EEEvS14_ ; -- Begin function _ZN7rocprim17ROCPRIM_400000_NS6detail17trampoline_kernelINS0_14default_configENS1_22reduce_config_selectorIN6thrust23THRUST_200600_302600_NS5tupleIblNS6_9null_typeES8_S8_S8_S8_S8_S8_S8_EEEEZNS1_11reduce_implILb1ES3_NS6_12zip_iteratorINS7_INS6_11hip_rocprim26transform_input_iterator_tIbNSD_35transform_pair_of_input_iterators_tIbNS6_6detail15normal_iteratorINS6_10device_ptrIKdEEEESL_NS6_8equal_toIdEEEENSG_9not_fun_tINSD_8identityEEEEENSD_19counting_iterator_tIlEES8_S8_S8_S8_S8_S8_S8_S8_EEEEPS9_S9_NSD_9__find_if7functorIS9_EEEE10hipError_tPvRmT1_T2_T3_mT4_P12ihipStream_tbEUlT_E0_NS1_11comp_targetILNS1_3genE9ELNS1_11target_archE1100ELNS1_3gpuE3ELNS1_3repE0EEENS1_30default_config_static_selectorELNS0_4arch9wavefront6targetE0EEEvS14_
	.globl	_ZN7rocprim17ROCPRIM_400000_NS6detail17trampoline_kernelINS0_14default_configENS1_22reduce_config_selectorIN6thrust23THRUST_200600_302600_NS5tupleIblNS6_9null_typeES8_S8_S8_S8_S8_S8_S8_EEEEZNS1_11reduce_implILb1ES3_NS6_12zip_iteratorINS7_INS6_11hip_rocprim26transform_input_iterator_tIbNSD_35transform_pair_of_input_iterators_tIbNS6_6detail15normal_iteratorINS6_10device_ptrIKdEEEESL_NS6_8equal_toIdEEEENSG_9not_fun_tINSD_8identityEEEEENSD_19counting_iterator_tIlEES8_S8_S8_S8_S8_S8_S8_S8_EEEEPS9_S9_NSD_9__find_if7functorIS9_EEEE10hipError_tPvRmT1_T2_T3_mT4_P12ihipStream_tbEUlT_E0_NS1_11comp_targetILNS1_3genE9ELNS1_11target_archE1100ELNS1_3gpuE3ELNS1_3repE0EEENS1_30default_config_static_selectorELNS0_4arch9wavefront6targetE0EEEvS14_
	.p2align	8
	.type	_ZN7rocprim17ROCPRIM_400000_NS6detail17trampoline_kernelINS0_14default_configENS1_22reduce_config_selectorIN6thrust23THRUST_200600_302600_NS5tupleIblNS6_9null_typeES8_S8_S8_S8_S8_S8_S8_EEEEZNS1_11reduce_implILb1ES3_NS6_12zip_iteratorINS7_INS6_11hip_rocprim26transform_input_iterator_tIbNSD_35transform_pair_of_input_iterators_tIbNS6_6detail15normal_iteratorINS6_10device_ptrIKdEEEESL_NS6_8equal_toIdEEEENSG_9not_fun_tINSD_8identityEEEEENSD_19counting_iterator_tIlEES8_S8_S8_S8_S8_S8_S8_S8_EEEEPS9_S9_NSD_9__find_if7functorIS9_EEEE10hipError_tPvRmT1_T2_T3_mT4_P12ihipStream_tbEUlT_E0_NS1_11comp_targetILNS1_3genE9ELNS1_11target_archE1100ELNS1_3gpuE3ELNS1_3repE0EEENS1_30default_config_static_selectorELNS0_4arch9wavefront6targetE0EEEvS14_,@function
_ZN7rocprim17ROCPRIM_400000_NS6detail17trampoline_kernelINS0_14default_configENS1_22reduce_config_selectorIN6thrust23THRUST_200600_302600_NS5tupleIblNS6_9null_typeES8_S8_S8_S8_S8_S8_S8_EEEEZNS1_11reduce_implILb1ES3_NS6_12zip_iteratorINS7_INS6_11hip_rocprim26transform_input_iterator_tIbNSD_35transform_pair_of_input_iterators_tIbNS6_6detail15normal_iteratorINS6_10device_ptrIKdEEEESL_NS6_8equal_toIdEEEENSG_9not_fun_tINSD_8identityEEEEENSD_19counting_iterator_tIlEES8_S8_S8_S8_S8_S8_S8_S8_EEEEPS9_S9_NSD_9__find_if7functorIS9_EEEE10hipError_tPvRmT1_T2_T3_mT4_P12ihipStream_tbEUlT_E0_NS1_11comp_targetILNS1_3genE9ELNS1_11target_archE1100ELNS1_3gpuE3ELNS1_3repE0EEENS1_30default_config_static_selectorELNS0_4arch9wavefront6targetE0EEEvS14_: ; @_ZN7rocprim17ROCPRIM_400000_NS6detail17trampoline_kernelINS0_14default_configENS1_22reduce_config_selectorIN6thrust23THRUST_200600_302600_NS5tupleIblNS6_9null_typeES8_S8_S8_S8_S8_S8_S8_EEEEZNS1_11reduce_implILb1ES3_NS6_12zip_iteratorINS7_INS6_11hip_rocprim26transform_input_iterator_tIbNSD_35transform_pair_of_input_iterators_tIbNS6_6detail15normal_iteratorINS6_10device_ptrIKdEEEESL_NS6_8equal_toIdEEEENSG_9not_fun_tINSD_8identityEEEEENSD_19counting_iterator_tIlEES8_S8_S8_S8_S8_S8_S8_S8_EEEEPS9_S9_NSD_9__find_if7functorIS9_EEEE10hipError_tPvRmT1_T2_T3_mT4_P12ihipStream_tbEUlT_E0_NS1_11comp_targetILNS1_3genE9ELNS1_11target_archE1100ELNS1_3gpuE3ELNS1_3repE0EEENS1_30default_config_static_selectorELNS0_4arch9wavefront6targetE0EEEvS14_
; %bb.0:
	s_clause 0x1
	s_load_b256 s[4:11], s[0:1], 0x20
	s_load_b128 s[24:27], s[0:1], 0x0
	s_mov_b32 s16, s15
	s_load_b128 s[12:15], s[0:1], 0x40
	s_mov_b32 s23, 0
	v_lshlrev_b32_e32 v7, 3, v0
	s_mov_b32 s17, s23
	s_waitcnt lgkmcnt(0)
	s_lshl_b64 s[2:3], s[6:7], 3
	s_delay_alu instid0(SALU_CYCLE_1)
	s_add_u32 s18, s24, s2
	s_addc_u32 s19, s25, s3
	s_add_u32 s20, s26, s2
	s_addc_u32 s21, s27, s3
	s_lshl_b32 s22, s16, 10
	s_lshr_b64 s[24:25], s[8:9], 10
	s_lshl_b64 s[2:3], s[22:23], 3
	s_delay_alu instid0(SALU_CYCLE_1)
	s_add_u32 s18, s18, s2
	s_addc_u32 s19, s19, s3
	s_add_u32 s20, s20, s2
	s_addc_u32 s21, s21, s3
	;; [unrolled: 2-line block ×4, first 2 shown]
	s_cmp_lg_u64 s[24:25], s[16:17]
	s_cbranch_scc0 .LBB433_16
; %bb.1:
	v_add_co_u32 v5, s2, s18, v7
	s_delay_alu instid0(VALU_DEP_1) | instskip(SKIP_1) | instid1(VALU_DEP_1)
	v_add_co_ci_u32_e64 v6, null, s19, 0, s2
	v_add_co_u32 v3, s2, s20, v7
	v_add_co_ci_u32_e64 v4, null, s21, 0, s2
	global_load_b64 v[1:2], v7, s[20:21] offset:2048
	v_add_co_u32 v3, vcc_lo, 0x1000, v3
	v_add_co_ci_u32_e32 v4, vcc_lo, 0, v4, vcc_lo
	v_add_co_u32 v5, vcc_lo, 0x1000, v5
	v_add_co_ci_u32_e32 v6, vcc_lo, 0, v6, vcc_lo
	s_clause 0x2
	global_load_b64 v[8:9], v7, s[18:19] offset:2048
	global_load_b64 v[10:11], v7, s[20:21]
	global_load_b64 v[12:13], v7, s[18:19]
	global_load_b64 v[14:15], v[3:4], off
	s_clause 0x1
	global_load_b64 v[16:17], v[5:6], off
	global_load_b64 v[5:6], v[5:6], off offset:2048
	global_load_b64 v[3:4], v[3:4], off offset:2048
	v_mov_b32_e32 v18, 0x100
	s_waitcnt vmcnt(6)
	v_cmp_neq_f64_e32 vcc_lo, v[8:9], v[1:2]
	s_waitcnt vmcnt(4)
	v_cmp_neq_f64_e64 s2, v[12:13], v[10:11]
	s_waitcnt vmcnt(2)
	v_cmp_neq_f64_e64 s3, v[16:17], v[14:15]
	;; [unrolled: 2-line block ×3, first 2 shown]
	v_cndmask_b32_e32 v1, 0x200, v18, vcc_lo
	s_delay_alu instid0(VALU_DEP_1)
	v_cndmask_b32_e64 v1, v1, 0, s2
	s_or_b32 s2, s2, vcc_lo
	s_delay_alu instid0(VALU_DEP_4) | instid1(SALU_CYCLE_1)
	s_or_b32 vcc_lo, s2, s3
	v_add_co_u32 v2, s2, s5, v0
	s_delay_alu instid0(VALU_DEP_4) | instskip(SKIP_3) | instid1(VALU_DEP_1)
	s_or_b32 s3, vcc_lo, s4
	v_add_co_ci_u32_e64 v3, null, s23, 0, s2
	v_cndmask_b32_e64 v5, 0, 1, s3
	s_mov_b32 s4, exec_lo
	v_mov_b32_dpp v6, v5 quad_perm:[1,0,3,2] row_mask:0xf bank_mask:0xf
	s_delay_alu instid0(VALU_DEP_1) | instskip(NEXT) | instid1(VALU_DEP_1)
	v_dual_cndmask_b32 v1, 0x300, v1 :: v_dual_and_b32 v8, 1, v6
	v_add_co_u32 v1, vcc_lo, v2, v1
	v_add_co_ci_u32_e32 v2, vcc_lo, 0, v3, vcc_lo
	s_delay_alu instid0(VALU_DEP_2) | instskip(NEXT) | instid1(VALU_DEP_2)
	v_mov_b32_dpp v3, v1 quad_perm:[1,0,3,2] row_mask:0xf bank_mask:0xf
	v_mov_b32_dpp v4, v2 quad_perm:[1,0,3,2] row_mask:0xf bank_mask:0xf
	v_cmpx_eq_u32_e32 1, v8
; %bb.2:
	v_cndmask_b32_e64 v5, v6, 1, s3
	s_delay_alu instid0(VALU_DEP_3) | instskip(NEXT) | instid1(VALU_DEP_2)
	v_cmp_lt_i64_e32 vcc_lo, v[1:2], v[3:4]
	v_and_b32_e32 v6, 1, v5
	v_and_b32_e32 v5, 0xff, v5
	s_and_b32 vcc_lo, s3, vcc_lo
	s_and_not1_b32 s3, s3, exec_lo
	v_dual_cndmask_b32 v2, v4, v2 :: v_dual_cndmask_b32 v1, v3, v1
	v_cmp_eq_u32_e64 s2, 1, v6
	s_delay_alu instid0(VALU_DEP_1) | instskip(NEXT) | instid1(SALU_CYCLE_1)
	s_and_b32 s2, s2, exec_lo
	s_or_b32 s3, s3, s2
; %bb.3:
	s_or_b32 exec_lo, exec_lo, s4
	v_mov_b32_dpp v6, v5 quad_perm:[2,3,0,1] row_mask:0xf bank_mask:0xf
	v_mov_b32_dpp v3, v1 quad_perm:[2,3,0,1] row_mask:0xf bank_mask:0xf
	;; [unrolled: 1-line block ×3, first 2 shown]
	s_mov_b32 s4, exec_lo
	s_delay_alu instid0(VALU_DEP_3) | instskip(NEXT) | instid1(VALU_DEP_1)
	v_and_b32_e32 v8, 1, v6
	v_cmpx_eq_u32_e32 1, v8
; %bb.4:
	v_cndmask_b32_e64 v5, v6, 1, s3
	v_cmp_lt_i64_e32 vcc_lo, v[1:2], v[3:4]
	s_delay_alu instid0(VALU_DEP_2)
	v_and_b32_e32 v6, 1, v5
	v_and_b32_e32 v5, 0xff, v5
	s_and_b32 vcc_lo, s3, vcc_lo
	s_and_not1_b32 s3, s3, exec_lo
	v_dual_cndmask_b32 v2, v4, v2 :: v_dual_cndmask_b32 v1, v3, v1
	v_cmp_eq_u32_e64 s2, 1, v6
	s_delay_alu instid0(VALU_DEP_1) | instskip(NEXT) | instid1(SALU_CYCLE_1)
	s_and_b32 s2, s2, exec_lo
	s_or_b32 s3, s3, s2
; %bb.5:
	s_or_b32 exec_lo, exec_lo, s4
	v_mov_b32_dpp v6, v5 row_ror:4 row_mask:0xf bank_mask:0xf
	v_mov_b32_dpp v3, v1 row_ror:4 row_mask:0xf bank_mask:0xf
	;; [unrolled: 1-line block ×3, first 2 shown]
	s_mov_b32 s4, exec_lo
	s_delay_alu instid0(VALU_DEP_3) | instskip(NEXT) | instid1(VALU_DEP_1)
	v_and_b32_e32 v8, 1, v6
	v_cmpx_eq_u32_e32 1, v8
; %bb.6:
	v_cndmask_b32_e64 v5, v6, 1, s3
	v_cmp_lt_i64_e32 vcc_lo, v[1:2], v[3:4]
	s_delay_alu instid0(VALU_DEP_2)
	v_and_b32_e32 v6, 1, v5
	v_and_b32_e32 v5, 0xff, v5
	s_and_b32 vcc_lo, s3, vcc_lo
	s_and_not1_b32 s3, s3, exec_lo
	v_dual_cndmask_b32 v2, v4, v2 :: v_dual_cndmask_b32 v1, v3, v1
	v_cmp_eq_u32_e64 s2, 1, v6
	s_delay_alu instid0(VALU_DEP_1) | instskip(NEXT) | instid1(SALU_CYCLE_1)
	s_and_b32 s2, s2, exec_lo
	s_or_b32 s3, s3, s2
; %bb.7:
	s_or_b32 exec_lo, exec_lo, s4
	v_mov_b32_dpp v6, v5 row_ror:8 row_mask:0xf bank_mask:0xf
	v_mov_b32_dpp v3, v1 row_ror:8 row_mask:0xf bank_mask:0xf
	;; [unrolled: 1-line block ×3, first 2 shown]
	s_mov_b32 s4, exec_lo
	s_delay_alu instid0(VALU_DEP_3) | instskip(NEXT) | instid1(VALU_DEP_1)
	v_and_b32_e32 v8, 1, v6
	v_cmpx_eq_u32_e32 1, v8
; %bb.8:
	v_cndmask_b32_e64 v5, v6, 1, s3
	v_cmp_lt_i64_e32 vcc_lo, v[1:2], v[3:4]
	s_delay_alu instid0(VALU_DEP_2)
	v_and_b32_e32 v6, 1, v5
	v_and_b32_e32 v5, 0xff, v5
	s_and_b32 vcc_lo, s3, vcc_lo
	s_and_not1_b32 s3, s3, exec_lo
	v_dual_cndmask_b32 v2, v4, v2 :: v_dual_cndmask_b32 v1, v3, v1
	v_cmp_eq_u32_e64 s2, 1, v6
	s_delay_alu instid0(VALU_DEP_1) | instskip(NEXT) | instid1(SALU_CYCLE_1)
	s_and_b32 s2, s2, exec_lo
	s_or_b32 s3, s3, s2
; %bb.9:
	s_or_b32 exec_lo, exec_lo, s4
	ds_swizzle_b32 v6, v5 offset:swizzle(BROADCAST,32,15)
	ds_swizzle_b32 v3, v1 offset:swizzle(BROADCAST,32,15)
	;; [unrolled: 1-line block ×3, first 2 shown]
	s_mov_b32 s2, exec_lo
	s_waitcnt lgkmcnt(2)
	v_and_b32_e32 v8, 1, v6
	s_delay_alu instid0(VALU_DEP_1)
	v_cmpx_eq_u32_e32 1, v8
	s_cbranch_execz .LBB433_11
; %bb.10:
	s_waitcnt lgkmcnt(0)
	v_cmp_lt_i64_e32 vcc_lo, v[1:2], v[3:4]
	v_and_b32_e32 v5, 0xff, v6
	s_delay_alu instid0(VALU_DEP_1)
	v_cndmask_b32_e64 v5, v5, 1, s3
	s_and_b32 vcc_lo, s3, vcc_lo
	v_dual_cndmask_b32 v1, v3, v1 :: v_dual_cndmask_b32 v2, v4, v2
.LBB433_11:
	s_or_b32 exec_lo, exec_lo, s2
	s_waitcnt lgkmcnt(1)
	v_mov_b32_e32 v3, 0
	s_mov_b32 s2, exec_lo
	ds_bpermute_b32 v6, v3, v5 offset:124
	ds_bpermute_b32 v1, v3, v1 offset:124
	;; [unrolled: 1-line block ×3, first 2 shown]
	v_mbcnt_lo_u32_b32 v3, -1, 0
	s_delay_alu instid0(VALU_DEP_1)
	v_cmpx_eq_u32_e32 0, v3
	s_cbranch_execz .LBB433_13
; %bb.12:
	s_waitcnt lgkmcnt(3)
	v_lshrrev_b32_e32 v4, 1, v0
	s_delay_alu instid0(VALU_DEP_1)
	v_and_b32_e32 v4, 0x70, v4
	s_waitcnt lgkmcnt(2)
	ds_store_b8 v4, v6
	s_waitcnt lgkmcnt(1)
	ds_store_b64 v4, v[1:2] offset:8
.LBB433_13:
	s_or_b32 exec_lo, exec_lo, s2
	s_delay_alu instid0(SALU_CYCLE_1)
	s_mov_b32 s4, exec_lo
	s_waitcnt lgkmcnt(0)
	s_barrier
	buffer_gl0_inv
	v_cmpx_gt_u32_e32 32, v0
	s_cbranch_execz .LBB433_15
; %bb.14:
	v_and_b32_e32 v6, 7, v3
	s_delay_alu instid0(VALU_DEP_1)
	v_lshlrev_b32_e32 v1, 4, v6
	v_cmp_ne_u32_e32 vcc_lo, 7, v6
	ds_load_u8 v8, v1
	ds_load_b64 v[1:2], v1 offset:8
	v_add_co_ci_u32_e32 v4, vcc_lo, 0, v3, vcc_lo
	v_cmp_gt_u32_e32 vcc_lo, 6, v6
	s_delay_alu instid0(VALU_DEP_2)
	v_lshlrev_b32_e32 v5, 2, v4
	v_cndmask_b32_e64 v11, 0, 1, vcc_lo
	s_waitcnt lgkmcnt(1)
	v_and_b32_e32 v4, 0xff, v8
	v_and_b32_e32 v12, 1, v8
	ds_bpermute_b32 v9, v5, v4
	s_waitcnt lgkmcnt(1)
	ds_bpermute_b32 v4, v5, v1
	ds_bpermute_b32 v5, v5, v2
	v_cmp_eq_u32_e64 s3, 1, v12
	s_waitcnt lgkmcnt(2)
	v_and_b32_e32 v10, 1, v9
	s_waitcnt lgkmcnt(0)
	v_cmp_lt_i64_e64 s2, v[4:5], v[1:2]
	s_delay_alu instid0(VALU_DEP_2) | instskip(SKIP_2) | instid1(VALU_DEP_4)
	v_cmp_eq_u32_e32 vcc_lo, 1, v10
	v_lshlrev_b32_e32 v10, 1, v11
	v_cndmask_b32_e64 v8, v8, 1, vcc_lo
	s_and_b32 vcc_lo, vcc_lo, s2
	v_dual_cndmask_b32 v1, v1, v4 :: v_dual_cndmask_b32 v2, v2, v5
	s_delay_alu instid0(VALU_DEP_2) | instskip(SKIP_2) | instid1(VALU_DEP_4)
	v_cndmask_b32_e64 v8, v9, v8, s3
	v_add_lshl_u32 v9, v10, v3, 2
	v_cmp_gt_u32_e32 vcc_lo, 4, v6
	v_cndmask_b32_e64 v1, v4, v1, s3
	v_cndmask_b32_e64 v2, v5, v2, s3
	v_and_b32_e32 v10, 0xff, v8
	v_and_b32_e32 v11, 1, v8
	v_cndmask_b32_e64 v6, 0, 1, vcc_lo
	ds_bpermute_b32 v4, v9, v1
	ds_bpermute_b32 v5, v9, v2
	;; [unrolled: 1-line block ×3, first 2 shown]
	v_cmp_eq_u32_e64 s3, 1, v11
	v_lshlrev_b32_e32 v6, 2, v6
	s_delay_alu instid0(VALU_DEP_1) | instskip(SKIP_4) | instid1(VALU_DEP_1)
	v_add_lshl_u32 v6, v6, v3, 2
	s_waitcnt lgkmcnt(1)
	v_cmp_lt_i64_e64 s2, v[4:5], v[1:2]
	s_waitcnt lgkmcnt(0)
	v_and_b32_e32 v9, 1, v10
	v_cmp_eq_u32_e32 vcc_lo, 1, v9
	v_cndmask_b32_e64 v8, v8, 1, vcc_lo
	s_delay_alu instid0(VALU_DEP_4) | instskip(SKIP_1) | instid1(VALU_DEP_2)
	s_and_b32 vcc_lo, vcc_lo, s2
	v_dual_cndmask_b32 v2, v2, v5 :: v_dual_cndmask_b32 v1, v1, v4
	v_cndmask_b32_e64 v8, v10, v8, s3
	s_delay_alu instid0(VALU_DEP_2) | instskip(NEXT) | instid1(VALU_DEP_3)
	v_cndmask_b32_e64 v2, v5, v2, s3
	v_cndmask_b32_e64 v1, v4, v1, s3
	s_delay_alu instid0(VALU_DEP_3)
	v_and_b32_e32 v3, 0xff, v8
	ds_bpermute_b32 v4, v6, v2
	ds_bpermute_b32 v5, v6, v3
	;; [unrolled: 1-line block ×3, first 2 shown]
	s_waitcnt lgkmcnt(1)
	v_and_b32_e32 v6, 1, v5
	s_waitcnt lgkmcnt(0)
	v_cmp_lt_i64_e32 vcc_lo, v[3:4], v[1:2]
	s_delay_alu instid0(VALU_DEP_2) | instskip(SKIP_1) | instid1(VALU_DEP_2)
	v_cmp_eq_u32_e64 s2, 1, v6
	v_and_b32_e32 v6, 1, v8
	v_cndmask_b32_e64 v8, v8, 1, s2
	s_and_b32 vcc_lo, s2, vcc_lo
	s_delay_alu instid0(VALU_DEP_2) | instskip(SKIP_1) | instid1(VALU_DEP_2)
	v_cmp_eq_u32_e64 s2, 1, v6
	v_dual_cndmask_b32 v1, v1, v3 :: v_dual_cndmask_b32 v2, v2, v4
	v_cndmask_b32_e64 v5, v5, v8, s2
	s_delay_alu instid0(VALU_DEP_2) | instskip(NEXT) | instid1(VALU_DEP_3)
	v_cndmask_b32_e64 v1, v3, v1, s2
	v_cndmask_b32_e64 v2, v4, v2, s2
	s_delay_alu instid0(VALU_DEP_3)
	v_and_b32_e32 v6, 0xff, v5
.LBB433_15:
	s_or_b32 exec_lo, exec_lo, s4
	s_load_b64 s[6:7], s[0:1], 0x58
	s_branch .LBB433_49
.LBB433_16:
                                        ; implicit-def: $vgpr1_vgpr2
                                        ; implicit-def: $vgpr6
	s_load_b64 s[6:7], s[0:1], 0x58
	s_cbranch_execz .LBB433_49
; %bb.17:
	v_mov_b32_e32 v5, 0
	v_dual_mov_b32 v6, 0 :: v_dual_mov_b32 v11, 0
	s_delay_alu instid0(VALU_DEP_2) | instskip(SKIP_2) | instid1(VALU_DEP_3)
	v_mov_b32_e32 v1, v5
	v_mov_b32_e32 v9, 0
	s_sub_i32 s22, s8, s22
	v_mov_b32_e32 v2, v6
	s_mov_b32 s2, exec_lo
	v_cmpx_gt_u32_e64 s22, v0
	s_cbranch_execz .LBB433_19
; %bb.18:
	s_clause 0x1
	global_load_b64 v[3:4], v7, s[18:19]
	global_load_b64 v[8:9], v7, s[20:21]
	v_add_co_u32 v1, s3, s5, v0
	s_delay_alu instid0(VALU_DEP_1)
	v_add_co_ci_u32_e64 v2, null, s23, 0, s3
	s_waitcnt vmcnt(0)
	v_cmp_neq_f64_e32 vcc_lo, v[3:4], v[8:9]
	v_cndmask_b32_e64 v9, 0, 1, vcc_lo
.LBB433_19:
	s_or_b32 exec_lo, exec_lo, s2
	v_or_b32_e32 v3, 0x100, v0
	s_delay_alu instid0(VALU_DEP_1) | instskip(NEXT) | instid1(VALU_DEP_1)
	v_cmp_gt_u32_e64 s3, s22, v3
	s_and_saveexec_b32 s2, s3
	s_cbranch_execz .LBB433_21
; %bb.20:
	s_clause 0x1
	global_load_b64 v[10:11], v7, s[18:19] offset:2048
	global_load_b64 v[7:8], v7, s[20:21] offset:2048
	v_add_co_u32 v5, s4, s5, v3
	s_delay_alu instid0(VALU_DEP_1)
	v_add_co_ci_u32_e64 v6, null, s23, 0, s4
	s_waitcnt vmcnt(0)
	v_cmp_neq_f64_e32 vcc_lo, v[10:11], v[7:8]
	v_cndmask_b32_e64 v11, 0, 1, vcc_lo
.LBB433_21:
	s_or_b32 exec_lo, exec_lo, s2
	v_dual_mov_b32 v3, 0 :: v_dual_mov_b32 v10, 0
	v_mov_b32_e32 v4, 0
	v_or_b32_e32 v13, 0x200, v0
	v_mov_b32_e32 v12, 0
	s_delay_alu instid0(VALU_DEP_3) | instskip(NEXT) | instid1(VALU_DEP_3)
	v_dual_mov_b32 v8, v4 :: v_dual_mov_b32 v7, v3
	v_cmp_gt_u32_e64 s2, s22, v13
	s_delay_alu instid0(VALU_DEP_1)
	s_and_saveexec_b32 s4, s2
	s_cbranch_execz .LBB433_23
; %bb.22:
	v_lshlrev_b32_e32 v7, 3, v13
	s_clause 0x1
	global_load_b64 v[14:15], v7, s[18:19]
	global_load_b64 v[16:17], v7, s[20:21]
	v_add_co_u32 v7, s24, s5, v13
	s_delay_alu instid0(VALU_DEP_1)
	v_add_co_ci_u32_e64 v8, null, s23, 0, s24
	s_waitcnt vmcnt(0)
	v_cmp_neq_f64_e32 vcc_lo, v[14:15], v[16:17]
	v_cndmask_b32_e64 v12, 0, 1, vcc_lo
.LBB433_23:
	s_or_b32 exec_lo, exec_lo, s4
	v_or_b32_e32 v13, 0x300, v0
	s_delay_alu instid0(VALU_DEP_1)
	v_cmp_gt_u32_e32 vcc_lo, s22, v13
	s_and_saveexec_b32 s24, vcc_lo
	s_cbranch_execnz .LBB433_52
; %bb.24:
	s_or_b32 exec_lo, exec_lo, s24
	s_and_saveexec_b32 s5, s3
	s_cbranch_execnz .LBB433_53
.LBB433_25:
	s_or_b32 exec_lo, exec_lo, s5
	s_and_saveexec_b32 s4, s2
	s_cbranch_execnz .LBB433_54
.LBB433_26:
	s_or_b32 exec_lo, exec_lo, s4
	s_and_saveexec_b32 s3, vcc_lo
.LBB433_27:
	v_and_b32_e32 v5, 1, v10
	v_cmp_lt_i64_e32 vcc_lo, v[3:4], v[1:2]
	s_delay_alu instid0(VALU_DEP_2) | instskip(NEXT) | instid1(VALU_DEP_1)
	v_cmp_eq_u32_e64 s2, 1, v5
	s_and_b32 vcc_lo, s2, vcc_lo
	v_cndmask_b32_e64 v6, v9, 1, s2
	v_dual_cndmask_b32 v2, v2, v4 :: v_dual_and_b32 v5, 1, v9
	v_cndmask_b32_e32 v1, v1, v3, vcc_lo
	s_delay_alu instid0(VALU_DEP_2) | instskip(NEXT) | instid1(VALU_DEP_3)
	v_cmp_eq_u32_e32 vcc_lo, 1, v5
	v_cndmask_b32_e32 v2, v4, v2, vcc_lo
	v_cndmask_b32_e32 v9, v10, v6, vcc_lo
	s_delay_alu instid0(VALU_DEP_4)
	v_cndmask_b32_e32 v1, v3, v1, vcc_lo
.LBB433_28:
	s_or_b32 exec_lo, exec_lo, s3
	v_mbcnt_lo_u32_b32 v5, -1, 0
	v_and_b32_e32 v7, 0xe0, v0
	s_min_u32 s3, s22, 0x100
	v_and_b32_e32 v6, 0xffff, v9
	s_delay_alu instid0(VALU_DEP_3) | instskip(NEXT) | instid1(VALU_DEP_3)
	v_cmp_ne_u32_e32 vcc_lo, 31, v5
	v_sub_nc_u32_e64 v8, s3, v7 clamp
	v_add_nc_u32_e32 v7, 1, v5
	v_add_co_ci_u32_e32 v3, vcc_lo, 0, v5, vcc_lo
	s_delay_alu instid0(VALU_DEP_2) | instskip(NEXT) | instid1(VALU_DEP_2)
	v_cmp_lt_u32_e32 vcc_lo, v7, v8
	v_dual_mov_b32 v7, v6 :: v_dual_lshlrev_b32 v4, 2, v3
	ds_bpermute_b32 v10, v4, v6
	ds_bpermute_b32 v3, v4, v1
	ds_bpermute_b32 v4, v4, v2
	s_and_saveexec_b32 s2, vcc_lo
	s_delay_alu instid0(SALU_CYCLE_1)
	s_xor_b32 s4, exec_lo, s2
	s_cbranch_execz .LBB433_30
; %bb.29:
	s_waitcnt lgkmcnt(0)
	v_and_b32_e32 v7, 1, v10
	v_cmp_lt_i64_e32 vcc_lo, v[3:4], v[1:2]
	s_delay_alu instid0(VALU_DEP_2) | instskip(SKIP_1) | instid1(VALU_DEP_2)
	v_cmp_eq_u32_e64 s2, 1, v7
	v_and_b32_e32 v7, 1, v9
	v_cndmask_b32_e64 v6, v6, 1, s2
	s_and_b32 vcc_lo, s2, vcc_lo
	s_delay_alu instid0(VALU_DEP_2) | instskip(SKIP_1) | instid1(VALU_DEP_2)
	v_cmp_eq_u32_e64 s2, 1, v7
	v_dual_cndmask_b32 v2, v2, v4 :: v_dual_cndmask_b32 v1, v1, v3
	v_cndmask_b32_e64 v7, v10, v6, s2
	s_delay_alu instid0(VALU_DEP_2) | instskip(NEXT) | instid1(VALU_DEP_3)
	v_cndmask_b32_e64 v2, v4, v2, s2
	v_cndmask_b32_e64 v1, v3, v1, s2
	s_delay_alu instid0(VALU_DEP_3)
	v_and_b32_e32 v6, 0xff, v7
.LBB433_30:
	s_or_b32 exec_lo, exec_lo, s4
	v_cmp_gt_u32_e32 vcc_lo, 30, v5
	s_waitcnt lgkmcnt(0)
	v_add_nc_u32_e32 v10, 2, v5
	s_mov_b32 s4, exec_lo
	v_cndmask_b32_e64 v3, 0, 1, vcc_lo
	s_delay_alu instid0(VALU_DEP_1) | instskip(NEXT) | instid1(VALU_DEP_1)
	v_lshlrev_b32_e32 v3, 1, v3
	v_add_lshl_u32 v4, v3, v5, 2
	ds_bpermute_b32 v9, v4, v6
	ds_bpermute_b32 v3, v4, v1
	ds_bpermute_b32 v4, v4, v2
	v_cmpx_lt_u32_e64 v10, v8
	s_cbranch_execz .LBB433_32
; %bb.31:
	s_waitcnt lgkmcnt(2)
	v_and_b32_e32 v6, 1, v9
	s_waitcnt lgkmcnt(0)
	v_cmp_lt_i64_e32 vcc_lo, v[3:4], v[1:2]
	s_delay_alu instid0(VALU_DEP_2) | instskip(SKIP_1) | instid1(VALU_DEP_2)
	v_cmp_eq_u32_e64 s2, 1, v6
	v_and_b32_e32 v6, 1, v7
	v_cndmask_b32_e64 v7, v7, 1, s2
	s_and_b32 vcc_lo, s2, vcc_lo
	s_delay_alu instid0(VALU_DEP_2) | instskip(SKIP_1) | instid1(VALU_DEP_2)
	v_cmp_eq_u32_e64 s2, 1, v6
	v_dual_cndmask_b32 v1, v1, v3 :: v_dual_cndmask_b32 v2, v2, v4
	v_cndmask_b32_e64 v7, v9, v7, s2
	s_delay_alu instid0(VALU_DEP_2) | instskip(NEXT) | instid1(VALU_DEP_3)
	v_cndmask_b32_e64 v1, v3, v1, s2
	v_cndmask_b32_e64 v2, v4, v2, s2
	s_delay_alu instid0(VALU_DEP_3)
	v_and_b32_e32 v6, 0xff, v7
.LBB433_32:
	s_or_b32 exec_lo, exec_lo, s4
	v_cmp_gt_u32_e32 vcc_lo, 28, v5
	v_add_nc_u32_e32 v10, 4, v5
	s_mov_b32 s4, exec_lo
	s_waitcnt lgkmcnt(1)
	v_cndmask_b32_e64 v3, 0, 1, vcc_lo
	s_delay_alu instid0(VALU_DEP_1) | instskip(SKIP_1) | instid1(VALU_DEP_1)
	v_lshlrev_b32_e32 v3, 2, v3
	s_waitcnt lgkmcnt(0)
	v_add_lshl_u32 v4, v3, v5, 2
	ds_bpermute_b32 v9, v4, v6
	ds_bpermute_b32 v3, v4, v1
	ds_bpermute_b32 v4, v4, v2
	v_cmpx_lt_u32_e64 v10, v8
	s_cbranch_execz .LBB433_34
; %bb.33:
	s_waitcnt lgkmcnt(2)
	v_and_b32_e32 v6, 1, v9
	s_waitcnt lgkmcnt(0)
	v_cmp_lt_i64_e32 vcc_lo, v[3:4], v[1:2]
	s_delay_alu instid0(VALU_DEP_2) | instskip(SKIP_1) | instid1(VALU_DEP_2)
	v_cmp_eq_u32_e64 s2, 1, v6
	v_and_b32_e32 v6, 1, v7
	v_cndmask_b32_e64 v7, v7, 1, s2
	s_and_b32 vcc_lo, s2, vcc_lo
	s_delay_alu instid0(VALU_DEP_2) | instskip(SKIP_1) | instid1(VALU_DEP_2)
	v_cmp_eq_u32_e64 s2, 1, v6
	v_dual_cndmask_b32 v1, v1, v3 :: v_dual_cndmask_b32 v2, v2, v4
	v_cndmask_b32_e64 v7, v9, v7, s2
	s_delay_alu instid0(VALU_DEP_2) | instskip(NEXT) | instid1(VALU_DEP_3)
	v_cndmask_b32_e64 v1, v3, v1, s2
	v_cndmask_b32_e64 v2, v4, v2, s2
	s_delay_alu instid0(VALU_DEP_3)
	v_and_b32_e32 v6, 0xff, v7
.LBB433_34:
	s_or_b32 exec_lo, exec_lo, s4
	v_cmp_gt_u32_e32 vcc_lo, 24, v5
	v_add_nc_u32_e32 v10, 8, v5
	s_mov_b32 s4, exec_lo
	s_waitcnt lgkmcnt(1)
	v_cndmask_b32_e64 v3, 0, 1, vcc_lo
	s_delay_alu instid0(VALU_DEP_1) | instskip(SKIP_1) | instid1(VALU_DEP_1)
	v_lshlrev_b32_e32 v3, 3, v3
	s_waitcnt lgkmcnt(0)
	;; [unrolled: 35-line block ×3, first 2 shown]
	v_add_lshl_u32 v4, v3, v5, 2
	ds_bpermute_b32 v9, v4, v6
	ds_bpermute_b32 v3, v4, v1
	;; [unrolled: 1-line block ×3, first 2 shown]
	v_cmpx_lt_u32_e64 v10, v8
	s_cbranch_execz .LBB433_38
; %bb.37:
	s_waitcnt lgkmcnt(2)
	v_and_b32_e32 v6, 1, v9
	s_waitcnt lgkmcnt(0)
	v_cmp_lt_i64_e32 vcc_lo, v[3:4], v[1:2]
	s_delay_alu instid0(VALU_DEP_2) | instskip(SKIP_1) | instid1(VALU_DEP_2)
	v_cmp_eq_u32_e64 s2, 1, v6
	v_and_b32_e32 v6, 1, v7
	v_cndmask_b32_e64 v7, v7, 1, s2
	s_and_b32 vcc_lo, s2, vcc_lo
	s_delay_alu instid0(VALU_DEP_2) | instskip(SKIP_1) | instid1(VALU_DEP_2)
	v_cmp_eq_u32_e64 s2, 1, v6
	v_dual_cndmask_b32 v1, v1, v3 :: v_dual_cndmask_b32 v2, v2, v4
	v_cndmask_b32_e64 v7, v9, v7, s2
	s_delay_alu instid0(VALU_DEP_2) | instskip(NEXT) | instid1(VALU_DEP_3)
	v_cndmask_b32_e64 v1, v3, v1, s2
	v_cndmask_b32_e64 v2, v4, v2, s2
	s_delay_alu instid0(VALU_DEP_3)
	v_and_b32_e32 v6, 0xff, v7
.LBB433_38:
	s_or_b32 exec_lo, exec_lo, s4
	s_delay_alu instid0(SALU_CYCLE_1)
	s_mov_b32 s2, exec_lo
	v_cmpx_eq_u32_e32 0, v5
	s_cbranch_execz .LBB433_40
; %bb.39:
	s_waitcnt lgkmcnt(1)
	v_lshrrev_b32_e32 v3, 1, v0
	s_delay_alu instid0(VALU_DEP_1)
	v_and_b32_e32 v3, 0x70, v3
	ds_store_b8 v3, v7 offset:128
	ds_store_b64 v3, v[1:2] offset:136
.LBB433_40:
	s_or_b32 exec_lo, exec_lo, s2
	s_delay_alu instid0(SALU_CYCLE_1)
	s_mov_b32 s4, exec_lo
	s_waitcnt lgkmcnt(0)
	s_barrier
	buffer_gl0_inv
	v_cmpx_gt_u32_e32 8, v0
	s_cbranch_execz .LBB433_48
; %bb.41:
	v_lshlrev_b32_e32 v1, 4, v5
	v_and_b32_e32 v8, 7, v5
	s_add_i32 s3, s3, 31
	s_mov_b32 s5, exec_lo
	s_lshr_b32 s3, s3, 5
	ds_load_u8 v7, v1 offset:128
	ds_load_b64 v[1:2], v1 offset:136
	v_cmp_ne_u32_e32 vcc_lo, 7, v8
	v_add_nc_u32_e32 v10, 1, v8
	v_add_co_ci_u32_e32 v3, vcc_lo, 0, v5, vcc_lo
	s_delay_alu instid0(VALU_DEP_1)
	v_lshlrev_b32_e32 v4, 2, v3
	s_waitcnt lgkmcnt(1)
	v_and_b32_e32 v6, 0xff, v7
	s_waitcnt lgkmcnt(0)
	ds_bpermute_b32 v3, v4, v1
	ds_bpermute_b32 v9, v4, v6
	;; [unrolled: 1-line block ×3, first 2 shown]
	v_cmpx_gt_u32_e64 s3, v10
	s_cbranch_execz .LBB433_43
; %bb.42:
	s_waitcnt lgkmcnt(1)
	v_and_b32_e32 v6, 1, v9
	s_waitcnt lgkmcnt(0)
	v_cmp_lt_i64_e32 vcc_lo, v[3:4], v[1:2]
	s_delay_alu instid0(VALU_DEP_2) | instskip(SKIP_1) | instid1(VALU_DEP_2)
	v_cmp_eq_u32_e64 s2, 1, v6
	v_and_b32_e32 v6, 1, v7
	v_cndmask_b32_e64 v7, v7, 1, s2
	s_and_b32 vcc_lo, s2, vcc_lo
	s_delay_alu instid0(VALU_DEP_2) | instskip(SKIP_1) | instid1(VALU_DEP_2)
	v_cmp_eq_u32_e64 s2, 1, v6
	v_dual_cndmask_b32 v1, v1, v3 :: v_dual_cndmask_b32 v2, v2, v4
	v_cndmask_b32_e64 v7, v9, v7, s2
	s_delay_alu instid0(VALU_DEP_2) | instskip(NEXT) | instid1(VALU_DEP_3)
	v_cndmask_b32_e64 v1, v3, v1, s2
	v_cndmask_b32_e64 v2, v4, v2, s2
	s_delay_alu instid0(VALU_DEP_3)
	v_and_b32_e32 v6, 0xff, v7
.LBB433_43:
	s_or_b32 exec_lo, exec_lo, s5
	v_cmp_gt_u32_e32 vcc_lo, 6, v8
	v_add_nc_u32_e32 v10, 2, v8
	s_mov_b32 s5, exec_lo
	s_waitcnt lgkmcnt(2)
	v_cndmask_b32_e64 v3, 0, 1, vcc_lo
	s_delay_alu instid0(VALU_DEP_1) | instskip(SKIP_1) | instid1(VALU_DEP_1)
	v_lshlrev_b32_e32 v3, 1, v3
	s_waitcnt lgkmcnt(0)
	v_add_lshl_u32 v4, v3, v5, 2
	ds_bpermute_b32 v9, v4, v6
	ds_bpermute_b32 v3, v4, v1
	;; [unrolled: 1-line block ×3, first 2 shown]
	v_cmpx_gt_u32_e64 s3, v10
	s_cbranch_execz .LBB433_45
; %bb.44:
	s_waitcnt lgkmcnt(2)
	v_and_b32_e32 v6, 1, v9
	s_waitcnt lgkmcnt(0)
	v_cmp_lt_i64_e32 vcc_lo, v[3:4], v[1:2]
	s_delay_alu instid0(VALU_DEP_2) | instskip(SKIP_1) | instid1(VALU_DEP_2)
	v_cmp_eq_u32_e64 s2, 1, v6
	v_and_b32_e32 v6, 1, v7
	v_cndmask_b32_e64 v7, v7, 1, s2
	s_and_b32 vcc_lo, s2, vcc_lo
	s_delay_alu instid0(VALU_DEP_2) | instskip(SKIP_1) | instid1(VALU_DEP_2)
	v_cmp_eq_u32_e64 s2, 1, v6
	v_dual_cndmask_b32 v1, v1, v3 :: v_dual_cndmask_b32 v2, v2, v4
	v_cndmask_b32_e64 v7, v9, v7, s2
	s_delay_alu instid0(VALU_DEP_2) | instskip(NEXT) | instid1(VALU_DEP_3)
	v_cndmask_b32_e64 v1, v3, v1, s2
	v_cndmask_b32_e64 v2, v4, v2, s2
	s_delay_alu instid0(VALU_DEP_3)
	v_and_b32_e32 v6, 0xff, v7
.LBB433_45:
	s_or_b32 exec_lo, exec_lo, s5
	v_cmp_gt_u32_e32 vcc_lo, 4, v8
	v_add_nc_u32_e32 v8, 4, v8
	s_waitcnt lgkmcnt(1)
	v_cndmask_b32_e64 v3, 0, 1, vcc_lo
	s_delay_alu instid0(VALU_DEP_2) | instskip(NEXT) | instid1(VALU_DEP_2)
	v_cmp_gt_u32_e32 vcc_lo, s3, v8
	v_lshlrev_b32_e32 v3, 2, v3
	s_waitcnt lgkmcnt(0)
	s_delay_alu instid0(VALU_DEP_1)
	v_add_lshl_u32 v4, v3, v5, 2
	ds_bpermute_b32 v5, v4, v6
	ds_bpermute_b32 v3, v4, v1
	;; [unrolled: 1-line block ×3, first 2 shown]
	s_and_saveexec_b32 s3, vcc_lo
	s_cbranch_execz .LBB433_47
; %bb.46:
	s_waitcnt lgkmcnt(2)
	v_and_b32_e32 v6, 1, v5
	s_waitcnt lgkmcnt(0)
	v_cmp_lt_i64_e32 vcc_lo, v[3:4], v[1:2]
	s_delay_alu instid0(VALU_DEP_2) | instskip(SKIP_1) | instid1(VALU_DEP_2)
	v_cmp_eq_u32_e64 s2, 1, v6
	v_and_b32_e32 v6, 1, v7
	v_cndmask_b32_e64 v7, v7, 1, s2
	s_and_b32 vcc_lo, s2, vcc_lo
	s_delay_alu instid0(VALU_DEP_2) | instskip(SKIP_1) | instid1(VALU_DEP_2)
	v_cmp_eq_u32_e64 s2, 1, v6
	v_dual_cndmask_b32 v1, v1, v3 :: v_dual_cndmask_b32 v2, v2, v4
	v_cndmask_b32_e64 v5, v5, v7, s2
	s_delay_alu instid0(VALU_DEP_2) | instskip(NEXT) | instid1(VALU_DEP_3)
	v_cndmask_b32_e64 v1, v3, v1, s2
	v_cndmask_b32_e64 v2, v4, v2, s2
	s_delay_alu instid0(VALU_DEP_3)
	v_and_b32_e32 v6, 0xff, v5
.LBB433_47:
	s_or_b32 exec_lo, exec_lo, s3
.LBB433_48:
	s_delay_alu instid0(SALU_CYCLE_1)
	s_or_b32 exec_lo, exec_lo, s4
.LBB433_49:
	s_load_b32 s0, s[0:1], 0x50
	s_mov_b32 s1, exec_lo
	v_cmpx_eq_u32_e32 0, v0
	s_cbranch_execz .LBB433_51
; %bb.50:
	s_mul_i32 s1, s14, s13
	s_mul_hi_u32 s2, s14, s12
	s_mul_i32 s3, s15, s12
	s_add_i32 s1, s2, s1
	s_mul_i32 s2, s14, s12
	s_add_i32 s3, s1, s3
	v_mov_b32_e32 v0, 0
	s_lshl_b64 s[2:3], s[2:3], 4
	s_delay_alu instid0(SALU_CYCLE_1)
	s_add_u32 s1, s10, s2
	s_addc_u32 s4, s11, s3
	s_cmp_eq_u64 s[8:9], 0
	s_cselect_b32 s5, -1, 0
	s_lshl_b64 s[2:3], s[16:17], 4
	s_waitcnt lgkmcnt(0)
	v_cndmask_b32_e64 v3, v6, s0, s5
	v_cndmask_b32_e64 v2, v2, s7, s5
	;; [unrolled: 1-line block ×3, first 2 shown]
	s_add_u32 s0, s1, s2
	s_addc_u32 s1, s4, s3
	s_clause 0x1
	global_store_b8 v0, v3, s[0:1]
	global_store_b64 v0, v[1:2], s[0:1] offset:8
.LBB433_51:
	s_nop 0
	s_sendmsg sendmsg(MSG_DEALLOC_VGPRS)
	s_endpgm
.LBB433_52:
	v_lshlrev_b32_e32 v3, 3, v13
	s_clause 0x1
	global_load_b64 v[14:15], v3, s[18:19]
	global_load_b64 v[16:17], v3, s[20:21]
	v_add_co_u32 v3, s4, s5, v13
	s_delay_alu instid0(VALU_DEP_1) | instskip(SKIP_2) | instid1(VALU_DEP_1)
	v_add_co_ci_u32_e64 v4, null, s23, 0, s4
	s_waitcnt vmcnt(0)
	v_cmp_neq_f64_e64 s4, v[14:15], v[16:17]
	v_cndmask_b32_e64 v10, 0, 1, s4
	s_or_b32 exec_lo, exec_lo, s24
	s_and_saveexec_b32 s5, s3
	s_cbranch_execz .LBB433_25
.LBB433_53:
	v_and_b32_e32 v13, 1, v11
	v_cmp_lt_i64_e64 s3, v[5:6], v[1:2]
	s_delay_alu instid0(VALU_DEP_2) | instskip(SKIP_1) | instid1(VALU_DEP_2)
	v_cmp_eq_u32_e64 s4, 1, v13
	v_and_b32_e32 v13, 1, v9
	s_and_b32 s3, s4, s3
	v_cndmask_b32_e64 v9, v9, 1, s4
	v_cndmask_b32_e64 v1, v1, v5, s3
	;; [unrolled: 1-line block ×3, first 2 shown]
	v_cmp_eq_u32_e64 s3, 1, v13
	s_delay_alu instid0(VALU_DEP_1) | instskip(NEXT) | instid1(VALU_DEP_3)
	v_cndmask_b32_e64 v9, v11, v9, s3
	v_cndmask_b32_e64 v2, v6, v2, s3
	;; [unrolled: 1-line block ×3, first 2 shown]
	s_or_b32 exec_lo, exec_lo, s5
	s_and_saveexec_b32 s4, s2
	s_cbranch_execz .LBB433_26
.LBB433_54:
	v_and_b32_e32 v5, 1, v12
	v_cmp_lt_i64_e64 s2, v[7:8], v[1:2]
	s_delay_alu instid0(VALU_DEP_2) | instskip(SKIP_1) | instid1(VALU_DEP_2)
	v_cmp_eq_u32_e64 s3, 1, v5
	v_and_b32_e32 v5, 1, v9
	s_and_b32 s2, s3, s2
	v_cndmask_b32_e64 v6, v9, 1, s3
	v_cndmask_b32_e64 v1, v1, v7, s2
	;; [unrolled: 1-line block ×3, first 2 shown]
	v_cmp_eq_u32_e64 s2, 1, v5
	s_delay_alu instid0(VALU_DEP_1) | instskip(NEXT) | instid1(VALU_DEP_3)
	v_cndmask_b32_e64 v9, v12, v6, s2
	v_cndmask_b32_e64 v2, v8, v2, s2
	;; [unrolled: 1-line block ×3, first 2 shown]
	s_or_b32 exec_lo, exec_lo, s4
	s_and_saveexec_b32 s3, vcc_lo
	s_cbranch_execnz .LBB433_27
	s_branch .LBB433_28
	.section	.rodata,"a",@progbits
	.p2align	6, 0x0
	.amdhsa_kernel _ZN7rocprim17ROCPRIM_400000_NS6detail17trampoline_kernelINS0_14default_configENS1_22reduce_config_selectorIN6thrust23THRUST_200600_302600_NS5tupleIblNS6_9null_typeES8_S8_S8_S8_S8_S8_S8_EEEEZNS1_11reduce_implILb1ES3_NS6_12zip_iteratorINS7_INS6_11hip_rocprim26transform_input_iterator_tIbNSD_35transform_pair_of_input_iterators_tIbNS6_6detail15normal_iteratorINS6_10device_ptrIKdEEEESL_NS6_8equal_toIdEEEENSG_9not_fun_tINSD_8identityEEEEENSD_19counting_iterator_tIlEES8_S8_S8_S8_S8_S8_S8_S8_EEEEPS9_S9_NSD_9__find_if7functorIS9_EEEE10hipError_tPvRmT1_T2_T3_mT4_P12ihipStream_tbEUlT_E0_NS1_11comp_targetILNS1_3genE9ELNS1_11target_archE1100ELNS1_3gpuE3ELNS1_3repE0EEENS1_30default_config_static_selectorELNS0_4arch9wavefront6targetE0EEEvS14_
		.amdhsa_group_segment_fixed_size 256
		.amdhsa_private_segment_fixed_size 0
		.amdhsa_kernarg_size 104
		.amdhsa_user_sgpr_count 15
		.amdhsa_user_sgpr_dispatch_ptr 0
		.amdhsa_user_sgpr_queue_ptr 0
		.amdhsa_user_sgpr_kernarg_segment_ptr 1
		.amdhsa_user_sgpr_dispatch_id 0
		.amdhsa_user_sgpr_private_segment_size 0
		.amdhsa_wavefront_size32 1
		.amdhsa_uses_dynamic_stack 0
		.amdhsa_enable_private_segment 0
		.amdhsa_system_sgpr_workgroup_id_x 1
		.amdhsa_system_sgpr_workgroup_id_y 0
		.amdhsa_system_sgpr_workgroup_id_z 0
		.amdhsa_system_sgpr_workgroup_info 0
		.amdhsa_system_vgpr_workitem_id 0
		.amdhsa_next_free_vgpr 19
		.amdhsa_next_free_sgpr 28
		.amdhsa_reserve_vcc 1
		.amdhsa_float_round_mode_32 0
		.amdhsa_float_round_mode_16_64 0
		.amdhsa_float_denorm_mode_32 3
		.amdhsa_float_denorm_mode_16_64 3
		.amdhsa_dx10_clamp 1
		.amdhsa_ieee_mode 1
		.amdhsa_fp16_overflow 0
		.amdhsa_workgroup_processor_mode 1
		.amdhsa_memory_ordered 1
		.amdhsa_forward_progress 0
		.amdhsa_shared_vgpr_count 0
		.amdhsa_exception_fp_ieee_invalid_op 0
		.amdhsa_exception_fp_denorm_src 0
		.amdhsa_exception_fp_ieee_div_zero 0
		.amdhsa_exception_fp_ieee_overflow 0
		.amdhsa_exception_fp_ieee_underflow 0
		.amdhsa_exception_fp_ieee_inexact 0
		.amdhsa_exception_int_div_zero 0
	.end_amdhsa_kernel
	.section	.text._ZN7rocprim17ROCPRIM_400000_NS6detail17trampoline_kernelINS0_14default_configENS1_22reduce_config_selectorIN6thrust23THRUST_200600_302600_NS5tupleIblNS6_9null_typeES8_S8_S8_S8_S8_S8_S8_EEEEZNS1_11reduce_implILb1ES3_NS6_12zip_iteratorINS7_INS6_11hip_rocprim26transform_input_iterator_tIbNSD_35transform_pair_of_input_iterators_tIbNS6_6detail15normal_iteratorINS6_10device_ptrIKdEEEESL_NS6_8equal_toIdEEEENSG_9not_fun_tINSD_8identityEEEEENSD_19counting_iterator_tIlEES8_S8_S8_S8_S8_S8_S8_S8_EEEEPS9_S9_NSD_9__find_if7functorIS9_EEEE10hipError_tPvRmT1_T2_T3_mT4_P12ihipStream_tbEUlT_E0_NS1_11comp_targetILNS1_3genE9ELNS1_11target_archE1100ELNS1_3gpuE3ELNS1_3repE0EEENS1_30default_config_static_selectorELNS0_4arch9wavefront6targetE0EEEvS14_,"axG",@progbits,_ZN7rocprim17ROCPRIM_400000_NS6detail17trampoline_kernelINS0_14default_configENS1_22reduce_config_selectorIN6thrust23THRUST_200600_302600_NS5tupleIblNS6_9null_typeES8_S8_S8_S8_S8_S8_S8_EEEEZNS1_11reduce_implILb1ES3_NS6_12zip_iteratorINS7_INS6_11hip_rocprim26transform_input_iterator_tIbNSD_35transform_pair_of_input_iterators_tIbNS6_6detail15normal_iteratorINS6_10device_ptrIKdEEEESL_NS6_8equal_toIdEEEENSG_9not_fun_tINSD_8identityEEEEENSD_19counting_iterator_tIlEES8_S8_S8_S8_S8_S8_S8_S8_EEEEPS9_S9_NSD_9__find_if7functorIS9_EEEE10hipError_tPvRmT1_T2_T3_mT4_P12ihipStream_tbEUlT_E0_NS1_11comp_targetILNS1_3genE9ELNS1_11target_archE1100ELNS1_3gpuE3ELNS1_3repE0EEENS1_30default_config_static_selectorELNS0_4arch9wavefront6targetE0EEEvS14_,comdat
.Lfunc_end433:
	.size	_ZN7rocprim17ROCPRIM_400000_NS6detail17trampoline_kernelINS0_14default_configENS1_22reduce_config_selectorIN6thrust23THRUST_200600_302600_NS5tupleIblNS6_9null_typeES8_S8_S8_S8_S8_S8_S8_EEEEZNS1_11reduce_implILb1ES3_NS6_12zip_iteratorINS7_INS6_11hip_rocprim26transform_input_iterator_tIbNSD_35transform_pair_of_input_iterators_tIbNS6_6detail15normal_iteratorINS6_10device_ptrIKdEEEESL_NS6_8equal_toIdEEEENSG_9not_fun_tINSD_8identityEEEEENSD_19counting_iterator_tIlEES8_S8_S8_S8_S8_S8_S8_S8_EEEEPS9_S9_NSD_9__find_if7functorIS9_EEEE10hipError_tPvRmT1_T2_T3_mT4_P12ihipStream_tbEUlT_E0_NS1_11comp_targetILNS1_3genE9ELNS1_11target_archE1100ELNS1_3gpuE3ELNS1_3repE0EEENS1_30default_config_static_selectorELNS0_4arch9wavefront6targetE0EEEvS14_, .Lfunc_end433-_ZN7rocprim17ROCPRIM_400000_NS6detail17trampoline_kernelINS0_14default_configENS1_22reduce_config_selectorIN6thrust23THRUST_200600_302600_NS5tupleIblNS6_9null_typeES8_S8_S8_S8_S8_S8_S8_EEEEZNS1_11reduce_implILb1ES3_NS6_12zip_iteratorINS7_INS6_11hip_rocprim26transform_input_iterator_tIbNSD_35transform_pair_of_input_iterators_tIbNS6_6detail15normal_iteratorINS6_10device_ptrIKdEEEESL_NS6_8equal_toIdEEEENSG_9not_fun_tINSD_8identityEEEEENSD_19counting_iterator_tIlEES8_S8_S8_S8_S8_S8_S8_S8_EEEEPS9_S9_NSD_9__find_if7functorIS9_EEEE10hipError_tPvRmT1_T2_T3_mT4_P12ihipStream_tbEUlT_E0_NS1_11comp_targetILNS1_3genE9ELNS1_11target_archE1100ELNS1_3gpuE3ELNS1_3repE0EEENS1_30default_config_static_selectorELNS0_4arch9wavefront6targetE0EEEvS14_
                                        ; -- End function
	.section	.AMDGPU.csdata,"",@progbits
; Kernel info:
; codeLenInByte = 4108
; NumSgprs: 30
; NumVgprs: 19
; ScratchSize: 0
; MemoryBound: 0
; FloatMode: 240
; IeeeMode: 1
; LDSByteSize: 256 bytes/workgroup (compile time only)
; SGPRBlocks: 3
; VGPRBlocks: 2
; NumSGPRsForWavesPerEU: 30
; NumVGPRsForWavesPerEU: 19
; Occupancy: 16
; WaveLimiterHint : 0
; COMPUTE_PGM_RSRC2:SCRATCH_EN: 0
; COMPUTE_PGM_RSRC2:USER_SGPR: 15
; COMPUTE_PGM_RSRC2:TRAP_HANDLER: 0
; COMPUTE_PGM_RSRC2:TGID_X_EN: 1
; COMPUTE_PGM_RSRC2:TGID_Y_EN: 0
; COMPUTE_PGM_RSRC2:TGID_Z_EN: 0
; COMPUTE_PGM_RSRC2:TIDIG_COMP_CNT: 0
	.section	.text._ZN7rocprim17ROCPRIM_400000_NS6detail17trampoline_kernelINS0_14default_configENS1_22reduce_config_selectorIN6thrust23THRUST_200600_302600_NS5tupleIblNS6_9null_typeES8_S8_S8_S8_S8_S8_S8_EEEEZNS1_11reduce_implILb1ES3_NS6_12zip_iteratorINS7_INS6_11hip_rocprim26transform_input_iterator_tIbNSD_35transform_pair_of_input_iterators_tIbNS6_6detail15normal_iteratorINS6_10device_ptrIKdEEEESL_NS6_8equal_toIdEEEENSG_9not_fun_tINSD_8identityEEEEENSD_19counting_iterator_tIlEES8_S8_S8_S8_S8_S8_S8_S8_EEEEPS9_S9_NSD_9__find_if7functorIS9_EEEE10hipError_tPvRmT1_T2_T3_mT4_P12ihipStream_tbEUlT_E0_NS1_11comp_targetILNS1_3genE8ELNS1_11target_archE1030ELNS1_3gpuE2ELNS1_3repE0EEENS1_30default_config_static_selectorELNS0_4arch9wavefront6targetE0EEEvS14_,"axG",@progbits,_ZN7rocprim17ROCPRIM_400000_NS6detail17trampoline_kernelINS0_14default_configENS1_22reduce_config_selectorIN6thrust23THRUST_200600_302600_NS5tupleIblNS6_9null_typeES8_S8_S8_S8_S8_S8_S8_EEEEZNS1_11reduce_implILb1ES3_NS6_12zip_iteratorINS7_INS6_11hip_rocprim26transform_input_iterator_tIbNSD_35transform_pair_of_input_iterators_tIbNS6_6detail15normal_iteratorINS6_10device_ptrIKdEEEESL_NS6_8equal_toIdEEEENSG_9not_fun_tINSD_8identityEEEEENSD_19counting_iterator_tIlEES8_S8_S8_S8_S8_S8_S8_S8_EEEEPS9_S9_NSD_9__find_if7functorIS9_EEEE10hipError_tPvRmT1_T2_T3_mT4_P12ihipStream_tbEUlT_E0_NS1_11comp_targetILNS1_3genE8ELNS1_11target_archE1030ELNS1_3gpuE2ELNS1_3repE0EEENS1_30default_config_static_selectorELNS0_4arch9wavefront6targetE0EEEvS14_,comdat
	.protected	_ZN7rocprim17ROCPRIM_400000_NS6detail17trampoline_kernelINS0_14default_configENS1_22reduce_config_selectorIN6thrust23THRUST_200600_302600_NS5tupleIblNS6_9null_typeES8_S8_S8_S8_S8_S8_S8_EEEEZNS1_11reduce_implILb1ES3_NS6_12zip_iteratorINS7_INS6_11hip_rocprim26transform_input_iterator_tIbNSD_35transform_pair_of_input_iterators_tIbNS6_6detail15normal_iteratorINS6_10device_ptrIKdEEEESL_NS6_8equal_toIdEEEENSG_9not_fun_tINSD_8identityEEEEENSD_19counting_iterator_tIlEES8_S8_S8_S8_S8_S8_S8_S8_EEEEPS9_S9_NSD_9__find_if7functorIS9_EEEE10hipError_tPvRmT1_T2_T3_mT4_P12ihipStream_tbEUlT_E0_NS1_11comp_targetILNS1_3genE8ELNS1_11target_archE1030ELNS1_3gpuE2ELNS1_3repE0EEENS1_30default_config_static_selectorELNS0_4arch9wavefront6targetE0EEEvS14_ ; -- Begin function _ZN7rocprim17ROCPRIM_400000_NS6detail17trampoline_kernelINS0_14default_configENS1_22reduce_config_selectorIN6thrust23THRUST_200600_302600_NS5tupleIblNS6_9null_typeES8_S8_S8_S8_S8_S8_S8_EEEEZNS1_11reduce_implILb1ES3_NS6_12zip_iteratorINS7_INS6_11hip_rocprim26transform_input_iterator_tIbNSD_35transform_pair_of_input_iterators_tIbNS6_6detail15normal_iteratorINS6_10device_ptrIKdEEEESL_NS6_8equal_toIdEEEENSG_9not_fun_tINSD_8identityEEEEENSD_19counting_iterator_tIlEES8_S8_S8_S8_S8_S8_S8_S8_EEEEPS9_S9_NSD_9__find_if7functorIS9_EEEE10hipError_tPvRmT1_T2_T3_mT4_P12ihipStream_tbEUlT_E0_NS1_11comp_targetILNS1_3genE8ELNS1_11target_archE1030ELNS1_3gpuE2ELNS1_3repE0EEENS1_30default_config_static_selectorELNS0_4arch9wavefront6targetE0EEEvS14_
	.globl	_ZN7rocprim17ROCPRIM_400000_NS6detail17trampoline_kernelINS0_14default_configENS1_22reduce_config_selectorIN6thrust23THRUST_200600_302600_NS5tupleIblNS6_9null_typeES8_S8_S8_S8_S8_S8_S8_EEEEZNS1_11reduce_implILb1ES3_NS6_12zip_iteratorINS7_INS6_11hip_rocprim26transform_input_iterator_tIbNSD_35transform_pair_of_input_iterators_tIbNS6_6detail15normal_iteratorINS6_10device_ptrIKdEEEESL_NS6_8equal_toIdEEEENSG_9not_fun_tINSD_8identityEEEEENSD_19counting_iterator_tIlEES8_S8_S8_S8_S8_S8_S8_S8_EEEEPS9_S9_NSD_9__find_if7functorIS9_EEEE10hipError_tPvRmT1_T2_T3_mT4_P12ihipStream_tbEUlT_E0_NS1_11comp_targetILNS1_3genE8ELNS1_11target_archE1030ELNS1_3gpuE2ELNS1_3repE0EEENS1_30default_config_static_selectorELNS0_4arch9wavefront6targetE0EEEvS14_
	.p2align	8
	.type	_ZN7rocprim17ROCPRIM_400000_NS6detail17trampoline_kernelINS0_14default_configENS1_22reduce_config_selectorIN6thrust23THRUST_200600_302600_NS5tupleIblNS6_9null_typeES8_S8_S8_S8_S8_S8_S8_EEEEZNS1_11reduce_implILb1ES3_NS6_12zip_iteratorINS7_INS6_11hip_rocprim26transform_input_iterator_tIbNSD_35transform_pair_of_input_iterators_tIbNS6_6detail15normal_iteratorINS6_10device_ptrIKdEEEESL_NS6_8equal_toIdEEEENSG_9not_fun_tINSD_8identityEEEEENSD_19counting_iterator_tIlEES8_S8_S8_S8_S8_S8_S8_S8_EEEEPS9_S9_NSD_9__find_if7functorIS9_EEEE10hipError_tPvRmT1_T2_T3_mT4_P12ihipStream_tbEUlT_E0_NS1_11comp_targetILNS1_3genE8ELNS1_11target_archE1030ELNS1_3gpuE2ELNS1_3repE0EEENS1_30default_config_static_selectorELNS0_4arch9wavefront6targetE0EEEvS14_,@function
_ZN7rocprim17ROCPRIM_400000_NS6detail17trampoline_kernelINS0_14default_configENS1_22reduce_config_selectorIN6thrust23THRUST_200600_302600_NS5tupleIblNS6_9null_typeES8_S8_S8_S8_S8_S8_S8_EEEEZNS1_11reduce_implILb1ES3_NS6_12zip_iteratorINS7_INS6_11hip_rocprim26transform_input_iterator_tIbNSD_35transform_pair_of_input_iterators_tIbNS6_6detail15normal_iteratorINS6_10device_ptrIKdEEEESL_NS6_8equal_toIdEEEENSG_9not_fun_tINSD_8identityEEEEENSD_19counting_iterator_tIlEES8_S8_S8_S8_S8_S8_S8_S8_EEEEPS9_S9_NSD_9__find_if7functorIS9_EEEE10hipError_tPvRmT1_T2_T3_mT4_P12ihipStream_tbEUlT_E0_NS1_11comp_targetILNS1_3genE8ELNS1_11target_archE1030ELNS1_3gpuE2ELNS1_3repE0EEENS1_30default_config_static_selectorELNS0_4arch9wavefront6targetE0EEEvS14_: ; @_ZN7rocprim17ROCPRIM_400000_NS6detail17trampoline_kernelINS0_14default_configENS1_22reduce_config_selectorIN6thrust23THRUST_200600_302600_NS5tupleIblNS6_9null_typeES8_S8_S8_S8_S8_S8_S8_EEEEZNS1_11reduce_implILb1ES3_NS6_12zip_iteratorINS7_INS6_11hip_rocprim26transform_input_iterator_tIbNSD_35transform_pair_of_input_iterators_tIbNS6_6detail15normal_iteratorINS6_10device_ptrIKdEEEESL_NS6_8equal_toIdEEEENSG_9not_fun_tINSD_8identityEEEEENSD_19counting_iterator_tIlEES8_S8_S8_S8_S8_S8_S8_S8_EEEEPS9_S9_NSD_9__find_if7functorIS9_EEEE10hipError_tPvRmT1_T2_T3_mT4_P12ihipStream_tbEUlT_E0_NS1_11comp_targetILNS1_3genE8ELNS1_11target_archE1030ELNS1_3gpuE2ELNS1_3repE0EEENS1_30default_config_static_selectorELNS0_4arch9wavefront6targetE0EEEvS14_
; %bb.0:
	.section	.rodata,"a",@progbits
	.p2align	6, 0x0
	.amdhsa_kernel _ZN7rocprim17ROCPRIM_400000_NS6detail17trampoline_kernelINS0_14default_configENS1_22reduce_config_selectorIN6thrust23THRUST_200600_302600_NS5tupleIblNS6_9null_typeES8_S8_S8_S8_S8_S8_S8_EEEEZNS1_11reduce_implILb1ES3_NS6_12zip_iteratorINS7_INS6_11hip_rocprim26transform_input_iterator_tIbNSD_35transform_pair_of_input_iterators_tIbNS6_6detail15normal_iteratorINS6_10device_ptrIKdEEEESL_NS6_8equal_toIdEEEENSG_9not_fun_tINSD_8identityEEEEENSD_19counting_iterator_tIlEES8_S8_S8_S8_S8_S8_S8_S8_EEEEPS9_S9_NSD_9__find_if7functorIS9_EEEE10hipError_tPvRmT1_T2_T3_mT4_P12ihipStream_tbEUlT_E0_NS1_11comp_targetILNS1_3genE8ELNS1_11target_archE1030ELNS1_3gpuE2ELNS1_3repE0EEENS1_30default_config_static_selectorELNS0_4arch9wavefront6targetE0EEEvS14_
		.amdhsa_group_segment_fixed_size 0
		.amdhsa_private_segment_fixed_size 0
		.amdhsa_kernarg_size 104
		.amdhsa_user_sgpr_count 15
		.amdhsa_user_sgpr_dispatch_ptr 0
		.amdhsa_user_sgpr_queue_ptr 0
		.amdhsa_user_sgpr_kernarg_segment_ptr 1
		.amdhsa_user_sgpr_dispatch_id 0
		.amdhsa_user_sgpr_private_segment_size 0
		.amdhsa_wavefront_size32 1
		.amdhsa_uses_dynamic_stack 0
		.amdhsa_enable_private_segment 0
		.amdhsa_system_sgpr_workgroup_id_x 1
		.amdhsa_system_sgpr_workgroup_id_y 0
		.amdhsa_system_sgpr_workgroup_id_z 0
		.amdhsa_system_sgpr_workgroup_info 0
		.amdhsa_system_vgpr_workitem_id 0
		.amdhsa_next_free_vgpr 1
		.amdhsa_next_free_sgpr 1
		.amdhsa_reserve_vcc 0
		.amdhsa_float_round_mode_32 0
		.amdhsa_float_round_mode_16_64 0
		.amdhsa_float_denorm_mode_32 3
		.amdhsa_float_denorm_mode_16_64 3
		.amdhsa_dx10_clamp 1
		.amdhsa_ieee_mode 1
		.amdhsa_fp16_overflow 0
		.amdhsa_workgroup_processor_mode 1
		.amdhsa_memory_ordered 1
		.amdhsa_forward_progress 0
		.amdhsa_shared_vgpr_count 0
		.amdhsa_exception_fp_ieee_invalid_op 0
		.amdhsa_exception_fp_denorm_src 0
		.amdhsa_exception_fp_ieee_div_zero 0
		.amdhsa_exception_fp_ieee_overflow 0
		.amdhsa_exception_fp_ieee_underflow 0
		.amdhsa_exception_fp_ieee_inexact 0
		.amdhsa_exception_int_div_zero 0
	.end_amdhsa_kernel
	.section	.text._ZN7rocprim17ROCPRIM_400000_NS6detail17trampoline_kernelINS0_14default_configENS1_22reduce_config_selectorIN6thrust23THRUST_200600_302600_NS5tupleIblNS6_9null_typeES8_S8_S8_S8_S8_S8_S8_EEEEZNS1_11reduce_implILb1ES3_NS6_12zip_iteratorINS7_INS6_11hip_rocprim26transform_input_iterator_tIbNSD_35transform_pair_of_input_iterators_tIbNS6_6detail15normal_iteratorINS6_10device_ptrIKdEEEESL_NS6_8equal_toIdEEEENSG_9not_fun_tINSD_8identityEEEEENSD_19counting_iterator_tIlEES8_S8_S8_S8_S8_S8_S8_S8_EEEEPS9_S9_NSD_9__find_if7functorIS9_EEEE10hipError_tPvRmT1_T2_T3_mT4_P12ihipStream_tbEUlT_E0_NS1_11comp_targetILNS1_3genE8ELNS1_11target_archE1030ELNS1_3gpuE2ELNS1_3repE0EEENS1_30default_config_static_selectorELNS0_4arch9wavefront6targetE0EEEvS14_,"axG",@progbits,_ZN7rocprim17ROCPRIM_400000_NS6detail17trampoline_kernelINS0_14default_configENS1_22reduce_config_selectorIN6thrust23THRUST_200600_302600_NS5tupleIblNS6_9null_typeES8_S8_S8_S8_S8_S8_S8_EEEEZNS1_11reduce_implILb1ES3_NS6_12zip_iteratorINS7_INS6_11hip_rocprim26transform_input_iterator_tIbNSD_35transform_pair_of_input_iterators_tIbNS6_6detail15normal_iteratorINS6_10device_ptrIKdEEEESL_NS6_8equal_toIdEEEENSG_9not_fun_tINSD_8identityEEEEENSD_19counting_iterator_tIlEES8_S8_S8_S8_S8_S8_S8_S8_EEEEPS9_S9_NSD_9__find_if7functorIS9_EEEE10hipError_tPvRmT1_T2_T3_mT4_P12ihipStream_tbEUlT_E0_NS1_11comp_targetILNS1_3genE8ELNS1_11target_archE1030ELNS1_3gpuE2ELNS1_3repE0EEENS1_30default_config_static_selectorELNS0_4arch9wavefront6targetE0EEEvS14_,comdat
.Lfunc_end434:
	.size	_ZN7rocprim17ROCPRIM_400000_NS6detail17trampoline_kernelINS0_14default_configENS1_22reduce_config_selectorIN6thrust23THRUST_200600_302600_NS5tupleIblNS6_9null_typeES8_S8_S8_S8_S8_S8_S8_EEEEZNS1_11reduce_implILb1ES3_NS6_12zip_iteratorINS7_INS6_11hip_rocprim26transform_input_iterator_tIbNSD_35transform_pair_of_input_iterators_tIbNS6_6detail15normal_iteratorINS6_10device_ptrIKdEEEESL_NS6_8equal_toIdEEEENSG_9not_fun_tINSD_8identityEEEEENSD_19counting_iterator_tIlEES8_S8_S8_S8_S8_S8_S8_S8_EEEEPS9_S9_NSD_9__find_if7functorIS9_EEEE10hipError_tPvRmT1_T2_T3_mT4_P12ihipStream_tbEUlT_E0_NS1_11comp_targetILNS1_3genE8ELNS1_11target_archE1030ELNS1_3gpuE2ELNS1_3repE0EEENS1_30default_config_static_selectorELNS0_4arch9wavefront6targetE0EEEvS14_, .Lfunc_end434-_ZN7rocprim17ROCPRIM_400000_NS6detail17trampoline_kernelINS0_14default_configENS1_22reduce_config_selectorIN6thrust23THRUST_200600_302600_NS5tupleIblNS6_9null_typeES8_S8_S8_S8_S8_S8_S8_EEEEZNS1_11reduce_implILb1ES3_NS6_12zip_iteratorINS7_INS6_11hip_rocprim26transform_input_iterator_tIbNSD_35transform_pair_of_input_iterators_tIbNS6_6detail15normal_iteratorINS6_10device_ptrIKdEEEESL_NS6_8equal_toIdEEEENSG_9not_fun_tINSD_8identityEEEEENSD_19counting_iterator_tIlEES8_S8_S8_S8_S8_S8_S8_S8_EEEEPS9_S9_NSD_9__find_if7functorIS9_EEEE10hipError_tPvRmT1_T2_T3_mT4_P12ihipStream_tbEUlT_E0_NS1_11comp_targetILNS1_3genE8ELNS1_11target_archE1030ELNS1_3gpuE2ELNS1_3repE0EEENS1_30default_config_static_selectorELNS0_4arch9wavefront6targetE0EEEvS14_
                                        ; -- End function
	.section	.AMDGPU.csdata,"",@progbits
; Kernel info:
; codeLenInByte = 0
; NumSgprs: 0
; NumVgprs: 0
; ScratchSize: 0
; MemoryBound: 0
; FloatMode: 240
; IeeeMode: 1
; LDSByteSize: 0 bytes/workgroup (compile time only)
; SGPRBlocks: 0
; VGPRBlocks: 0
; NumSGPRsForWavesPerEU: 1
; NumVGPRsForWavesPerEU: 1
; Occupancy: 16
; WaveLimiterHint : 0
; COMPUTE_PGM_RSRC2:SCRATCH_EN: 0
; COMPUTE_PGM_RSRC2:USER_SGPR: 15
; COMPUTE_PGM_RSRC2:TRAP_HANDLER: 0
; COMPUTE_PGM_RSRC2:TGID_X_EN: 1
; COMPUTE_PGM_RSRC2:TGID_Y_EN: 0
; COMPUTE_PGM_RSRC2:TGID_Z_EN: 0
; COMPUTE_PGM_RSRC2:TIDIG_COMP_CNT: 0
	.section	.text._ZN7rocprim17ROCPRIM_400000_NS6detail17trampoline_kernelINS0_14default_configENS1_22reduce_config_selectorIN6thrust23THRUST_200600_302600_NS5tupleIblNS6_9null_typeES8_S8_S8_S8_S8_S8_S8_EEEEZNS1_11reduce_implILb1ES3_NS6_12zip_iteratorINS7_INS6_11hip_rocprim26transform_input_iterator_tIbNSD_35transform_pair_of_input_iterators_tIbNS6_6detail15normal_iteratorINS6_10device_ptrIKdEEEESL_NS6_8equal_toIdEEEENSG_9not_fun_tINSD_8identityEEEEENSD_19counting_iterator_tIlEES8_S8_S8_S8_S8_S8_S8_S8_EEEEPS9_S9_NSD_9__find_if7functorIS9_EEEE10hipError_tPvRmT1_T2_T3_mT4_P12ihipStream_tbEUlT_E1_NS1_11comp_targetILNS1_3genE0ELNS1_11target_archE4294967295ELNS1_3gpuE0ELNS1_3repE0EEENS1_30default_config_static_selectorELNS0_4arch9wavefront6targetE0EEEvS14_,"axG",@progbits,_ZN7rocprim17ROCPRIM_400000_NS6detail17trampoline_kernelINS0_14default_configENS1_22reduce_config_selectorIN6thrust23THRUST_200600_302600_NS5tupleIblNS6_9null_typeES8_S8_S8_S8_S8_S8_S8_EEEEZNS1_11reduce_implILb1ES3_NS6_12zip_iteratorINS7_INS6_11hip_rocprim26transform_input_iterator_tIbNSD_35transform_pair_of_input_iterators_tIbNS6_6detail15normal_iteratorINS6_10device_ptrIKdEEEESL_NS6_8equal_toIdEEEENSG_9not_fun_tINSD_8identityEEEEENSD_19counting_iterator_tIlEES8_S8_S8_S8_S8_S8_S8_S8_EEEEPS9_S9_NSD_9__find_if7functorIS9_EEEE10hipError_tPvRmT1_T2_T3_mT4_P12ihipStream_tbEUlT_E1_NS1_11comp_targetILNS1_3genE0ELNS1_11target_archE4294967295ELNS1_3gpuE0ELNS1_3repE0EEENS1_30default_config_static_selectorELNS0_4arch9wavefront6targetE0EEEvS14_,comdat
	.protected	_ZN7rocprim17ROCPRIM_400000_NS6detail17trampoline_kernelINS0_14default_configENS1_22reduce_config_selectorIN6thrust23THRUST_200600_302600_NS5tupleIblNS6_9null_typeES8_S8_S8_S8_S8_S8_S8_EEEEZNS1_11reduce_implILb1ES3_NS6_12zip_iteratorINS7_INS6_11hip_rocprim26transform_input_iterator_tIbNSD_35transform_pair_of_input_iterators_tIbNS6_6detail15normal_iteratorINS6_10device_ptrIKdEEEESL_NS6_8equal_toIdEEEENSG_9not_fun_tINSD_8identityEEEEENSD_19counting_iterator_tIlEES8_S8_S8_S8_S8_S8_S8_S8_EEEEPS9_S9_NSD_9__find_if7functorIS9_EEEE10hipError_tPvRmT1_T2_T3_mT4_P12ihipStream_tbEUlT_E1_NS1_11comp_targetILNS1_3genE0ELNS1_11target_archE4294967295ELNS1_3gpuE0ELNS1_3repE0EEENS1_30default_config_static_selectorELNS0_4arch9wavefront6targetE0EEEvS14_ ; -- Begin function _ZN7rocprim17ROCPRIM_400000_NS6detail17trampoline_kernelINS0_14default_configENS1_22reduce_config_selectorIN6thrust23THRUST_200600_302600_NS5tupleIblNS6_9null_typeES8_S8_S8_S8_S8_S8_S8_EEEEZNS1_11reduce_implILb1ES3_NS6_12zip_iteratorINS7_INS6_11hip_rocprim26transform_input_iterator_tIbNSD_35transform_pair_of_input_iterators_tIbNS6_6detail15normal_iteratorINS6_10device_ptrIKdEEEESL_NS6_8equal_toIdEEEENSG_9not_fun_tINSD_8identityEEEEENSD_19counting_iterator_tIlEES8_S8_S8_S8_S8_S8_S8_S8_EEEEPS9_S9_NSD_9__find_if7functorIS9_EEEE10hipError_tPvRmT1_T2_T3_mT4_P12ihipStream_tbEUlT_E1_NS1_11comp_targetILNS1_3genE0ELNS1_11target_archE4294967295ELNS1_3gpuE0ELNS1_3repE0EEENS1_30default_config_static_selectorELNS0_4arch9wavefront6targetE0EEEvS14_
	.globl	_ZN7rocprim17ROCPRIM_400000_NS6detail17trampoline_kernelINS0_14default_configENS1_22reduce_config_selectorIN6thrust23THRUST_200600_302600_NS5tupleIblNS6_9null_typeES8_S8_S8_S8_S8_S8_S8_EEEEZNS1_11reduce_implILb1ES3_NS6_12zip_iteratorINS7_INS6_11hip_rocprim26transform_input_iterator_tIbNSD_35transform_pair_of_input_iterators_tIbNS6_6detail15normal_iteratorINS6_10device_ptrIKdEEEESL_NS6_8equal_toIdEEEENSG_9not_fun_tINSD_8identityEEEEENSD_19counting_iterator_tIlEES8_S8_S8_S8_S8_S8_S8_S8_EEEEPS9_S9_NSD_9__find_if7functorIS9_EEEE10hipError_tPvRmT1_T2_T3_mT4_P12ihipStream_tbEUlT_E1_NS1_11comp_targetILNS1_3genE0ELNS1_11target_archE4294967295ELNS1_3gpuE0ELNS1_3repE0EEENS1_30default_config_static_selectorELNS0_4arch9wavefront6targetE0EEEvS14_
	.p2align	8
	.type	_ZN7rocprim17ROCPRIM_400000_NS6detail17trampoline_kernelINS0_14default_configENS1_22reduce_config_selectorIN6thrust23THRUST_200600_302600_NS5tupleIblNS6_9null_typeES8_S8_S8_S8_S8_S8_S8_EEEEZNS1_11reduce_implILb1ES3_NS6_12zip_iteratorINS7_INS6_11hip_rocprim26transform_input_iterator_tIbNSD_35transform_pair_of_input_iterators_tIbNS6_6detail15normal_iteratorINS6_10device_ptrIKdEEEESL_NS6_8equal_toIdEEEENSG_9not_fun_tINSD_8identityEEEEENSD_19counting_iterator_tIlEES8_S8_S8_S8_S8_S8_S8_S8_EEEEPS9_S9_NSD_9__find_if7functorIS9_EEEE10hipError_tPvRmT1_T2_T3_mT4_P12ihipStream_tbEUlT_E1_NS1_11comp_targetILNS1_3genE0ELNS1_11target_archE4294967295ELNS1_3gpuE0ELNS1_3repE0EEENS1_30default_config_static_selectorELNS0_4arch9wavefront6targetE0EEEvS14_,@function
_ZN7rocprim17ROCPRIM_400000_NS6detail17trampoline_kernelINS0_14default_configENS1_22reduce_config_selectorIN6thrust23THRUST_200600_302600_NS5tupleIblNS6_9null_typeES8_S8_S8_S8_S8_S8_S8_EEEEZNS1_11reduce_implILb1ES3_NS6_12zip_iteratorINS7_INS6_11hip_rocprim26transform_input_iterator_tIbNSD_35transform_pair_of_input_iterators_tIbNS6_6detail15normal_iteratorINS6_10device_ptrIKdEEEESL_NS6_8equal_toIdEEEENSG_9not_fun_tINSD_8identityEEEEENSD_19counting_iterator_tIlEES8_S8_S8_S8_S8_S8_S8_S8_EEEEPS9_S9_NSD_9__find_if7functorIS9_EEEE10hipError_tPvRmT1_T2_T3_mT4_P12ihipStream_tbEUlT_E1_NS1_11comp_targetILNS1_3genE0ELNS1_11target_archE4294967295ELNS1_3gpuE0ELNS1_3repE0EEENS1_30default_config_static_selectorELNS0_4arch9wavefront6targetE0EEEvS14_: ; @_ZN7rocprim17ROCPRIM_400000_NS6detail17trampoline_kernelINS0_14default_configENS1_22reduce_config_selectorIN6thrust23THRUST_200600_302600_NS5tupleIblNS6_9null_typeES8_S8_S8_S8_S8_S8_S8_EEEEZNS1_11reduce_implILb1ES3_NS6_12zip_iteratorINS7_INS6_11hip_rocprim26transform_input_iterator_tIbNSD_35transform_pair_of_input_iterators_tIbNS6_6detail15normal_iteratorINS6_10device_ptrIKdEEEESL_NS6_8equal_toIdEEEENSG_9not_fun_tINSD_8identityEEEEENSD_19counting_iterator_tIlEES8_S8_S8_S8_S8_S8_S8_S8_EEEEPS9_S9_NSD_9__find_if7functorIS9_EEEE10hipError_tPvRmT1_T2_T3_mT4_P12ihipStream_tbEUlT_E1_NS1_11comp_targetILNS1_3genE0ELNS1_11target_archE4294967295ELNS1_3gpuE0ELNS1_3repE0EEENS1_30default_config_static_selectorELNS0_4arch9wavefront6targetE0EEEvS14_
; %bb.0:
	.section	.rodata,"a",@progbits
	.p2align	6, 0x0
	.amdhsa_kernel _ZN7rocprim17ROCPRIM_400000_NS6detail17trampoline_kernelINS0_14default_configENS1_22reduce_config_selectorIN6thrust23THRUST_200600_302600_NS5tupleIblNS6_9null_typeES8_S8_S8_S8_S8_S8_S8_EEEEZNS1_11reduce_implILb1ES3_NS6_12zip_iteratorINS7_INS6_11hip_rocprim26transform_input_iterator_tIbNSD_35transform_pair_of_input_iterators_tIbNS6_6detail15normal_iteratorINS6_10device_ptrIKdEEEESL_NS6_8equal_toIdEEEENSG_9not_fun_tINSD_8identityEEEEENSD_19counting_iterator_tIlEES8_S8_S8_S8_S8_S8_S8_S8_EEEEPS9_S9_NSD_9__find_if7functorIS9_EEEE10hipError_tPvRmT1_T2_T3_mT4_P12ihipStream_tbEUlT_E1_NS1_11comp_targetILNS1_3genE0ELNS1_11target_archE4294967295ELNS1_3gpuE0ELNS1_3repE0EEENS1_30default_config_static_selectorELNS0_4arch9wavefront6targetE0EEEvS14_
		.amdhsa_group_segment_fixed_size 0
		.amdhsa_private_segment_fixed_size 0
		.amdhsa_kernarg_size 88
		.amdhsa_user_sgpr_count 15
		.amdhsa_user_sgpr_dispatch_ptr 0
		.amdhsa_user_sgpr_queue_ptr 0
		.amdhsa_user_sgpr_kernarg_segment_ptr 1
		.amdhsa_user_sgpr_dispatch_id 0
		.amdhsa_user_sgpr_private_segment_size 0
		.amdhsa_wavefront_size32 1
		.amdhsa_uses_dynamic_stack 0
		.amdhsa_enable_private_segment 0
		.amdhsa_system_sgpr_workgroup_id_x 1
		.amdhsa_system_sgpr_workgroup_id_y 0
		.amdhsa_system_sgpr_workgroup_id_z 0
		.amdhsa_system_sgpr_workgroup_info 0
		.amdhsa_system_vgpr_workitem_id 0
		.amdhsa_next_free_vgpr 1
		.amdhsa_next_free_sgpr 1
		.amdhsa_reserve_vcc 0
		.amdhsa_float_round_mode_32 0
		.amdhsa_float_round_mode_16_64 0
		.amdhsa_float_denorm_mode_32 3
		.amdhsa_float_denorm_mode_16_64 3
		.amdhsa_dx10_clamp 1
		.amdhsa_ieee_mode 1
		.amdhsa_fp16_overflow 0
		.amdhsa_workgroup_processor_mode 1
		.amdhsa_memory_ordered 1
		.amdhsa_forward_progress 0
		.amdhsa_shared_vgpr_count 0
		.amdhsa_exception_fp_ieee_invalid_op 0
		.amdhsa_exception_fp_denorm_src 0
		.amdhsa_exception_fp_ieee_div_zero 0
		.amdhsa_exception_fp_ieee_overflow 0
		.amdhsa_exception_fp_ieee_underflow 0
		.amdhsa_exception_fp_ieee_inexact 0
		.amdhsa_exception_int_div_zero 0
	.end_amdhsa_kernel
	.section	.text._ZN7rocprim17ROCPRIM_400000_NS6detail17trampoline_kernelINS0_14default_configENS1_22reduce_config_selectorIN6thrust23THRUST_200600_302600_NS5tupleIblNS6_9null_typeES8_S8_S8_S8_S8_S8_S8_EEEEZNS1_11reduce_implILb1ES3_NS6_12zip_iteratorINS7_INS6_11hip_rocprim26transform_input_iterator_tIbNSD_35transform_pair_of_input_iterators_tIbNS6_6detail15normal_iteratorINS6_10device_ptrIKdEEEESL_NS6_8equal_toIdEEEENSG_9not_fun_tINSD_8identityEEEEENSD_19counting_iterator_tIlEES8_S8_S8_S8_S8_S8_S8_S8_EEEEPS9_S9_NSD_9__find_if7functorIS9_EEEE10hipError_tPvRmT1_T2_T3_mT4_P12ihipStream_tbEUlT_E1_NS1_11comp_targetILNS1_3genE0ELNS1_11target_archE4294967295ELNS1_3gpuE0ELNS1_3repE0EEENS1_30default_config_static_selectorELNS0_4arch9wavefront6targetE0EEEvS14_,"axG",@progbits,_ZN7rocprim17ROCPRIM_400000_NS6detail17trampoline_kernelINS0_14default_configENS1_22reduce_config_selectorIN6thrust23THRUST_200600_302600_NS5tupleIblNS6_9null_typeES8_S8_S8_S8_S8_S8_S8_EEEEZNS1_11reduce_implILb1ES3_NS6_12zip_iteratorINS7_INS6_11hip_rocprim26transform_input_iterator_tIbNSD_35transform_pair_of_input_iterators_tIbNS6_6detail15normal_iteratorINS6_10device_ptrIKdEEEESL_NS6_8equal_toIdEEEENSG_9not_fun_tINSD_8identityEEEEENSD_19counting_iterator_tIlEES8_S8_S8_S8_S8_S8_S8_S8_EEEEPS9_S9_NSD_9__find_if7functorIS9_EEEE10hipError_tPvRmT1_T2_T3_mT4_P12ihipStream_tbEUlT_E1_NS1_11comp_targetILNS1_3genE0ELNS1_11target_archE4294967295ELNS1_3gpuE0ELNS1_3repE0EEENS1_30default_config_static_selectorELNS0_4arch9wavefront6targetE0EEEvS14_,comdat
.Lfunc_end435:
	.size	_ZN7rocprim17ROCPRIM_400000_NS6detail17trampoline_kernelINS0_14default_configENS1_22reduce_config_selectorIN6thrust23THRUST_200600_302600_NS5tupleIblNS6_9null_typeES8_S8_S8_S8_S8_S8_S8_EEEEZNS1_11reduce_implILb1ES3_NS6_12zip_iteratorINS7_INS6_11hip_rocprim26transform_input_iterator_tIbNSD_35transform_pair_of_input_iterators_tIbNS6_6detail15normal_iteratorINS6_10device_ptrIKdEEEESL_NS6_8equal_toIdEEEENSG_9not_fun_tINSD_8identityEEEEENSD_19counting_iterator_tIlEES8_S8_S8_S8_S8_S8_S8_S8_EEEEPS9_S9_NSD_9__find_if7functorIS9_EEEE10hipError_tPvRmT1_T2_T3_mT4_P12ihipStream_tbEUlT_E1_NS1_11comp_targetILNS1_3genE0ELNS1_11target_archE4294967295ELNS1_3gpuE0ELNS1_3repE0EEENS1_30default_config_static_selectorELNS0_4arch9wavefront6targetE0EEEvS14_, .Lfunc_end435-_ZN7rocprim17ROCPRIM_400000_NS6detail17trampoline_kernelINS0_14default_configENS1_22reduce_config_selectorIN6thrust23THRUST_200600_302600_NS5tupleIblNS6_9null_typeES8_S8_S8_S8_S8_S8_S8_EEEEZNS1_11reduce_implILb1ES3_NS6_12zip_iteratorINS7_INS6_11hip_rocprim26transform_input_iterator_tIbNSD_35transform_pair_of_input_iterators_tIbNS6_6detail15normal_iteratorINS6_10device_ptrIKdEEEESL_NS6_8equal_toIdEEEENSG_9not_fun_tINSD_8identityEEEEENSD_19counting_iterator_tIlEES8_S8_S8_S8_S8_S8_S8_S8_EEEEPS9_S9_NSD_9__find_if7functorIS9_EEEE10hipError_tPvRmT1_T2_T3_mT4_P12ihipStream_tbEUlT_E1_NS1_11comp_targetILNS1_3genE0ELNS1_11target_archE4294967295ELNS1_3gpuE0ELNS1_3repE0EEENS1_30default_config_static_selectorELNS0_4arch9wavefront6targetE0EEEvS14_
                                        ; -- End function
	.section	.AMDGPU.csdata,"",@progbits
; Kernel info:
; codeLenInByte = 0
; NumSgprs: 0
; NumVgprs: 0
; ScratchSize: 0
; MemoryBound: 0
; FloatMode: 240
; IeeeMode: 1
; LDSByteSize: 0 bytes/workgroup (compile time only)
; SGPRBlocks: 0
; VGPRBlocks: 0
; NumSGPRsForWavesPerEU: 1
; NumVGPRsForWavesPerEU: 1
; Occupancy: 16
; WaveLimiterHint : 0
; COMPUTE_PGM_RSRC2:SCRATCH_EN: 0
; COMPUTE_PGM_RSRC2:USER_SGPR: 15
; COMPUTE_PGM_RSRC2:TRAP_HANDLER: 0
; COMPUTE_PGM_RSRC2:TGID_X_EN: 1
; COMPUTE_PGM_RSRC2:TGID_Y_EN: 0
; COMPUTE_PGM_RSRC2:TGID_Z_EN: 0
; COMPUTE_PGM_RSRC2:TIDIG_COMP_CNT: 0
	.section	.text._ZN7rocprim17ROCPRIM_400000_NS6detail17trampoline_kernelINS0_14default_configENS1_22reduce_config_selectorIN6thrust23THRUST_200600_302600_NS5tupleIblNS6_9null_typeES8_S8_S8_S8_S8_S8_S8_EEEEZNS1_11reduce_implILb1ES3_NS6_12zip_iteratorINS7_INS6_11hip_rocprim26transform_input_iterator_tIbNSD_35transform_pair_of_input_iterators_tIbNS6_6detail15normal_iteratorINS6_10device_ptrIKdEEEESL_NS6_8equal_toIdEEEENSG_9not_fun_tINSD_8identityEEEEENSD_19counting_iterator_tIlEES8_S8_S8_S8_S8_S8_S8_S8_EEEEPS9_S9_NSD_9__find_if7functorIS9_EEEE10hipError_tPvRmT1_T2_T3_mT4_P12ihipStream_tbEUlT_E1_NS1_11comp_targetILNS1_3genE5ELNS1_11target_archE942ELNS1_3gpuE9ELNS1_3repE0EEENS1_30default_config_static_selectorELNS0_4arch9wavefront6targetE0EEEvS14_,"axG",@progbits,_ZN7rocprim17ROCPRIM_400000_NS6detail17trampoline_kernelINS0_14default_configENS1_22reduce_config_selectorIN6thrust23THRUST_200600_302600_NS5tupleIblNS6_9null_typeES8_S8_S8_S8_S8_S8_S8_EEEEZNS1_11reduce_implILb1ES3_NS6_12zip_iteratorINS7_INS6_11hip_rocprim26transform_input_iterator_tIbNSD_35transform_pair_of_input_iterators_tIbNS6_6detail15normal_iteratorINS6_10device_ptrIKdEEEESL_NS6_8equal_toIdEEEENSG_9not_fun_tINSD_8identityEEEEENSD_19counting_iterator_tIlEES8_S8_S8_S8_S8_S8_S8_S8_EEEEPS9_S9_NSD_9__find_if7functorIS9_EEEE10hipError_tPvRmT1_T2_T3_mT4_P12ihipStream_tbEUlT_E1_NS1_11comp_targetILNS1_3genE5ELNS1_11target_archE942ELNS1_3gpuE9ELNS1_3repE0EEENS1_30default_config_static_selectorELNS0_4arch9wavefront6targetE0EEEvS14_,comdat
	.protected	_ZN7rocprim17ROCPRIM_400000_NS6detail17trampoline_kernelINS0_14default_configENS1_22reduce_config_selectorIN6thrust23THRUST_200600_302600_NS5tupleIblNS6_9null_typeES8_S8_S8_S8_S8_S8_S8_EEEEZNS1_11reduce_implILb1ES3_NS6_12zip_iteratorINS7_INS6_11hip_rocprim26transform_input_iterator_tIbNSD_35transform_pair_of_input_iterators_tIbNS6_6detail15normal_iteratorINS6_10device_ptrIKdEEEESL_NS6_8equal_toIdEEEENSG_9not_fun_tINSD_8identityEEEEENSD_19counting_iterator_tIlEES8_S8_S8_S8_S8_S8_S8_S8_EEEEPS9_S9_NSD_9__find_if7functorIS9_EEEE10hipError_tPvRmT1_T2_T3_mT4_P12ihipStream_tbEUlT_E1_NS1_11comp_targetILNS1_3genE5ELNS1_11target_archE942ELNS1_3gpuE9ELNS1_3repE0EEENS1_30default_config_static_selectorELNS0_4arch9wavefront6targetE0EEEvS14_ ; -- Begin function _ZN7rocprim17ROCPRIM_400000_NS6detail17trampoline_kernelINS0_14default_configENS1_22reduce_config_selectorIN6thrust23THRUST_200600_302600_NS5tupleIblNS6_9null_typeES8_S8_S8_S8_S8_S8_S8_EEEEZNS1_11reduce_implILb1ES3_NS6_12zip_iteratorINS7_INS6_11hip_rocprim26transform_input_iterator_tIbNSD_35transform_pair_of_input_iterators_tIbNS6_6detail15normal_iteratorINS6_10device_ptrIKdEEEESL_NS6_8equal_toIdEEEENSG_9not_fun_tINSD_8identityEEEEENSD_19counting_iterator_tIlEES8_S8_S8_S8_S8_S8_S8_S8_EEEEPS9_S9_NSD_9__find_if7functorIS9_EEEE10hipError_tPvRmT1_T2_T3_mT4_P12ihipStream_tbEUlT_E1_NS1_11comp_targetILNS1_3genE5ELNS1_11target_archE942ELNS1_3gpuE9ELNS1_3repE0EEENS1_30default_config_static_selectorELNS0_4arch9wavefront6targetE0EEEvS14_
	.globl	_ZN7rocprim17ROCPRIM_400000_NS6detail17trampoline_kernelINS0_14default_configENS1_22reduce_config_selectorIN6thrust23THRUST_200600_302600_NS5tupleIblNS6_9null_typeES8_S8_S8_S8_S8_S8_S8_EEEEZNS1_11reduce_implILb1ES3_NS6_12zip_iteratorINS7_INS6_11hip_rocprim26transform_input_iterator_tIbNSD_35transform_pair_of_input_iterators_tIbNS6_6detail15normal_iteratorINS6_10device_ptrIKdEEEESL_NS6_8equal_toIdEEEENSG_9not_fun_tINSD_8identityEEEEENSD_19counting_iterator_tIlEES8_S8_S8_S8_S8_S8_S8_S8_EEEEPS9_S9_NSD_9__find_if7functorIS9_EEEE10hipError_tPvRmT1_T2_T3_mT4_P12ihipStream_tbEUlT_E1_NS1_11comp_targetILNS1_3genE5ELNS1_11target_archE942ELNS1_3gpuE9ELNS1_3repE0EEENS1_30default_config_static_selectorELNS0_4arch9wavefront6targetE0EEEvS14_
	.p2align	8
	.type	_ZN7rocprim17ROCPRIM_400000_NS6detail17trampoline_kernelINS0_14default_configENS1_22reduce_config_selectorIN6thrust23THRUST_200600_302600_NS5tupleIblNS6_9null_typeES8_S8_S8_S8_S8_S8_S8_EEEEZNS1_11reduce_implILb1ES3_NS6_12zip_iteratorINS7_INS6_11hip_rocprim26transform_input_iterator_tIbNSD_35transform_pair_of_input_iterators_tIbNS6_6detail15normal_iteratorINS6_10device_ptrIKdEEEESL_NS6_8equal_toIdEEEENSG_9not_fun_tINSD_8identityEEEEENSD_19counting_iterator_tIlEES8_S8_S8_S8_S8_S8_S8_S8_EEEEPS9_S9_NSD_9__find_if7functorIS9_EEEE10hipError_tPvRmT1_T2_T3_mT4_P12ihipStream_tbEUlT_E1_NS1_11comp_targetILNS1_3genE5ELNS1_11target_archE942ELNS1_3gpuE9ELNS1_3repE0EEENS1_30default_config_static_selectorELNS0_4arch9wavefront6targetE0EEEvS14_,@function
_ZN7rocprim17ROCPRIM_400000_NS6detail17trampoline_kernelINS0_14default_configENS1_22reduce_config_selectorIN6thrust23THRUST_200600_302600_NS5tupleIblNS6_9null_typeES8_S8_S8_S8_S8_S8_S8_EEEEZNS1_11reduce_implILb1ES3_NS6_12zip_iteratorINS7_INS6_11hip_rocprim26transform_input_iterator_tIbNSD_35transform_pair_of_input_iterators_tIbNS6_6detail15normal_iteratorINS6_10device_ptrIKdEEEESL_NS6_8equal_toIdEEEENSG_9not_fun_tINSD_8identityEEEEENSD_19counting_iterator_tIlEES8_S8_S8_S8_S8_S8_S8_S8_EEEEPS9_S9_NSD_9__find_if7functorIS9_EEEE10hipError_tPvRmT1_T2_T3_mT4_P12ihipStream_tbEUlT_E1_NS1_11comp_targetILNS1_3genE5ELNS1_11target_archE942ELNS1_3gpuE9ELNS1_3repE0EEENS1_30default_config_static_selectorELNS0_4arch9wavefront6targetE0EEEvS14_: ; @_ZN7rocprim17ROCPRIM_400000_NS6detail17trampoline_kernelINS0_14default_configENS1_22reduce_config_selectorIN6thrust23THRUST_200600_302600_NS5tupleIblNS6_9null_typeES8_S8_S8_S8_S8_S8_S8_EEEEZNS1_11reduce_implILb1ES3_NS6_12zip_iteratorINS7_INS6_11hip_rocprim26transform_input_iterator_tIbNSD_35transform_pair_of_input_iterators_tIbNS6_6detail15normal_iteratorINS6_10device_ptrIKdEEEESL_NS6_8equal_toIdEEEENSG_9not_fun_tINSD_8identityEEEEENSD_19counting_iterator_tIlEES8_S8_S8_S8_S8_S8_S8_S8_EEEEPS9_S9_NSD_9__find_if7functorIS9_EEEE10hipError_tPvRmT1_T2_T3_mT4_P12ihipStream_tbEUlT_E1_NS1_11comp_targetILNS1_3genE5ELNS1_11target_archE942ELNS1_3gpuE9ELNS1_3repE0EEENS1_30default_config_static_selectorELNS0_4arch9wavefront6targetE0EEEvS14_
; %bb.0:
	.section	.rodata,"a",@progbits
	.p2align	6, 0x0
	.amdhsa_kernel _ZN7rocprim17ROCPRIM_400000_NS6detail17trampoline_kernelINS0_14default_configENS1_22reduce_config_selectorIN6thrust23THRUST_200600_302600_NS5tupleIblNS6_9null_typeES8_S8_S8_S8_S8_S8_S8_EEEEZNS1_11reduce_implILb1ES3_NS6_12zip_iteratorINS7_INS6_11hip_rocprim26transform_input_iterator_tIbNSD_35transform_pair_of_input_iterators_tIbNS6_6detail15normal_iteratorINS6_10device_ptrIKdEEEESL_NS6_8equal_toIdEEEENSG_9not_fun_tINSD_8identityEEEEENSD_19counting_iterator_tIlEES8_S8_S8_S8_S8_S8_S8_S8_EEEEPS9_S9_NSD_9__find_if7functorIS9_EEEE10hipError_tPvRmT1_T2_T3_mT4_P12ihipStream_tbEUlT_E1_NS1_11comp_targetILNS1_3genE5ELNS1_11target_archE942ELNS1_3gpuE9ELNS1_3repE0EEENS1_30default_config_static_selectorELNS0_4arch9wavefront6targetE0EEEvS14_
		.amdhsa_group_segment_fixed_size 0
		.amdhsa_private_segment_fixed_size 0
		.amdhsa_kernarg_size 88
		.amdhsa_user_sgpr_count 15
		.amdhsa_user_sgpr_dispatch_ptr 0
		.amdhsa_user_sgpr_queue_ptr 0
		.amdhsa_user_sgpr_kernarg_segment_ptr 1
		.amdhsa_user_sgpr_dispatch_id 0
		.amdhsa_user_sgpr_private_segment_size 0
		.amdhsa_wavefront_size32 1
		.amdhsa_uses_dynamic_stack 0
		.amdhsa_enable_private_segment 0
		.amdhsa_system_sgpr_workgroup_id_x 1
		.amdhsa_system_sgpr_workgroup_id_y 0
		.amdhsa_system_sgpr_workgroup_id_z 0
		.amdhsa_system_sgpr_workgroup_info 0
		.amdhsa_system_vgpr_workitem_id 0
		.amdhsa_next_free_vgpr 1
		.amdhsa_next_free_sgpr 1
		.amdhsa_reserve_vcc 0
		.amdhsa_float_round_mode_32 0
		.amdhsa_float_round_mode_16_64 0
		.amdhsa_float_denorm_mode_32 3
		.amdhsa_float_denorm_mode_16_64 3
		.amdhsa_dx10_clamp 1
		.amdhsa_ieee_mode 1
		.amdhsa_fp16_overflow 0
		.amdhsa_workgroup_processor_mode 1
		.amdhsa_memory_ordered 1
		.amdhsa_forward_progress 0
		.amdhsa_shared_vgpr_count 0
		.amdhsa_exception_fp_ieee_invalid_op 0
		.amdhsa_exception_fp_denorm_src 0
		.amdhsa_exception_fp_ieee_div_zero 0
		.amdhsa_exception_fp_ieee_overflow 0
		.amdhsa_exception_fp_ieee_underflow 0
		.amdhsa_exception_fp_ieee_inexact 0
		.amdhsa_exception_int_div_zero 0
	.end_amdhsa_kernel
	.section	.text._ZN7rocprim17ROCPRIM_400000_NS6detail17trampoline_kernelINS0_14default_configENS1_22reduce_config_selectorIN6thrust23THRUST_200600_302600_NS5tupleIblNS6_9null_typeES8_S8_S8_S8_S8_S8_S8_EEEEZNS1_11reduce_implILb1ES3_NS6_12zip_iteratorINS7_INS6_11hip_rocprim26transform_input_iterator_tIbNSD_35transform_pair_of_input_iterators_tIbNS6_6detail15normal_iteratorINS6_10device_ptrIKdEEEESL_NS6_8equal_toIdEEEENSG_9not_fun_tINSD_8identityEEEEENSD_19counting_iterator_tIlEES8_S8_S8_S8_S8_S8_S8_S8_EEEEPS9_S9_NSD_9__find_if7functorIS9_EEEE10hipError_tPvRmT1_T2_T3_mT4_P12ihipStream_tbEUlT_E1_NS1_11comp_targetILNS1_3genE5ELNS1_11target_archE942ELNS1_3gpuE9ELNS1_3repE0EEENS1_30default_config_static_selectorELNS0_4arch9wavefront6targetE0EEEvS14_,"axG",@progbits,_ZN7rocprim17ROCPRIM_400000_NS6detail17trampoline_kernelINS0_14default_configENS1_22reduce_config_selectorIN6thrust23THRUST_200600_302600_NS5tupleIblNS6_9null_typeES8_S8_S8_S8_S8_S8_S8_EEEEZNS1_11reduce_implILb1ES3_NS6_12zip_iteratorINS7_INS6_11hip_rocprim26transform_input_iterator_tIbNSD_35transform_pair_of_input_iterators_tIbNS6_6detail15normal_iteratorINS6_10device_ptrIKdEEEESL_NS6_8equal_toIdEEEENSG_9not_fun_tINSD_8identityEEEEENSD_19counting_iterator_tIlEES8_S8_S8_S8_S8_S8_S8_S8_EEEEPS9_S9_NSD_9__find_if7functorIS9_EEEE10hipError_tPvRmT1_T2_T3_mT4_P12ihipStream_tbEUlT_E1_NS1_11comp_targetILNS1_3genE5ELNS1_11target_archE942ELNS1_3gpuE9ELNS1_3repE0EEENS1_30default_config_static_selectorELNS0_4arch9wavefront6targetE0EEEvS14_,comdat
.Lfunc_end436:
	.size	_ZN7rocprim17ROCPRIM_400000_NS6detail17trampoline_kernelINS0_14default_configENS1_22reduce_config_selectorIN6thrust23THRUST_200600_302600_NS5tupleIblNS6_9null_typeES8_S8_S8_S8_S8_S8_S8_EEEEZNS1_11reduce_implILb1ES3_NS6_12zip_iteratorINS7_INS6_11hip_rocprim26transform_input_iterator_tIbNSD_35transform_pair_of_input_iterators_tIbNS6_6detail15normal_iteratorINS6_10device_ptrIKdEEEESL_NS6_8equal_toIdEEEENSG_9not_fun_tINSD_8identityEEEEENSD_19counting_iterator_tIlEES8_S8_S8_S8_S8_S8_S8_S8_EEEEPS9_S9_NSD_9__find_if7functorIS9_EEEE10hipError_tPvRmT1_T2_T3_mT4_P12ihipStream_tbEUlT_E1_NS1_11comp_targetILNS1_3genE5ELNS1_11target_archE942ELNS1_3gpuE9ELNS1_3repE0EEENS1_30default_config_static_selectorELNS0_4arch9wavefront6targetE0EEEvS14_, .Lfunc_end436-_ZN7rocprim17ROCPRIM_400000_NS6detail17trampoline_kernelINS0_14default_configENS1_22reduce_config_selectorIN6thrust23THRUST_200600_302600_NS5tupleIblNS6_9null_typeES8_S8_S8_S8_S8_S8_S8_EEEEZNS1_11reduce_implILb1ES3_NS6_12zip_iteratorINS7_INS6_11hip_rocprim26transform_input_iterator_tIbNSD_35transform_pair_of_input_iterators_tIbNS6_6detail15normal_iteratorINS6_10device_ptrIKdEEEESL_NS6_8equal_toIdEEEENSG_9not_fun_tINSD_8identityEEEEENSD_19counting_iterator_tIlEES8_S8_S8_S8_S8_S8_S8_S8_EEEEPS9_S9_NSD_9__find_if7functorIS9_EEEE10hipError_tPvRmT1_T2_T3_mT4_P12ihipStream_tbEUlT_E1_NS1_11comp_targetILNS1_3genE5ELNS1_11target_archE942ELNS1_3gpuE9ELNS1_3repE0EEENS1_30default_config_static_selectorELNS0_4arch9wavefront6targetE0EEEvS14_
                                        ; -- End function
	.section	.AMDGPU.csdata,"",@progbits
; Kernel info:
; codeLenInByte = 0
; NumSgprs: 0
; NumVgprs: 0
; ScratchSize: 0
; MemoryBound: 0
; FloatMode: 240
; IeeeMode: 1
; LDSByteSize: 0 bytes/workgroup (compile time only)
; SGPRBlocks: 0
; VGPRBlocks: 0
; NumSGPRsForWavesPerEU: 1
; NumVGPRsForWavesPerEU: 1
; Occupancy: 16
; WaveLimiterHint : 0
; COMPUTE_PGM_RSRC2:SCRATCH_EN: 0
; COMPUTE_PGM_RSRC2:USER_SGPR: 15
; COMPUTE_PGM_RSRC2:TRAP_HANDLER: 0
; COMPUTE_PGM_RSRC2:TGID_X_EN: 1
; COMPUTE_PGM_RSRC2:TGID_Y_EN: 0
; COMPUTE_PGM_RSRC2:TGID_Z_EN: 0
; COMPUTE_PGM_RSRC2:TIDIG_COMP_CNT: 0
	.section	.text._ZN7rocprim17ROCPRIM_400000_NS6detail17trampoline_kernelINS0_14default_configENS1_22reduce_config_selectorIN6thrust23THRUST_200600_302600_NS5tupleIblNS6_9null_typeES8_S8_S8_S8_S8_S8_S8_EEEEZNS1_11reduce_implILb1ES3_NS6_12zip_iteratorINS7_INS6_11hip_rocprim26transform_input_iterator_tIbNSD_35transform_pair_of_input_iterators_tIbNS6_6detail15normal_iteratorINS6_10device_ptrIKdEEEESL_NS6_8equal_toIdEEEENSG_9not_fun_tINSD_8identityEEEEENSD_19counting_iterator_tIlEES8_S8_S8_S8_S8_S8_S8_S8_EEEEPS9_S9_NSD_9__find_if7functorIS9_EEEE10hipError_tPvRmT1_T2_T3_mT4_P12ihipStream_tbEUlT_E1_NS1_11comp_targetILNS1_3genE4ELNS1_11target_archE910ELNS1_3gpuE8ELNS1_3repE0EEENS1_30default_config_static_selectorELNS0_4arch9wavefront6targetE0EEEvS14_,"axG",@progbits,_ZN7rocprim17ROCPRIM_400000_NS6detail17trampoline_kernelINS0_14default_configENS1_22reduce_config_selectorIN6thrust23THRUST_200600_302600_NS5tupleIblNS6_9null_typeES8_S8_S8_S8_S8_S8_S8_EEEEZNS1_11reduce_implILb1ES3_NS6_12zip_iteratorINS7_INS6_11hip_rocprim26transform_input_iterator_tIbNSD_35transform_pair_of_input_iterators_tIbNS6_6detail15normal_iteratorINS6_10device_ptrIKdEEEESL_NS6_8equal_toIdEEEENSG_9not_fun_tINSD_8identityEEEEENSD_19counting_iterator_tIlEES8_S8_S8_S8_S8_S8_S8_S8_EEEEPS9_S9_NSD_9__find_if7functorIS9_EEEE10hipError_tPvRmT1_T2_T3_mT4_P12ihipStream_tbEUlT_E1_NS1_11comp_targetILNS1_3genE4ELNS1_11target_archE910ELNS1_3gpuE8ELNS1_3repE0EEENS1_30default_config_static_selectorELNS0_4arch9wavefront6targetE0EEEvS14_,comdat
	.protected	_ZN7rocprim17ROCPRIM_400000_NS6detail17trampoline_kernelINS0_14default_configENS1_22reduce_config_selectorIN6thrust23THRUST_200600_302600_NS5tupleIblNS6_9null_typeES8_S8_S8_S8_S8_S8_S8_EEEEZNS1_11reduce_implILb1ES3_NS6_12zip_iteratorINS7_INS6_11hip_rocprim26transform_input_iterator_tIbNSD_35transform_pair_of_input_iterators_tIbNS6_6detail15normal_iteratorINS6_10device_ptrIKdEEEESL_NS6_8equal_toIdEEEENSG_9not_fun_tINSD_8identityEEEEENSD_19counting_iterator_tIlEES8_S8_S8_S8_S8_S8_S8_S8_EEEEPS9_S9_NSD_9__find_if7functorIS9_EEEE10hipError_tPvRmT1_T2_T3_mT4_P12ihipStream_tbEUlT_E1_NS1_11comp_targetILNS1_3genE4ELNS1_11target_archE910ELNS1_3gpuE8ELNS1_3repE0EEENS1_30default_config_static_selectorELNS0_4arch9wavefront6targetE0EEEvS14_ ; -- Begin function _ZN7rocprim17ROCPRIM_400000_NS6detail17trampoline_kernelINS0_14default_configENS1_22reduce_config_selectorIN6thrust23THRUST_200600_302600_NS5tupleIblNS6_9null_typeES8_S8_S8_S8_S8_S8_S8_EEEEZNS1_11reduce_implILb1ES3_NS6_12zip_iteratorINS7_INS6_11hip_rocprim26transform_input_iterator_tIbNSD_35transform_pair_of_input_iterators_tIbNS6_6detail15normal_iteratorINS6_10device_ptrIKdEEEESL_NS6_8equal_toIdEEEENSG_9not_fun_tINSD_8identityEEEEENSD_19counting_iterator_tIlEES8_S8_S8_S8_S8_S8_S8_S8_EEEEPS9_S9_NSD_9__find_if7functorIS9_EEEE10hipError_tPvRmT1_T2_T3_mT4_P12ihipStream_tbEUlT_E1_NS1_11comp_targetILNS1_3genE4ELNS1_11target_archE910ELNS1_3gpuE8ELNS1_3repE0EEENS1_30default_config_static_selectorELNS0_4arch9wavefront6targetE0EEEvS14_
	.globl	_ZN7rocprim17ROCPRIM_400000_NS6detail17trampoline_kernelINS0_14default_configENS1_22reduce_config_selectorIN6thrust23THRUST_200600_302600_NS5tupleIblNS6_9null_typeES8_S8_S8_S8_S8_S8_S8_EEEEZNS1_11reduce_implILb1ES3_NS6_12zip_iteratorINS7_INS6_11hip_rocprim26transform_input_iterator_tIbNSD_35transform_pair_of_input_iterators_tIbNS6_6detail15normal_iteratorINS6_10device_ptrIKdEEEESL_NS6_8equal_toIdEEEENSG_9not_fun_tINSD_8identityEEEEENSD_19counting_iterator_tIlEES8_S8_S8_S8_S8_S8_S8_S8_EEEEPS9_S9_NSD_9__find_if7functorIS9_EEEE10hipError_tPvRmT1_T2_T3_mT4_P12ihipStream_tbEUlT_E1_NS1_11comp_targetILNS1_3genE4ELNS1_11target_archE910ELNS1_3gpuE8ELNS1_3repE0EEENS1_30default_config_static_selectorELNS0_4arch9wavefront6targetE0EEEvS14_
	.p2align	8
	.type	_ZN7rocprim17ROCPRIM_400000_NS6detail17trampoline_kernelINS0_14default_configENS1_22reduce_config_selectorIN6thrust23THRUST_200600_302600_NS5tupleIblNS6_9null_typeES8_S8_S8_S8_S8_S8_S8_EEEEZNS1_11reduce_implILb1ES3_NS6_12zip_iteratorINS7_INS6_11hip_rocprim26transform_input_iterator_tIbNSD_35transform_pair_of_input_iterators_tIbNS6_6detail15normal_iteratorINS6_10device_ptrIKdEEEESL_NS6_8equal_toIdEEEENSG_9not_fun_tINSD_8identityEEEEENSD_19counting_iterator_tIlEES8_S8_S8_S8_S8_S8_S8_S8_EEEEPS9_S9_NSD_9__find_if7functorIS9_EEEE10hipError_tPvRmT1_T2_T3_mT4_P12ihipStream_tbEUlT_E1_NS1_11comp_targetILNS1_3genE4ELNS1_11target_archE910ELNS1_3gpuE8ELNS1_3repE0EEENS1_30default_config_static_selectorELNS0_4arch9wavefront6targetE0EEEvS14_,@function
_ZN7rocprim17ROCPRIM_400000_NS6detail17trampoline_kernelINS0_14default_configENS1_22reduce_config_selectorIN6thrust23THRUST_200600_302600_NS5tupleIblNS6_9null_typeES8_S8_S8_S8_S8_S8_S8_EEEEZNS1_11reduce_implILb1ES3_NS6_12zip_iteratorINS7_INS6_11hip_rocprim26transform_input_iterator_tIbNSD_35transform_pair_of_input_iterators_tIbNS6_6detail15normal_iteratorINS6_10device_ptrIKdEEEESL_NS6_8equal_toIdEEEENSG_9not_fun_tINSD_8identityEEEEENSD_19counting_iterator_tIlEES8_S8_S8_S8_S8_S8_S8_S8_EEEEPS9_S9_NSD_9__find_if7functorIS9_EEEE10hipError_tPvRmT1_T2_T3_mT4_P12ihipStream_tbEUlT_E1_NS1_11comp_targetILNS1_3genE4ELNS1_11target_archE910ELNS1_3gpuE8ELNS1_3repE0EEENS1_30default_config_static_selectorELNS0_4arch9wavefront6targetE0EEEvS14_: ; @_ZN7rocprim17ROCPRIM_400000_NS6detail17trampoline_kernelINS0_14default_configENS1_22reduce_config_selectorIN6thrust23THRUST_200600_302600_NS5tupleIblNS6_9null_typeES8_S8_S8_S8_S8_S8_S8_EEEEZNS1_11reduce_implILb1ES3_NS6_12zip_iteratorINS7_INS6_11hip_rocprim26transform_input_iterator_tIbNSD_35transform_pair_of_input_iterators_tIbNS6_6detail15normal_iteratorINS6_10device_ptrIKdEEEESL_NS6_8equal_toIdEEEENSG_9not_fun_tINSD_8identityEEEEENSD_19counting_iterator_tIlEES8_S8_S8_S8_S8_S8_S8_S8_EEEEPS9_S9_NSD_9__find_if7functorIS9_EEEE10hipError_tPvRmT1_T2_T3_mT4_P12ihipStream_tbEUlT_E1_NS1_11comp_targetILNS1_3genE4ELNS1_11target_archE910ELNS1_3gpuE8ELNS1_3repE0EEENS1_30default_config_static_selectorELNS0_4arch9wavefront6targetE0EEEvS14_
; %bb.0:
	.section	.rodata,"a",@progbits
	.p2align	6, 0x0
	.amdhsa_kernel _ZN7rocprim17ROCPRIM_400000_NS6detail17trampoline_kernelINS0_14default_configENS1_22reduce_config_selectorIN6thrust23THRUST_200600_302600_NS5tupleIblNS6_9null_typeES8_S8_S8_S8_S8_S8_S8_EEEEZNS1_11reduce_implILb1ES3_NS6_12zip_iteratorINS7_INS6_11hip_rocprim26transform_input_iterator_tIbNSD_35transform_pair_of_input_iterators_tIbNS6_6detail15normal_iteratorINS6_10device_ptrIKdEEEESL_NS6_8equal_toIdEEEENSG_9not_fun_tINSD_8identityEEEEENSD_19counting_iterator_tIlEES8_S8_S8_S8_S8_S8_S8_S8_EEEEPS9_S9_NSD_9__find_if7functorIS9_EEEE10hipError_tPvRmT1_T2_T3_mT4_P12ihipStream_tbEUlT_E1_NS1_11comp_targetILNS1_3genE4ELNS1_11target_archE910ELNS1_3gpuE8ELNS1_3repE0EEENS1_30default_config_static_selectorELNS0_4arch9wavefront6targetE0EEEvS14_
		.amdhsa_group_segment_fixed_size 0
		.amdhsa_private_segment_fixed_size 0
		.amdhsa_kernarg_size 88
		.amdhsa_user_sgpr_count 15
		.amdhsa_user_sgpr_dispatch_ptr 0
		.amdhsa_user_sgpr_queue_ptr 0
		.amdhsa_user_sgpr_kernarg_segment_ptr 1
		.amdhsa_user_sgpr_dispatch_id 0
		.amdhsa_user_sgpr_private_segment_size 0
		.amdhsa_wavefront_size32 1
		.amdhsa_uses_dynamic_stack 0
		.amdhsa_enable_private_segment 0
		.amdhsa_system_sgpr_workgroup_id_x 1
		.amdhsa_system_sgpr_workgroup_id_y 0
		.amdhsa_system_sgpr_workgroup_id_z 0
		.amdhsa_system_sgpr_workgroup_info 0
		.amdhsa_system_vgpr_workitem_id 0
		.amdhsa_next_free_vgpr 1
		.amdhsa_next_free_sgpr 1
		.amdhsa_reserve_vcc 0
		.amdhsa_float_round_mode_32 0
		.amdhsa_float_round_mode_16_64 0
		.amdhsa_float_denorm_mode_32 3
		.amdhsa_float_denorm_mode_16_64 3
		.amdhsa_dx10_clamp 1
		.amdhsa_ieee_mode 1
		.amdhsa_fp16_overflow 0
		.amdhsa_workgroup_processor_mode 1
		.amdhsa_memory_ordered 1
		.amdhsa_forward_progress 0
		.amdhsa_shared_vgpr_count 0
		.amdhsa_exception_fp_ieee_invalid_op 0
		.amdhsa_exception_fp_denorm_src 0
		.amdhsa_exception_fp_ieee_div_zero 0
		.amdhsa_exception_fp_ieee_overflow 0
		.amdhsa_exception_fp_ieee_underflow 0
		.amdhsa_exception_fp_ieee_inexact 0
		.amdhsa_exception_int_div_zero 0
	.end_amdhsa_kernel
	.section	.text._ZN7rocprim17ROCPRIM_400000_NS6detail17trampoline_kernelINS0_14default_configENS1_22reduce_config_selectorIN6thrust23THRUST_200600_302600_NS5tupleIblNS6_9null_typeES8_S8_S8_S8_S8_S8_S8_EEEEZNS1_11reduce_implILb1ES3_NS6_12zip_iteratorINS7_INS6_11hip_rocprim26transform_input_iterator_tIbNSD_35transform_pair_of_input_iterators_tIbNS6_6detail15normal_iteratorINS6_10device_ptrIKdEEEESL_NS6_8equal_toIdEEEENSG_9not_fun_tINSD_8identityEEEEENSD_19counting_iterator_tIlEES8_S8_S8_S8_S8_S8_S8_S8_EEEEPS9_S9_NSD_9__find_if7functorIS9_EEEE10hipError_tPvRmT1_T2_T3_mT4_P12ihipStream_tbEUlT_E1_NS1_11comp_targetILNS1_3genE4ELNS1_11target_archE910ELNS1_3gpuE8ELNS1_3repE0EEENS1_30default_config_static_selectorELNS0_4arch9wavefront6targetE0EEEvS14_,"axG",@progbits,_ZN7rocprim17ROCPRIM_400000_NS6detail17trampoline_kernelINS0_14default_configENS1_22reduce_config_selectorIN6thrust23THRUST_200600_302600_NS5tupleIblNS6_9null_typeES8_S8_S8_S8_S8_S8_S8_EEEEZNS1_11reduce_implILb1ES3_NS6_12zip_iteratorINS7_INS6_11hip_rocprim26transform_input_iterator_tIbNSD_35transform_pair_of_input_iterators_tIbNS6_6detail15normal_iteratorINS6_10device_ptrIKdEEEESL_NS6_8equal_toIdEEEENSG_9not_fun_tINSD_8identityEEEEENSD_19counting_iterator_tIlEES8_S8_S8_S8_S8_S8_S8_S8_EEEEPS9_S9_NSD_9__find_if7functorIS9_EEEE10hipError_tPvRmT1_T2_T3_mT4_P12ihipStream_tbEUlT_E1_NS1_11comp_targetILNS1_3genE4ELNS1_11target_archE910ELNS1_3gpuE8ELNS1_3repE0EEENS1_30default_config_static_selectorELNS0_4arch9wavefront6targetE0EEEvS14_,comdat
.Lfunc_end437:
	.size	_ZN7rocprim17ROCPRIM_400000_NS6detail17trampoline_kernelINS0_14default_configENS1_22reduce_config_selectorIN6thrust23THRUST_200600_302600_NS5tupleIblNS6_9null_typeES8_S8_S8_S8_S8_S8_S8_EEEEZNS1_11reduce_implILb1ES3_NS6_12zip_iteratorINS7_INS6_11hip_rocprim26transform_input_iterator_tIbNSD_35transform_pair_of_input_iterators_tIbNS6_6detail15normal_iteratorINS6_10device_ptrIKdEEEESL_NS6_8equal_toIdEEEENSG_9not_fun_tINSD_8identityEEEEENSD_19counting_iterator_tIlEES8_S8_S8_S8_S8_S8_S8_S8_EEEEPS9_S9_NSD_9__find_if7functorIS9_EEEE10hipError_tPvRmT1_T2_T3_mT4_P12ihipStream_tbEUlT_E1_NS1_11comp_targetILNS1_3genE4ELNS1_11target_archE910ELNS1_3gpuE8ELNS1_3repE0EEENS1_30default_config_static_selectorELNS0_4arch9wavefront6targetE0EEEvS14_, .Lfunc_end437-_ZN7rocprim17ROCPRIM_400000_NS6detail17trampoline_kernelINS0_14default_configENS1_22reduce_config_selectorIN6thrust23THRUST_200600_302600_NS5tupleIblNS6_9null_typeES8_S8_S8_S8_S8_S8_S8_EEEEZNS1_11reduce_implILb1ES3_NS6_12zip_iteratorINS7_INS6_11hip_rocprim26transform_input_iterator_tIbNSD_35transform_pair_of_input_iterators_tIbNS6_6detail15normal_iteratorINS6_10device_ptrIKdEEEESL_NS6_8equal_toIdEEEENSG_9not_fun_tINSD_8identityEEEEENSD_19counting_iterator_tIlEES8_S8_S8_S8_S8_S8_S8_S8_EEEEPS9_S9_NSD_9__find_if7functorIS9_EEEE10hipError_tPvRmT1_T2_T3_mT4_P12ihipStream_tbEUlT_E1_NS1_11comp_targetILNS1_3genE4ELNS1_11target_archE910ELNS1_3gpuE8ELNS1_3repE0EEENS1_30default_config_static_selectorELNS0_4arch9wavefront6targetE0EEEvS14_
                                        ; -- End function
	.section	.AMDGPU.csdata,"",@progbits
; Kernel info:
; codeLenInByte = 0
; NumSgprs: 0
; NumVgprs: 0
; ScratchSize: 0
; MemoryBound: 0
; FloatMode: 240
; IeeeMode: 1
; LDSByteSize: 0 bytes/workgroup (compile time only)
; SGPRBlocks: 0
; VGPRBlocks: 0
; NumSGPRsForWavesPerEU: 1
; NumVGPRsForWavesPerEU: 1
; Occupancy: 16
; WaveLimiterHint : 0
; COMPUTE_PGM_RSRC2:SCRATCH_EN: 0
; COMPUTE_PGM_RSRC2:USER_SGPR: 15
; COMPUTE_PGM_RSRC2:TRAP_HANDLER: 0
; COMPUTE_PGM_RSRC2:TGID_X_EN: 1
; COMPUTE_PGM_RSRC2:TGID_Y_EN: 0
; COMPUTE_PGM_RSRC2:TGID_Z_EN: 0
; COMPUTE_PGM_RSRC2:TIDIG_COMP_CNT: 0
	.section	.text._ZN7rocprim17ROCPRIM_400000_NS6detail17trampoline_kernelINS0_14default_configENS1_22reduce_config_selectorIN6thrust23THRUST_200600_302600_NS5tupleIblNS6_9null_typeES8_S8_S8_S8_S8_S8_S8_EEEEZNS1_11reduce_implILb1ES3_NS6_12zip_iteratorINS7_INS6_11hip_rocprim26transform_input_iterator_tIbNSD_35transform_pair_of_input_iterators_tIbNS6_6detail15normal_iteratorINS6_10device_ptrIKdEEEESL_NS6_8equal_toIdEEEENSG_9not_fun_tINSD_8identityEEEEENSD_19counting_iterator_tIlEES8_S8_S8_S8_S8_S8_S8_S8_EEEEPS9_S9_NSD_9__find_if7functorIS9_EEEE10hipError_tPvRmT1_T2_T3_mT4_P12ihipStream_tbEUlT_E1_NS1_11comp_targetILNS1_3genE3ELNS1_11target_archE908ELNS1_3gpuE7ELNS1_3repE0EEENS1_30default_config_static_selectorELNS0_4arch9wavefront6targetE0EEEvS14_,"axG",@progbits,_ZN7rocprim17ROCPRIM_400000_NS6detail17trampoline_kernelINS0_14default_configENS1_22reduce_config_selectorIN6thrust23THRUST_200600_302600_NS5tupleIblNS6_9null_typeES8_S8_S8_S8_S8_S8_S8_EEEEZNS1_11reduce_implILb1ES3_NS6_12zip_iteratorINS7_INS6_11hip_rocprim26transform_input_iterator_tIbNSD_35transform_pair_of_input_iterators_tIbNS6_6detail15normal_iteratorINS6_10device_ptrIKdEEEESL_NS6_8equal_toIdEEEENSG_9not_fun_tINSD_8identityEEEEENSD_19counting_iterator_tIlEES8_S8_S8_S8_S8_S8_S8_S8_EEEEPS9_S9_NSD_9__find_if7functorIS9_EEEE10hipError_tPvRmT1_T2_T3_mT4_P12ihipStream_tbEUlT_E1_NS1_11comp_targetILNS1_3genE3ELNS1_11target_archE908ELNS1_3gpuE7ELNS1_3repE0EEENS1_30default_config_static_selectorELNS0_4arch9wavefront6targetE0EEEvS14_,comdat
	.protected	_ZN7rocprim17ROCPRIM_400000_NS6detail17trampoline_kernelINS0_14default_configENS1_22reduce_config_selectorIN6thrust23THRUST_200600_302600_NS5tupleIblNS6_9null_typeES8_S8_S8_S8_S8_S8_S8_EEEEZNS1_11reduce_implILb1ES3_NS6_12zip_iteratorINS7_INS6_11hip_rocprim26transform_input_iterator_tIbNSD_35transform_pair_of_input_iterators_tIbNS6_6detail15normal_iteratorINS6_10device_ptrIKdEEEESL_NS6_8equal_toIdEEEENSG_9not_fun_tINSD_8identityEEEEENSD_19counting_iterator_tIlEES8_S8_S8_S8_S8_S8_S8_S8_EEEEPS9_S9_NSD_9__find_if7functorIS9_EEEE10hipError_tPvRmT1_T2_T3_mT4_P12ihipStream_tbEUlT_E1_NS1_11comp_targetILNS1_3genE3ELNS1_11target_archE908ELNS1_3gpuE7ELNS1_3repE0EEENS1_30default_config_static_selectorELNS0_4arch9wavefront6targetE0EEEvS14_ ; -- Begin function _ZN7rocprim17ROCPRIM_400000_NS6detail17trampoline_kernelINS0_14default_configENS1_22reduce_config_selectorIN6thrust23THRUST_200600_302600_NS5tupleIblNS6_9null_typeES8_S8_S8_S8_S8_S8_S8_EEEEZNS1_11reduce_implILb1ES3_NS6_12zip_iteratorINS7_INS6_11hip_rocprim26transform_input_iterator_tIbNSD_35transform_pair_of_input_iterators_tIbNS6_6detail15normal_iteratorINS6_10device_ptrIKdEEEESL_NS6_8equal_toIdEEEENSG_9not_fun_tINSD_8identityEEEEENSD_19counting_iterator_tIlEES8_S8_S8_S8_S8_S8_S8_S8_EEEEPS9_S9_NSD_9__find_if7functorIS9_EEEE10hipError_tPvRmT1_T2_T3_mT4_P12ihipStream_tbEUlT_E1_NS1_11comp_targetILNS1_3genE3ELNS1_11target_archE908ELNS1_3gpuE7ELNS1_3repE0EEENS1_30default_config_static_selectorELNS0_4arch9wavefront6targetE0EEEvS14_
	.globl	_ZN7rocprim17ROCPRIM_400000_NS6detail17trampoline_kernelINS0_14default_configENS1_22reduce_config_selectorIN6thrust23THRUST_200600_302600_NS5tupleIblNS6_9null_typeES8_S8_S8_S8_S8_S8_S8_EEEEZNS1_11reduce_implILb1ES3_NS6_12zip_iteratorINS7_INS6_11hip_rocprim26transform_input_iterator_tIbNSD_35transform_pair_of_input_iterators_tIbNS6_6detail15normal_iteratorINS6_10device_ptrIKdEEEESL_NS6_8equal_toIdEEEENSG_9not_fun_tINSD_8identityEEEEENSD_19counting_iterator_tIlEES8_S8_S8_S8_S8_S8_S8_S8_EEEEPS9_S9_NSD_9__find_if7functorIS9_EEEE10hipError_tPvRmT1_T2_T3_mT4_P12ihipStream_tbEUlT_E1_NS1_11comp_targetILNS1_3genE3ELNS1_11target_archE908ELNS1_3gpuE7ELNS1_3repE0EEENS1_30default_config_static_selectorELNS0_4arch9wavefront6targetE0EEEvS14_
	.p2align	8
	.type	_ZN7rocprim17ROCPRIM_400000_NS6detail17trampoline_kernelINS0_14default_configENS1_22reduce_config_selectorIN6thrust23THRUST_200600_302600_NS5tupleIblNS6_9null_typeES8_S8_S8_S8_S8_S8_S8_EEEEZNS1_11reduce_implILb1ES3_NS6_12zip_iteratorINS7_INS6_11hip_rocprim26transform_input_iterator_tIbNSD_35transform_pair_of_input_iterators_tIbNS6_6detail15normal_iteratorINS6_10device_ptrIKdEEEESL_NS6_8equal_toIdEEEENSG_9not_fun_tINSD_8identityEEEEENSD_19counting_iterator_tIlEES8_S8_S8_S8_S8_S8_S8_S8_EEEEPS9_S9_NSD_9__find_if7functorIS9_EEEE10hipError_tPvRmT1_T2_T3_mT4_P12ihipStream_tbEUlT_E1_NS1_11comp_targetILNS1_3genE3ELNS1_11target_archE908ELNS1_3gpuE7ELNS1_3repE0EEENS1_30default_config_static_selectorELNS0_4arch9wavefront6targetE0EEEvS14_,@function
_ZN7rocprim17ROCPRIM_400000_NS6detail17trampoline_kernelINS0_14default_configENS1_22reduce_config_selectorIN6thrust23THRUST_200600_302600_NS5tupleIblNS6_9null_typeES8_S8_S8_S8_S8_S8_S8_EEEEZNS1_11reduce_implILb1ES3_NS6_12zip_iteratorINS7_INS6_11hip_rocprim26transform_input_iterator_tIbNSD_35transform_pair_of_input_iterators_tIbNS6_6detail15normal_iteratorINS6_10device_ptrIKdEEEESL_NS6_8equal_toIdEEEENSG_9not_fun_tINSD_8identityEEEEENSD_19counting_iterator_tIlEES8_S8_S8_S8_S8_S8_S8_S8_EEEEPS9_S9_NSD_9__find_if7functorIS9_EEEE10hipError_tPvRmT1_T2_T3_mT4_P12ihipStream_tbEUlT_E1_NS1_11comp_targetILNS1_3genE3ELNS1_11target_archE908ELNS1_3gpuE7ELNS1_3repE0EEENS1_30default_config_static_selectorELNS0_4arch9wavefront6targetE0EEEvS14_: ; @_ZN7rocprim17ROCPRIM_400000_NS6detail17trampoline_kernelINS0_14default_configENS1_22reduce_config_selectorIN6thrust23THRUST_200600_302600_NS5tupleIblNS6_9null_typeES8_S8_S8_S8_S8_S8_S8_EEEEZNS1_11reduce_implILb1ES3_NS6_12zip_iteratorINS7_INS6_11hip_rocprim26transform_input_iterator_tIbNSD_35transform_pair_of_input_iterators_tIbNS6_6detail15normal_iteratorINS6_10device_ptrIKdEEEESL_NS6_8equal_toIdEEEENSG_9not_fun_tINSD_8identityEEEEENSD_19counting_iterator_tIlEES8_S8_S8_S8_S8_S8_S8_S8_EEEEPS9_S9_NSD_9__find_if7functorIS9_EEEE10hipError_tPvRmT1_T2_T3_mT4_P12ihipStream_tbEUlT_E1_NS1_11comp_targetILNS1_3genE3ELNS1_11target_archE908ELNS1_3gpuE7ELNS1_3repE0EEENS1_30default_config_static_selectorELNS0_4arch9wavefront6targetE0EEEvS14_
; %bb.0:
	.section	.rodata,"a",@progbits
	.p2align	6, 0x0
	.amdhsa_kernel _ZN7rocprim17ROCPRIM_400000_NS6detail17trampoline_kernelINS0_14default_configENS1_22reduce_config_selectorIN6thrust23THRUST_200600_302600_NS5tupleIblNS6_9null_typeES8_S8_S8_S8_S8_S8_S8_EEEEZNS1_11reduce_implILb1ES3_NS6_12zip_iteratorINS7_INS6_11hip_rocprim26transform_input_iterator_tIbNSD_35transform_pair_of_input_iterators_tIbNS6_6detail15normal_iteratorINS6_10device_ptrIKdEEEESL_NS6_8equal_toIdEEEENSG_9not_fun_tINSD_8identityEEEEENSD_19counting_iterator_tIlEES8_S8_S8_S8_S8_S8_S8_S8_EEEEPS9_S9_NSD_9__find_if7functorIS9_EEEE10hipError_tPvRmT1_T2_T3_mT4_P12ihipStream_tbEUlT_E1_NS1_11comp_targetILNS1_3genE3ELNS1_11target_archE908ELNS1_3gpuE7ELNS1_3repE0EEENS1_30default_config_static_selectorELNS0_4arch9wavefront6targetE0EEEvS14_
		.amdhsa_group_segment_fixed_size 0
		.amdhsa_private_segment_fixed_size 0
		.amdhsa_kernarg_size 88
		.amdhsa_user_sgpr_count 15
		.amdhsa_user_sgpr_dispatch_ptr 0
		.amdhsa_user_sgpr_queue_ptr 0
		.amdhsa_user_sgpr_kernarg_segment_ptr 1
		.amdhsa_user_sgpr_dispatch_id 0
		.amdhsa_user_sgpr_private_segment_size 0
		.amdhsa_wavefront_size32 1
		.amdhsa_uses_dynamic_stack 0
		.amdhsa_enable_private_segment 0
		.amdhsa_system_sgpr_workgroup_id_x 1
		.amdhsa_system_sgpr_workgroup_id_y 0
		.amdhsa_system_sgpr_workgroup_id_z 0
		.amdhsa_system_sgpr_workgroup_info 0
		.amdhsa_system_vgpr_workitem_id 0
		.amdhsa_next_free_vgpr 1
		.amdhsa_next_free_sgpr 1
		.amdhsa_reserve_vcc 0
		.amdhsa_float_round_mode_32 0
		.amdhsa_float_round_mode_16_64 0
		.amdhsa_float_denorm_mode_32 3
		.amdhsa_float_denorm_mode_16_64 3
		.amdhsa_dx10_clamp 1
		.amdhsa_ieee_mode 1
		.amdhsa_fp16_overflow 0
		.amdhsa_workgroup_processor_mode 1
		.amdhsa_memory_ordered 1
		.amdhsa_forward_progress 0
		.amdhsa_shared_vgpr_count 0
		.amdhsa_exception_fp_ieee_invalid_op 0
		.amdhsa_exception_fp_denorm_src 0
		.amdhsa_exception_fp_ieee_div_zero 0
		.amdhsa_exception_fp_ieee_overflow 0
		.amdhsa_exception_fp_ieee_underflow 0
		.amdhsa_exception_fp_ieee_inexact 0
		.amdhsa_exception_int_div_zero 0
	.end_amdhsa_kernel
	.section	.text._ZN7rocprim17ROCPRIM_400000_NS6detail17trampoline_kernelINS0_14default_configENS1_22reduce_config_selectorIN6thrust23THRUST_200600_302600_NS5tupleIblNS6_9null_typeES8_S8_S8_S8_S8_S8_S8_EEEEZNS1_11reduce_implILb1ES3_NS6_12zip_iteratorINS7_INS6_11hip_rocprim26transform_input_iterator_tIbNSD_35transform_pair_of_input_iterators_tIbNS6_6detail15normal_iteratorINS6_10device_ptrIKdEEEESL_NS6_8equal_toIdEEEENSG_9not_fun_tINSD_8identityEEEEENSD_19counting_iterator_tIlEES8_S8_S8_S8_S8_S8_S8_S8_EEEEPS9_S9_NSD_9__find_if7functorIS9_EEEE10hipError_tPvRmT1_T2_T3_mT4_P12ihipStream_tbEUlT_E1_NS1_11comp_targetILNS1_3genE3ELNS1_11target_archE908ELNS1_3gpuE7ELNS1_3repE0EEENS1_30default_config_static_selectorELNS0_4arch9wavefront6targetE0EEEvS14_,"axG",@progbits,_ZN7rocprim17ROCPRIM_400000_NS6detail17trampoline_kernelINS0_14default_configENS1_22reduce_config_selectorIN6thrust23THRUST_200600_302600_NS5tupleIblNS6_9null_typeES8_S8_S8_S8_S8_S8_S8_EEEEZNS1_11reduce_implILb1ES3_NS6_12zip_iteratorINS7_INS6_11hip_rocprim26transform_input_iterator_tIbNSD_35transform_pair_of_input_iterators_tIbNS6_6detail15normal_iteratorINS6_10device_ptrIKdEEEESL_NS6_8equal_toIdEEEENSG_9not_fun_tINSD_8identityEEEEENSD_19counting_iterator_tIlEES8_S8_S8_S8_S8_S8_S8_S8_EEEEPS9_S9_NSD_9__find_if7functorIS9_EEEE10hipError_tPvRmT1_T2_T3_mT4_P12ihipStream_tbEUlT_E1_NS1_11comp_targetILNS1_3genE3ELNS1_11target_archE908ELNS1_3gpuE7ELNS1_3repE0EEENS1_30default_config_static_selectorELNS0_4arch9wavefront6targetE0EEEvS14_,comdat
.Lfunc_end438:
	.size	_ZN7rocprim17ROCPRIM_400000_NS6detail17trampoline_kernelINS0_14default_configENS1_22reduce_config_selectorIN6thrust23THRUST_200600_302600_NS5tupleIblNS6_9null_typeES8_S8_S8_S8_S8_S8_S8_EEEEZNS1_11reduce_implILb1ES3_NS6_12zip_iteratorINS7_INS6_11hip_rocprim26transform_input_iterator_tIbNSD_35transform_pair_of_input_iterators_tIbNS6_6detail15normal_iteratorINS6_10device_ptrIKdEEEESL_NS6_8equal_toIdEEEENSG_9not_fun_tINSD_8identityEEEEENSD_19counting_iterator_tIlEES8_S8_S8_S8_S8_S8_S8_S8_EEEEPS9_S9_NSD_9__find_if7functorIS9_EEEE10hipError_tPvRmT1_T2_T3_mT4_P12ihipStream_tbEUlT_E1_NS1_11comp_targetILNS1_3genE3ELNS1_11target_archE908ELNS1_3gpuE7ELNS1_3repE0EEENS1_30default_config_static_selectorELNS0_4arch9wavefront6targetE0EEEvS14_, .Lfunc_end438-_ZN7rocprim17ROCPRIM_400000_NS6detail17trampoline_kernelINS0_14default_configENS1_22reduce_config_selectorIN6thrust23THRUST_200600_302600_NS5tupleIblNS6_9null_typeES8_S8_S8_S8_S8_S8_S8_EEEEZNS1_11reduce_implILb1ES3_NS6_12zip_iteratorINS7_INS6_11hip_rocprim26transform_input_iterator_tIbNSD_35transform_pair_of_input_iterators_tIbNS6_6detail15normal_iteratorINS6_10device_ptrIKdEEEESL_NS6_8equal_toIdEEEENSG_9not_fun_tINSD_8identityEEEEENSD_19counting_iterator_tIlEES8_S8_S8_S8_S8_S8_S8_S8_EEEEPS9_S9_NSD_9__find_if7functorIS9_EEEE10hipError_tPvRmT1_T2_T3_mT4_P12ihipStream_tbEUlT_E1_NS1_11comp_targetILNS1_3genE3ELNS1_11target_archE908ELNS1_3gpuE7ELNS1_3repE0EEENS1_30default_config_static_selectorELNS0_4arch9wavefront6targetE0EEEvS14_
                                        ; -- End function
	.section	.AMDGPU.csdata,"",@progbits
; Kernel info:
; codeLenInByte = 0
; NumSgprs: 0
; NumVgprs: 0
; ScratchSize: 0
; MemoryBound: 0
; FloatMode: 240
; IeeeMode: 1
; LDSByteSize: 0 bytes/workgroup (compile time only)
; SGPRBlocks: 0
; VGPRBlocks: 0
; NumSGPRsForWavesPerEU: 1
; NumVGPRsForWavesPerEU: 1
; Occupancy: 16
; WaveLimiterHint : 0
; COMPUTE_PGM_RSRC2:SCRATCH_EN: 0
; COMPUTE_PGM_RSRC2:USER_SGPR: 15
; COMPUTE_PGM_RSRC2:TRAP_HANDLER: 0
; COMPUTE_PGM_RSRC2:TGID_X_EN: 1
; COMPUTE_PGM_RSRC2:TGID_Y_EN: 0
; COMPUTE_PGM_RSRC2:TGID_Z_EN: 0
; COMPUTE_PGM_RSRC2:TIDIG_COMP_CNT: 0
	.section	.text._ZN7rocprim17ROCPRIM_400000_NS6detail17trampoline_kernelINS0_14default_configENS1_22reduce_config_selectorIN6thrust23THRUST_200600_302600_NS5tupleIblNS6_9null_typeES8_S8_S8_S8_S8_S8_S8_EEEEZNS1_11reduce_implILb1ES3_NS6_12zip_iteratorINS7_INS6_11hip_rocprim26transform_input_iterator_tIbNSD_35transform_pair_of_input_iterators_tIbNS6_6detail15normal_iteratorINS6_10device_ptrIKdEEEESL_NS6_8equal_toIdEEEENSG_9not_fun_tINSD_8identityEEEEENSD_19counting_iterator_tIlEES8_S8_S8_S8_S8_S8_S8_S8_EEEEPS9_S9_NSD_9__find_if7functorIS9_EEEE10hipError_tPvRmT1_T2_T3_mT4_P12ihipStream_tbEUlT_E1_NS1_11comp_targetILNS1_3genE2ELNS1_11target_archE906ELNS1_3gpuE6ELNS1_3repE0EEENS1_30default_config_static_selectorELNS0_4arch9wavefront6targetE0EEEvS14_,"axG",@progbits,_ZN7rocprim17ROCPRIM_400000_NS6detail17trampoline_kernelINS0_14default_configENS1_22reduce_config_selectorIN6thrust23THRUST_200600_302600_NS5tupleIblNS6_9null_typeES8_S8_S8_S8_S8_S8_S8_EEEEZNS1_11reduce_implILb1ES3_NS6_12zip_iteratorINS7_INS6_11hip_rocprim26transform_input_iterator_tIbNSD_35transform_pair_of_input_iterators_tIbNS6_6detail15normal_iteratorINS6_10device_ptrIKdEEEESL_NS6_8equal_toIdEEEENSG_9not_fun_tINSD_8identityEEEEENSD_19counting_iterator_tIlEES8_S8_S8_S8_S8_S8_S8_S8_EEEEPS9_S9_NSD_9__find_if7functorIS9_EEEE10hipError_tPvRmT1_T2_T3_mT4_P12ihipStream_tbEUlT_E1_NS1_11comp_targetILNS1_3genE2ELNS1_11target_archE906ELNS1_3gpuE6ELNS1_3repE0EEENS1_30default_config_static_selectorELNS0_4arch9wavefront6targetE0EEEvS14_,comdat
	.protected	_ZN7rocprim17ROCPRIM_400000_NS6detail17trampoline_kernelINS0_14default_configENS1_22reduce_config_selectorIN6thrust23THRUST_200600_302600_NS5tupleIblNS6_9null_typeES8_S8_S8_S8_S8_S8_S8_EEEEZNS1_11reduce_implILb1ES3_NS6_12zip_iteratorINS7_INS6_11hip_rocprim26transform_input_iterator_tIbNSD_35transform_pair_of_input_iterators_tIbNS6_6detail15normal_iteratorINS6_10device_ptrIKdEEEESL_NS6_8equal_toIdEEEENSG_9not_fun_tINSD_8identityEEEEENSD_19counting_iterator_tIlEES8_S8_S8_S8_S8_S8_S8_S8_EEEEPS9_S9_NSD_9__find_if7functorIS9_EEEE10hipError_tPvRmT1_T2_T3_mT4_P12ihipStream_tbEUlT_E1_NS1_11comp_targetILNS1_3genE2ELNS1_11target_archE906ELNS1_3gpuE6ELNS1_3repE0EEENS1_30default_config_static_selectorELNS0_4arch9wavefront6targetE0EEEvS14_ ; -- Begin function _ZN7rocprim17ROCPRIM_400000_NS6detail17trampoline_kernelINS0_14default_configENS1_22reduce_config_selectorIN6thrust23THRUST_200600_302600_NS5tupleIblNS6_9null_typeES8_S8_S8_S8_S8_S8_S8_EEEEZNS1_11reduce_implILb1ES3_NS6_12zip_iteratorINS7_INS6_11hip_rocprim26transform_input_iterator_tIbNSD_35transform_pair_of_input_iterators_tIbNS6_6detail15normal_iteratorINS6_10device_ptrIKdEEEESL_NS6_8equal_toIdEEEENSG_9not_fun_tINSD_8identityEEEEENSD_19counting_iterator_tIlEES8_S8_S8_S8_S8_S8_S8_S8_EEEEPS9_S9_NSD_9__find_if7functorIS9_EEEE10hipError_tPvRmT1_T2_T3_mT4_P12ihipStream_tbEUlT_E1_NS1_11comp_targetILNS1_3genE2ELNS1_11target_archE906ELNS1_3gpuE6ELNS1_3repE0EEENS1_30default_config_static_selectorELNS0_4arch9wavefront6targetE0EEEvS14_
	.globl	_ZN7rocprim17ROCPRIM_400000_NS6detail17trampoline_kernelINS0_14default_configENS1_22reduce_config_selectorIN6thrust23THRUST_200600_302600_NS5tupleIblNS6_9null_typeES8_S8_S8_S8_S8_S8_S8_EEEEZNS1_11reduce_implILb1ES3_NS6_12zip_iteratorINS7_INS6_11hip_rocprim26transform_input_iterator_tIbNSD_35transform_pair_of_input_iterators_tIbNS6_6detail15normal_iteratorINS6_10device_ptrIKdEEEESL_NS6_8equal_toIdEEEENSG_9not_fun_tINSD_8identityEEEEENSD_19counting_iterator_tIlEES8_S8_S8_S8_S8_S8_S8_S8_EEEEPS9_S9_NSD_9__find_if7functorIS9_EEEE10hipError_tPvRmT1_T2_T3_mT4_P12ihipStream_tbEUlT_E1_NS1_11comp_targetILNS1_3genE2ELNS1_11target_archE906ELNS1_3gpuE6ELNS1_3repE0EEENS1_30default_config_static_selectorELNS0_4arch9wavefront6targetE0EEEvS14_
	.p2align	8
	.type	_ZN7rocprim17ROCPRIM_400000_NS6detail17trampoline_kernelINS0_14default_configENS1_22reduce_config_selectorIN6thrust23THRUST_200600_302600_NS5tupleIblNS6_9null_typeES8_S8_S8_S8_S8_S8_S8_EEEEZNS1_11reduce_implILb1ES3_NS6_12zip_iteratorINS7_INS6_11hip_rocprim26transform_input_iterator_tIbNSD_35transform_pair_of_input_iterators_tIbNS6_6detail15normal_iteratorINS6_10device_ptrIKdEEEESL_NS6_8equal_toIdEEEENSG_9not_fun_tINSD_8identityEEEEENSD_19counting_iterator_tIlEES8_S8_S8_S8_S8_S8_S8_S8_EEEEPS9_S9_NSD_9__find_if7functorIS9_EEEE10hipError_tPvRmT1_T2_T3_mT4_P12ihipStream_tbEUlT_E1_NS1_11comp_targetILNS1_3genE2ELNS1_11target_archE906ELNS1_3gpuE6ELNS1_3repE0EEENS1_30default_config_static_selectorELNS0_4arch9wavefront6targetE0EEEvS14_,@function
_ZN7rocprim17ROCPRIM_400000_NS6detail17trampoline_kernelINS0_14default_configENS1_22reduce_config_selectorIN6thrust23THRUST_200600_302600_NS5tupleIblNS6_9null_typeES8_S8_S8_S8_S8_S8_S8_EEEEZNS1_11reduce_implILb1ES3_NS6_12zip_iteratorINS7_INS6_11hip_rocprim26transform_input_iterator_tIbNSD_35transform_pair_of_input_iterators_tIbNS6_6detail15normal_iteratorINS6_10device_ptrIKdEEEESL_NS6_8equal_toIdEEEENSG_9not_fun_tINSD_8identityEEEEENSD_19counting_iterator_tIlEES8_S8_S8_S8_S8_S8_S8_S8_EEEEPS9_S9_NSD_9__find_if7functorIS9_EEEE10hipError_tPvRmT1_T2_T3_mT4_P12ihipStream_tbEUlT_E1_NS1_11comp_targetILNS1_3genE2ELNS1_11target_archE906ELNS1_3gpuE6ELNS1_3repE0EEENS1_30default_config_static_selectorELNS0_4arch9wavefront6targetE0EEEvS14_: ; @_ZN7rocprim17ROCPRIM_400000_NS6detail17trampoline_kernelINS0_14default_configENS1_22reduce_config_selectorIN6thrust23THRUST_200600_302600_NS5tupleIblNS6_9null_typeES8_S8_S8_S8_S8_S8_S8_EEEEZNS1_11reduce_implILb1ES3_NS6_12zip_iteratorINS7_INS6_11hip_rocprim26transform_input_iterator_tIbNSD_35transform_pair_of_input_iterators_tIbNS6_6detail15normal_iteratorINS6_10device_ptrIKdEEEESL_NS6_8equal_toIdEEEENSG_9not_fun_tINSD_8identityEEEEENSD_19counting_iterator_tIlEES8_S8_S8_S8_S8_S8_S8_S8_EEEEPS9_S9_NSD_9__find_if7functorIS9_EEEE10hipError_tPvRmT1_T2_T3_mT4_P12ihipStream_tbEUlT_E1_NS1_11comp_targetILNS1_3genE2ELNS1_11target_archE906ELNS1_3gpuE6ELNS1_3repE0EEENS1_30default_config_static_selectorELNS0_4arch9wavefront6targetE0EEEvS14_
; %bb.0:
	.section	.rodata,"a",@progbits
	.p2align	6, 0x0
	.amdhsa_kernel _ZN7rocprim17ROCPRIM_400000_NS6detail17trampoline_kernelINS0_14default_configENS1_22reduce_config_selectorIN6thrust23THRUST_200600_302600_NS5tupleIblNS6_9null_typeES8_S8_S8_S8_S8_S8_S8_EEEEZNS1_11reduce_implILb1ES3_NS6_12zip_iteratorINS7_INS6_11hip_rocprim26transform_input_iterator_tIbNSD_35transform_pair_of_input_iterators_tIbNS6_6detail15normal_iteratorINS6_10device_ptrIKdEEEESL_NS6_8equal_toIdEEEENSG_9not_fun_tINSD_8identityEEEEENSD_19counting_iterator_tIlEES8_S8_S8_S8_S8_S8_S8_S8_EEEEPS9_S9_NSD_9__find_if7functorIS9_EEEE10hipError_tPvRmT1_T2_T3_mT4_P12ihipStream_tbEUlT_E1_NS1_11comp_targetILNS1_3genE2ELNS1_11target_archE906ELNS1_3gpuE6ELNS1_3repE0EEENS1_30default_config_static_selectorELNS0_4arch9wavefront6targetE0EEEvS14_
		.amdhsa_group_segment_fixed_size 0
		.amdhsa_private_segment_fixed_size 0
		.amdhsa_kernarg_size 88
		.amdhsa_user_sgpr_count 15
		.amdhsa_user_sgpr_dispatch_ptr 0
		.amdhsa_user_sgpr_queue_ptr 0
		.amdhsa_user_sgpr_kernarg_segment_ptr 1
		.amdhsa_user_sgpr_dispatch_id 0
		.amdhsa_user_sgpr_private_segment_size 0
		.amdhsa_wavefront_size32 1
		.amdhsa_uses_dynamic_stack 0
		.amdhsa_enable_private_segment 0
		.amdhsa_system_sgpr_workgroup_id_x 1
		.amdhsa_system_sgpr_workgroup_id_y 0
		.amdhsa_system_sgpr_workgroup_id_z 0
		.amdhsa_system_sgpr_workgroup_info 0
		.amdhsa_system_vgpr_workitem_id 0
		.amdhsa_next_free_vgpr 1
		.amdhsa_next_free_sgpr 1
		.amdhsa_reserve_vcc 0
		.amdhsa_float_round_mode_32 0
		.amdhsa_float_round_mode_16_64 0
		.amdhsa_float_denorm_mode_32 3
		.amdhsa_float_denorm_mode_16_64 3
		.amdhsa_dx10_clamp 1
		.amdhsa_ieee_mode 1
		.amdhsa_fp16_overflow 0
		.amdhsa_workgroup_processor_mode 1
		.amdhsa_memory_ordered 1
		.amdhsa_forward_progress 0
		.amdhsa_shared_vgpr_count 0
		.amdhsa_exception_fp_ieee_invalid_op 0
		.amdhsa_exception_fp_denorm_src 0
		.amdhsa_exception_fp_ieee_div_zero 0
		.amdhsa_exception_fp_ieee_overflow 0
		.amdhsa_exception_fp_ieee_underflow 0
		.amdhsa_exception_fp_ieee_inexact 0
		.amdhsa_exception_int_div_zero 0
	.end_amdhsa_kernel
	.section	.text._ZN7rocprim17ROCPRIM_400000_NS6detail17trampoline_kernelINS0_14default_configENS1_22reduce_config_selectorIN6thrust23THRUST_200600_302600_NS5tupleIblNS6_9null_typeES8_S8_S8_S8_S8_S8_S8_EEEEZNS1_11reduce_implILb1ES3_NS6_12zip_iteratorINS7_INS6_11hip_rocprim26transform_input_iterator_tIbNSD_35transform_pair_of_input_iterators_tIbNS6_6detail15normal_iteratorINS6_10device_ptrIKdEEEESL_NS6_8equal_toIdEEEENSG_9not_fun_tINSD_8identityEEEEENSD_19counting_iterator_tIlEES8_S8_S8_S8_S8_S8_S8_S8_EEEEPS9_S9_NSD_9__find_if7functorIS9_EEEE10hipError_tPvRmT1_T2_T3_mT4_P12ihipStream_tbEUlT_E1_NS1_11comp_targetILNS1_3genE2ELNS1_11target_archE906ELNS1_3gpuE6ELNS1_3repE0EEENS1_30default_config_static_selectorELNS0_4arch9wavefront6targetE0EEEvS14_,"axG",@progbits,_ZN7rocprim17ROCPRIM_400000_NS6detail17trampoline_kernelINS0_14default_configENS1_22reduce_config_selectorIN6thrust23THRUST_200600_302600_NS5tupleIblNS6_9null_typeES8_S8_S8_S8_S8_S8_S8_EEEEZNS1_11reduce_implILb1ES3_NS6_12zip_iteratorINS7_INS6_11hip_rocprim26transform_input_iterator_tIbNSD_35transform_pair_of_input_iterators_tIbNS6_6detail15normal_iteratorINS6_10device_ptrIKdEEEESL_NS6_8equal_toIdEEEENSG_9not_fun_tINSD_8identityEEEEENSD_19counting_iterator_tIlEES8_S8_S8_S8_S8_S8_S8_S8_EEEEPS9_S9_NSD_9__find_if7functorIS9_EEEE10hipError_tPvRmT1_T2_T3_mT4_P12ihipStream_tbEUlT_E1_NS1_11comp_targetILNS1_3genE2ELNS1_11target_archE906ELNS1_3gpuE6ELNS1_3repE0EEENS1_30default_config_static_selectorELNS0_4arch9wavefront6targetE0EEEvS14_,comdat
.Lfunc_end439:
	.size	_ZN7rocprim17ROCPRIM_400000_NS6detail17trampoline_kernelINS0_14default_configENS1_22reduce_config_selectorIN6thrust23THRUST_200600_302600_NS5tupleIblNS6_9null_typeES8_S8_S8_S8_S8_S8_S8_EEEEZNS1_11reduce_implILb1ES3_NS6_12zip_iteratorINS7_INS6_11hip_rocprim26transform_input_iterator_tIbNSD_35transform_pair_of_input_iterators_tIbNS6_6detail15normal_iteratorINS6_10device_ptrIKdEEEESL_NS6_8equal_toIdEEEENSG_9not_fun_tINSD_8identityEEEEENSD_19counting_iterator_tIlEES8_S8_S8_S8_S8_S8_S8_S8_EEEEPS9_S9_NSD_9__find_if7functorIS9_EEEE10hipError_tPvRmT1_T2_T3_mT4_P12ihipStream_tbEUlT_E1_NS1_11comp_targetILNS1_3genE2ELNS1_11target_archE906ELNS1_3gpuE6ELNS1_3repE0EEENS1_30default_config_static_selectorELNS0_4arch9wavefront6targetE0EEEvS14_, .Lfunc_end439-_ZN7rocprim17ROCPRIM_400000_NS6detail17trampoline_kernelINS0_14default_configENS1_22reduce_config_selectorIN6thrust23THRUST_200600_302600_NS5tupleIblNS6_9null_typeES8_S8_S8_S8_S8_S8_S8_EEEEZNS1_11reduce_implILb1ES3_NS6_12zip_iteratorINS7_INS6_11hip_rocprim26transform_input_iterator_tIbNSD_35transform_pair_of_input_iterators_tIbNS6_6detail15normal_iteratorINS6_10device_ptrIKdEEEESL_NS6_8equal_toIdEEEENSG_9not_fun_tINSD_8identityEEEEENSD_19counting_iterator_tIlEES8_S8_S8_S8_S8_S8_S8_S8_EEEEPS9_S9_NSD_9__find_if7functorIS9_EEEE10hipError_tPvRmT1_T2_T3_mT4_P12ihipStream_tbEUlT_E1_NS1_11comp_targetILNS1_3genE2ELNS1_11target_archE906ELNS1_3gpuE6ELNS1_3repE0EEENS1_30default_config_static_selectorELNS0_4arch9wavefront6targetE0EEEvS14_
                                        ; -- End function
	.section	.AMDGPU.csdata,"",@progbits
; Kernel info:
; codeLenInByte = 0
; NumSgprs: 0
; NumVgprs: 0
; ScratchSize: 0
; MemoryBound: 0
; FloatMode: 240
; IeeeMode: 1
; LDSByteSize: 0 bytes/workgroup (compile time only)
; SGPRBlocks: 0
; VGPRBlocks: 0
; NumSGPRsForWavesPerEU: 1
; NumVGPRsForWavesPerEU: 1
; Occupancy: 16
; WaveLimiterHint : 0
; COMPUTE_PGM_RSRC2:SCRATCH_EN: 0
; COMPUTE_PGM_RSRC2:USER_SGPR: 15
; COMPUTE_PGM_RSRC2:TRAP_HANDLER: 0
; COMPUTE_PGM_RSRC2:TGID_X_EN: 1
; COMPUTE_PGM_RSRC2:TGID_Y_EN: 0
; COMPUTE_PGM_RSRC2:TGID_Z_EN: 0
; COMPUTE_PGM_RSRC2:TIDIG_COMP_CNT: 0
	.section	.text._ZN7rocprim17ROCPRIM_400000_NS6detail17trampoline_kernelINS0_14default_configENS1_22reduce_config_selectorIN6thrust23THRUST_200600_302600_NS5tupleIblNS6_9null_typeES8_S8_S8_S8_S8_S8_S8_EEEEZNS1_11reduce_implILb1ES3_NS6_12zip_iteratorINS7_INS6_11hip_rocprim26transform_input_iterator_tIbNSD_35transform_pair_of_input_iterators_tIbNS6_6detail15normal_iteratorINS6_10device_ptrIKdEEEESL_NS6_8equal_toIdEEEENSG_9not_fun_tINSD_8identityEEEEENSD_19counting_iterator_tIlEES8_S8_S8_S8_S8_S8_S8_S8_EEEEPS9_S9_NSD_9__find_if7functorIS9_EEEE10hipError_tPvRmT1_T2_T3_mT4_P12ihipStream_tbEUlT_E1_NS1_11comp_targetILNS1_3genE10ELNS1_11target_archE1201ELNS1_3gpuE5ELNS1_3repE0EEENS1_30default_config_static_selectorELNS0_4arch9wavefront6targetE0EEEvS14_,"axG",@progbits,_ZN7rocprim17ROCPRIM_400000_NS6detail17trampoline_kernelINS0_14default_configENS1_22reduce_config_selectorIN6thrust23THRUST_200600_302600_NS5tupleIblNS6_9null_typeES8_S8_S8_S8_S8_S8_S8_EEEEZNS1_11reduce_implILb1ES3_NS6_12zip_iteratorINS7_INS6_11hip_rocprim26transform_input_iterator_tIbNSD_35transform_pair_of_input_iterators_tIbNS6_6detail15normal_iteratorINS6_10device_ptrIKdEEEESL_NS6_8equal_toIdEEEENSG_9not_fun_tINSD_8identityEEEEENSD_19counting_iterator_tIlEES8_S8_S8_S8_S8_S8_S8_S8_EEEEPS9_S9_NSD_9__find_if7functorIS9_EEEE10hipError_tPvRmT1_T2_T3_mT4_P12ihipStream_tbEUlT_E1_NS1_11comp_targetILNS1_3genE10ELNS1_11target_archE1201ELNS1_3gpuE5ELNS1_3repE0EEENS1_30default_config_static_selectorELNS0_4arch9wavefront6targetE0EEEvS14_,comdat
	.protected	_ZN7rocprim17ROCPRIM_400000_NS6detail17trampoline_kernelINS0_14default_configENS1_22reduce_config_selectorIN6thrust23THRUST_200600_302600_NS5tupleIblNS6_9null_typeES8_S8_S8_S8_S8_S8_S8_EEEEZNS1_11reduce_implILb1ES3_NS6_12zip_iteratorINS7_INS6_11hip_rocprim26transform_input_iterator_tIbNSD_35transform_pair_of_input_iterators_tIbNS6_6detail15normal_iteratorINS6_10device_ptrIKdEEEESL_NS6_8equal_toIdEEEENSG_9not_fun_tINSD_8identityEEEEENSD_19counting_iterator_tIlEES8_S8_S8_S8_S8_S8_S8_S8_EEEEPS9_S9_NSD_9__find_if7functorIS9_EEEE10hipError_tPvRmT1_T2_T3_mT4_P12ihipStream_tbEUlT_E1_NS1_11comp_targetILNS1_3genE10ELNS1_11target_archE1201ELNS1_3gpuE5ELNS1_3repE0EEENS1_30default_config_static_selectorELNS0_4arch9wavefront6targetE0EEEvS14_ ; -- Begin function _ZN7rocprim17ROCPRIM_400000_NS6detail17trampoline_kernelINS0_14default_configENS1_22reduce_config_selectorIN6thrust23THRUST_200600_302600_NS5tupleIblNS6_9null_typeES8_S8_S8_S8_S8_S8_S8_EEEEZNS1_11reduce_implILb1ES3_NS6_12zip_iteratorINS7_INS6_11hip_rocprim26transform_input_iterator_tIbNSD_35transform_pair_of_input_iterators_tIbNS6_6detail15normal_iteratorINS6_10device_ptrIKdEEEESL_NS6_8equal_toIdEEEENSG_9not_fun_tINSD_8identityEEEEENSD_19counting_iterator_tIlEES8_S8_S8_S8_S8_S8_S8_S8_EEEEPS9_S9_NSD_9__find_if7functorIS9_EEEE10hipError_tPvRmT1_T2_T3_mT4_P12ihipStream_tbEUlT_E1_NS1_11comp_targetILNS1_3genE10ELNS1_11target_archE1201ELNS1_3gpuE5ELNS1_3repE0EEENS1_30default_config_static_selectorELNS0_4arch9wavefront6targetE0EEEvS14_
	.globl	_ZN7rocprim17ROCPRIM_400000_NS6detail17trampoline_kernelINS0_14default_configENS1_22reduce_config_selectorIN6thrust23THRUST_200600_302600_NS5tupleIblNS6_9null_typeES8_S8_S8_S8_S8_S8_S8_EEEEZNS1_11reduce_implILb1ES3_NS6_12zip_iteratorINS7_INS6_11hip_rocprim26transform_input_iterator_tIbNSD_35transform_pair_of_input_iterators_tIbNS6_6detail15normal_iteratorINS6_10device_ptrIKdEEEESL_NS6_8equal_toIdEEEENSG_9not_fun_tINSD_8identityEEEEENSD_19counting_iterator_tIlEES8_S8_S8_S8_S8_S8_S8_S8_EEEEPS9_S9_NSD_9__find_if7functorIS9_EEEE10hipError_tPvRmT1_T2_T3_mT4_P12ihipStream_tbEUlT_E1_NS1_11comp_targetILNS1_3genE10ELNS1_11target_archE1201ELNS1_3gpuE5ELNS1_3repE0EEENS1_30default_config_static_selectorELNS0_4arch9wavefront6targetE0EEEvS14_
	.p2align	8
	.type	_ZN7rocprim17ROCPRIM_400000_NS6detail17trampoline_kernelINS0_14default_configENS1_22reduce_config_selectorIN6thrust23THRUST_200600_302600_NS5tupleIblNS6_9null_typeES8_S8_S8_S8_S8_S8_S8_EEEEZNS1_11reduce_implILb1ES3_NS6_12zip_iteratorINS7_INS6_11hip_rocprim26transform_input_iterator_tIbNSD_35transform_pair_of_input_iterators_tIbNS6_6detail15normal_iteratorINS6_10device_ptrIKdEEEESL_NS6_8equal_toIdEEEENSG_9not_fun_tINSD_8identityEEEEENSD_19counting_iterator_tIlEES8_S8_S8_S8_S8_S8_S8_S8_EEEEPS9_S9_NSD_9__find_if7functorIS9_EEEE10hipError_tPvRmT1_T2_T3_mT4_P12ihipStream_tbEUlT_E1_NS1_11comp_targetILNS1_3genE10ELNS1_11target_archE1201ELNS1_3gpuE5ELNS1_3repE0EEENS1_30default_config_static_selectorELNS0_4arch9wavefront6targetE0EEEvS14_,@function
_ZN7rocprim17ROCPRIM_400000_NS6detail17trampoline_kernelINS0_14default_configENS1_22reduce_config_selectorIN6thrust23THRUST_200600_302600_NS5tupleIblNS6_9null_typeES8_S8_S8_S8_S8_S8_S8_EEEEZNS1_11reduce_implILb1ES3_NS6_12zip_iteratorINS7_INS6_11hip_rocprim26transform_input_iterator_tIbNSD_35transform_pair_of_input_iterators_tIbNS6_6detail15normal_iteratorINS6_10device_ptrIKdEEEESL_NS6_8equal_toIdEEEENSG_9not_fun_tINSD_8identityEEEEENSD_19counting_iterator_tIlEES8_S8_S8_S8_S8_S8_S8_S8_EEEEPS9_S9_NSD_9__find_if7functorIS9_EEEE10hipError_tPvRmT1_T2_T3_mT4_P12ihipStream_tbEUlT_E1_NS1_11comp_targetILNS1_3genE10ELNS1_11target_archE1201ELNS1_3gpuE5ELNS1_3repE0EEENS1_30default_config_static_selectorELNS0_4arch9wavefront6targetE0EEEvS14_: ; @_ZN7rocprim17ROCPRIM_400000_NS6detail17trampoline_kernelINS0_14default_configENS1_22reduce_config_selectorIN6thrust23THRUST_200600_302600_NS5tupleIblNS6_9null_typeES8_S8_S8_S8_S8_S8_S8_EEEEZNS1_11reduce_implILb1ES3_NS6_12zip_iteratorINS7_INS6_11hip_rocprim26transform_input_iterator_tIbNSD_35transform_pair_of_input_iterators_tIbNS6_6detail15normal_iteratorINS6_10device_ptrIKdEEEESL_NS6_8equal_toIdEEEENSG_9not_fun_tINSD_8identityEEEEENSD_19counting_iterator_tIlEES8_S8_S8_S8_S8_S8_S8_S8_EEEEPS9_S9_NSD_9__find_if7functorIS9_EEEE10hipError_tPvRmT1_T2_T3_mT4_P12ihipStream_tbEUlT_E1_NS1_11comp_targetILNS1_3genE10ELNS1_11target_archE1201ELNS1_3gpuE5ELNS1_3repE0EEENS1_30default_config_static_selectorELNS0_4arch9wavefront6targetE0EEEvS14_
; %bb.0:
	.section	.rodata,"a",@progbits
	.p2align	6, 0x0
	.amdhsa_kernel _ZN7rocprim17ROCPRIM_400000_NS6detail17trampoline_kernelINS0_14default_configENS1_22reduce_config_selectorIN6thrust23THRUST_200600_302600_NS5tupleIblNS6_9null_typeES8_S8_S8_S8_S8_S8_S8_EEEEZNS1_11reduce_implILb1ES3_NS6_12zip_iteratorINS7_INS6_11hip_rocprim26transform_input_iterator_tIbNSD_35transform_pair_of_input_iterators_tIbNS6_6detail15normal_iteratorINS6_10device_ptrIKdEEEESL_NS6_8equal_toIdEEEENSG_9not_fun_tINSD_8identityEEEEENSD_19counting_iterator_tIlEES8_S8_S8_S8_S8_S8_S8_S8_EEEEPS9_S9_NSD_9__find_if7functorIS9_EEEE10hipError_tPvRmT1_T2_T3_mT4_P12ihipStream_tbEUlT_E1_NS1_11comp_targetILNS1_3genE10ELNS1_11target_archE1201ELNS1_3gpuE5ELNS1_3repE0EEENS1_30default_config_static_selectorELNS0_4arch9wavefront6targetE0EEEvS14_
		.amdhsa_group_segment_fixed_size 0
		.amdhsa_private_segment_fixed_size 0
		.amdhsa_kernarg_size 88
		.amdhsa_user_sgpr_count 15
		.amdhsa_user_sgpr_dispatch_ptr 0
		.amdhsa_user_sgpr_queue_ptr 0
		.amdhsa_user_sgpr_kernarg_segment_ptr 1
		.amdhsa_user_sgpr_dispatch_id 0
		.amdhsa_user_sgpr_private_segment_size 0
		.amdhsa_wavefront_size32 1
		.amdhsa_uses_dynamic_stack 0
		.amdhsa_enable_private_segment 0
		.amdhsa_system_sgpr_workgroup_id_x 1
		.amdhsa_system_sgpr_workgroup_id_y 0
		.amdhsa_system_sgpr_workgroup_id_z 0
		.amdhsa_system_sgpr_workgroup_info 0
		.amdhsa_system_vgpr_workitem_id 0
		.amdhsa_next_free_vgpr 1
		.amdhsa_next_free_sgpr 1
		.amdhsa_reserve_vcc 0
		.amdhsa_float_round_mode_32 0
		.amdhsa_float_round_mode_16_64 0
		.amdhsa_float_denorm_mode_32 3
		.amdhsa_float_denorm_mode_16_64 3
		.amdhsa_dx10_clamp 1
		.amdhsa_ieee_mode 1
		.amdhsa_fp16_overflow 0
		.amdhsa_workgroup_processor_mode 1
		.amdhsa_memory_ordered 1
		.amdhsa_forward_progress 0
		.amdhsa_shared_vgpr_count 0
		.amdhsa_exception_fp_ieee_invalid_op 0
		.amdhsa_exception_fp_denorm_src 0
		.amdhsa_exception_fp_ieee_div_zero 0
		.amdhsa_exception_fp_ieee_overflow 0
		.amdhsa_exception_fp_ieee_underflow 0
		.amdhsa_exception_fp_ieee_inexact 0
		.amdhsa_exception_int_div_zero 0
	.end_amdhsa_kernel
	.section	.text._ZN7rocprim17ROCPRIM_400000_NS6detail17trampoline_kernelINS0_14default_configENS1_22reduce_config_selectorIN6thrust23THRUST_200600_302600_NS5tupleIblNS6_9null_typeES8_S8_S8_S8_S8_S8_S8_EEEEZNS1_11reduce_implILb1ES3_NS6_12zip_iteratorINS7_INS6_11hip_rocprim26transform_input_iterator_tIbNSD_35transform_pair_of_input_iterators_tIbNS6_6detail15normal_iteratorINS6_10device_ptrIKdEEEESL_NS6_8equal_toIdEEEENSG_9not_fun_tINSD_8identityEEEEENSD_19counting_iterator_tIlEES8_S8_S8_S8_S8_S8_S8_S8_EEEEPS9_S9_NSD_9__find_if7functorIS9_EEEE10hipError_tPvRmT1_T2_T3_mT4_P12ihipStream_tbEUlT_E1_NS1_11comp_targetILNS1_3genE10ELNS1_11target_archE1201ELNS1_3gpuE5ELNS1_3repE0EEENS1_30default_config_static_selectorELNS0_4arch9wavefront6targetE0EEEvS14_,"axG",@progbits,_ZN7rocprim17ROCPRIM_400000_NS6detail17trampoline_kernelINS0_14default_configENS1_22reduce_config_selectorIN6thrust23THRUST_200600_302600_NS5tupleIblNS6_9null_typeES8_S8_S8_S8_S8_S8_S8_EEEEZNS1_11reduce_implILb1ES3_NS6_12zip_iteratorINS7_INS6_11hip_rocprim26transform_input_iterator_tIbNSD_35transform_pair_of_input_iterators_tIbNS6_6detail15normal_iteratorINS6_10device_ptrIKdEEEESL_NS6_8equal_toIdEEEENSG_9not_fun_tINSD_8identityEEEEENSD_19counting_iterator_tIlEES8_S8_S8_S8_S8_S8_S8_S8_EEEEPS9_S9_NSD_9__find_if7functorIS9_EEEE10hipError_tPvRmT1_T2_T3_mT4_P12ihipStream_tbEUlT_E1_NS1_11comp_targetILNS1_3genE10ELNS1_11target_archE1201ELNS1_3gpuE5ELNS1_3repE0EEENS1_30default_config_static_selectorELNS0_4arch9wavefront6targetE0EEEvS14_,comdat
.Lfunc_end440:
	.size	_ZN7rocprim17ROCPRIM_400000_NS6detail17trampoline_kernelINS0_14default_configENS1_22reduce_config_selectorIN6thrust23THRUST_200600_302600_NS5tupleIblNS6_9null_typeES8_S8_S8_S8_S8_S8_S8_EEEEZNS1_11reduce_implILb1ES3_NS6_12zip_iteratorINS7_INS6_11hip_rocprim26transform_input_iterator_tIbNSD_35transform_pair_of_input_iterators_tIbNS6_6detail15normal_iteratorINS6_10device_ptrIKdEEEESL_NS6_8equal_toIdEEEENSG_9not_fun_tINSD_8identityEEEEENSD_19counting_iterator_tIlEES8_S8_S8_S8_S8_S8_S8_S8_EEEEPS9_S9_NSD_9__find_if7functorIS9_EEEE10hipError_tPvRmT1_T2_T3_mT4_P12ihipStream_tbEUlT_E1_NS1_11comp_targetILNS1_3genE10ELNS1_11target_archE1201ELNS1_3gpuE5ELNS1_3repE0EEENS1_30default_config_static_selectorELNS0_4arch9wavefront6targetE0EEEvS14_, .Lfunc_end440-_ZN7rocprim17ROCPRIM_400000_NS6detail17trampoline_kernelINS0_14default_configENS1_22reduce_config_selectorIN6thrust23THRUST_200600_302600_NS5tupleIblNS6_9null_typeES8_S8_S8_S8_S8_S8_S8_EEEEZNS1_11reduce_implILb1ES3_NS6_12zip_iteratorINS7_INS6_11hip_rocprim26transform_input_iterator_tIbNSD_35transform_pair_of_input_iterators_tIbNS6_6detail15normal_iteratorINS6_10device_ptrIKdEEEESL_NS6_8equal_toIdEEEENSG_9not_fun_tINSD_8identityEEEEENSD_19counting_iterator_tIlEES8_S8_S8_S8_S8_S8_S8_S8_EEEEPS9_S9_NSD_9__find_if7functorIS9_EEEE10hipError_tPvRmT1_T2_T3_mT4_P12ihipStream_tbEUlT_E1_NS1_11comp_targetILNS1_3genE10ELNS1_11target_archE1201ELNS1_3gpuE5ELNS1_3repE0EEENS1_30default_config_static_selectorELNS0_4arch9wavefront6targetE0EEEvS14_
                                        ; -- End function
	.section	.AMDGPU.csdata,"",@progbits
; Kernel info:
; codeLenInByte = 0
; NumSgprs: 0
; NumVgprs: 0
; ScratchSize: 0
; MemoryBound: 0
; FloatMode: 240
; IeeeMode: 1
; LDSByteSize: 0 bytes/workgroup (compile time only)
; SGPRBlocks: 0
; VGPRBlocks: 0
; NumSGPRsForWavesPerEU: 1
; NumVGPRsForWavesPerEU: 1
; Occupancy: 16
; WaveLimiterHint : 0
; COMPUTE_PGM_RSRC2:SCRATCH_EN: 0
; COMPUTE_PGM_RSRC2:USER_SGPR: 15
; COMPUTE_PGM_RSRC2:TRAP_HANDLER: 0
; COMPUTE_PGM_RSRC2:TGID_X_EN: 1
; COMPUTE_PGM_RSRC2:TGID_Y_EN: 0
; COMPUTE_PGM_RSRC2:TGID_Z_EN: 0
; COMPUTE_PGM_RSRC2:TIDIG_COMP_CNT: 0
	.section	.text._ZN7rocprim17ROCPRIM_400000_NS6detail17trampoline_kernelINS0_14default_configENS1_22reduce_config_selectorIN6thrust23THRUST_200600_302600_NS5tupleIblNS6_9null_typeES8_S8_S8_S8_S8_S8_S8_EEEEZNS1_11reduce_implILb1ES3_NS6_12zip_iteratorINS7_INS6_11hip_rocprim26transform_input_iterator_tIbNSD_35transform_pair_of_input_iterators_tIbNS6_6detail15normal_iteratorINS6_10device_ptrIKdEEEESL_NS6_8equal_toIdEEEENSG_9not_fun_tINSD_8identityEEEEENSD_19counting_iterator_tIlEES8_S8_S8_S8_S8_S8_S8_S8_EEEEPS9_S9_NSD_9__find_if7functorIS9_EEEE10hipError_tPvRmT1_T2_T3_mT4_P12ihipStream_tbEUlT_E1_NS1_11comp_targetILNS1_3genE10ELNS1_11target_archE1200ELNS1_3gpuE4ELNS1_3repE0EEENS1_30default_config_static_selectorELNS0_4arch9wavefront6targetE0EEEvS14_,"axG",@progbits,_ZN7rocprim17ROCPRIM_400000_NS6detail17trampoline_kernelINS0_14default_configENS1_22reduce_config_selectorIN6thrust23THRUST_200600_302600_NS5tupleIblNS6_9null_typeES8_S8_S8_S8_S8_S8_S8_EEEEZNS1_11reduce_implILb1ES3_NS6_12zip_iteratorINS7_INS6_11hip_rocprim26transform_input_iterator_tIbNSD_35transform_pair_of_input_iterators_tIbNS6_6detail15normal_iteratorINS6_10device_ptrIKdEEEESL_NS6_8equal_toIdEEEENSG_9not_fun_tINSD_8identityEEEEENSD_19counting_iterator_tIlEES8_S8_S8_S8_S8_S8_S8_S8_EEEEPS9_S9_NSD_9__find_if7functorIS9_EEEE10hipError_tPvRmT1_T2_T3_mT4_P12ihipStream_tbEUlT_E1_NS1_11comp_targetILNS1_3genE10ELNS1_11target_archE1200ELNS1_3gpuE4ELNS1_3repE0EEENS1_30default_config_static_selectorELNS0_4arch9wavefront6targetE0EEEvS14_,comdat
	.protected	_ZN7rocprim17ROCPRIM_400000_NS6detail17trampoline_kernelINS0_14default_configENS1_22reduce_config_selectorIN6thrust23THRUST_200600_302600_NS5tupleIblNS6_9null_typeES8_S8_S8_S8_S8_S8_S8_EEEEZNS1_11reduce_implILb1ES3_NS6_12zip_iteratorINS7_INS6_11hip_rocprim26transform_input_iterator_tIbNSD_35transform_pair_of_input_iterators_tIbNS6_6detail15normal_iteratorINS6_10device_ptrIKdEEEESL_NS6_8equal_toIdEEEENSG_9not_fun_tINSD_8identityEEEEENSD_19counting_iterator_tIlEES8_S8_S8_S8_S8_S8_S8_S8_EEEEPS9_S9_NSD_9__find_if7functorIS9_EEEE10hipError_tPvRmT1_T2_T3_mT4_P12ihipStream_tbEUlT_E1_NS1_11comp_targetILNS1_3genE10ELNS1_11target_archE1200ELNS1_3gpuE4ELNS1_3repE0EEENS1_30default_config_static_selectorELNS0_4arch9wavefront6targetE0EEEvS14_ ; -- Begin function _ZN7rocprim17ROCPRIM_400000_NS6detail17trampoline_kernelINS0_14default_configENS1_22reduce_config_selectorIN6thrust23THRUST_200600_302600_NS5tupleIblNS6_9null_typeES8_S8_S8_S8_S8_S8_S8_EEEEZNS1_11reduce_implILb1ES3_NS6_12zip_iteratorINS7_INS6_11hip_rocprim26transform_input_iterator_tIbNSD_35transform_pair_of_input_iterators_tIbNS6_6detail15normal_iteratorINS6_10device_ptrIKdEEEESL_NS6_8equal_toIdEEEENSG_9not_fun_tINSD_8identityEEEEENSD_19counting_iterator_tIlEES8_S8_S8_S8_S8_S8_S8_S8_EEEEPS9_S9_NSD_9__find_if7functorIS9_EEEE10hipError_tPvRmT1_T2_T3_mT4_P12ihipStream_tbEUlT_E1_NS1_11comp_targetILNS1_3genE10ELNS1_11target_archE1200ELNS1_3gpuE4ELNS1_3repE0EEENS1_30default_config_static_selectorELNS0_4arch9wavefront6targetE0EEEvS14_
	.globl	_ZN7rocprim17ROCPRIM_400000_NS6detail17trampoline_kernelINS0_14default_configENS1_22reduce_config_selectorIN6thrust23THRUST_200600_302600_NS5tupleIblNS6_9null_typeES8_S8_S8_S8_S8_S8_S8_EEEEZNS1_11reduce_implILb1ES3_NS6_12zip_iteratorINS7_INS6_11hip_rocprim26transform_input_iterator_tIbNSD_35transform_pair_of_input_iterators_tIbNS6_6detail15normal_iteratorINS6_10device_ptrIKdEEEESL_NS6_8equal_toIdEEEENSG_9not_fun_tINSD_8identityEEEEENSD_19counting_iterator_tIlEES8_S8_S8_S8_S8_S8_S8_S8_EEEEPS9_S9_NSD_9__find_if7functorIS9_EEEE10hipError_tPvRmT1_T2_T3_mT4_P12ihipStream_tbEUlT_E1_NS1_11comp_targetILNS1_3genE10ELNS1_11target_archE1200ELNS1_3gpuE4ELNS1_3repE0EEENS1_30default_config_static_selectorELNS0_4arch9wavefront6targetE0EEEvS14_
	.p2align	8
	.type	_ZN7rocprim17ROCPRIM_400000_NS6detail17trampoline_kernelINS0_14default_configENS1_22reduce_config_selectorIN6thrust23THRUST_200600_302600_NS5tupleIblNS6_9null_typeES8_S8_S8_S8_S8_S8_S8_EEEEZNS1_11reduce_implILb1ES3_NS6_12zip_iteratorINS7_INS6_11hip_rocprim26transform_input_iterator_tIbNSD_35transform_pair_of_input_iterators_tIbNS6_6detail15normal_iteratorINS6_10device_ptrIKdEEEESL_NS6_8equal_toIdEEEENSG_9not_fun_tINSD_8identityEEEEENSD_19counting_iterator_tIlEES8_S8_S8_S8_S8_S8_S8_S8_EEEEPS9_S9_NSD_9__find_if7functorIS9_EEEE10hipError_tPvRmT1_T2_T3_mT4_P12ihipStream_tbEUlT_E1_NS1_11comp_targetILNS1_3genE10ELNS1_11target_archE1200ELNS1_3gpuE4ELNS1_3repE0EEENS1_30default_config_static_selectorELNS0_4arch9wavefront6targetE0EEEvS14_,@function
_ZN7rocprim17ROCPRIM_400000_NS6detail17trampoline_kernelINS0_14default_configENS1_22reduce_config_selectorIN6thrust23THRUST_200600_302600_NS5tupleIblNS6_9null_typeES8_S8_S8_S8_S8_S8_S8_EEEEZNS1_11reduce_implILb1ES3_NS6_12zip_iteratorINS7_INS6_11hip_rocprim26transform_input_iterator_tIbNSD_35transform_pair_of_input_iterators_tIbNS6_6detail15normal_iteratorINS6_10device_ptrIKdEEEESL_NS6_8equal_toIdEEEENSG_9not_fun_tINSD_8identityEEEEENSD_19counting_iterator_tIlEES8_S8_S8_S8_S8_S8_S8_S8_EEEEPS9_S9_NSD_9__find_if7functorIS9_EEEE10hipError_tPvRmT1_T2_T3_mT4_P12ihipStream_tbEUlT_E1_NS1_11comp_targetILNS1_3genE10ELNS1_11target_archE1200ELNS1_3gpuE4ELNS1_3repE0EEENS1_30default_config_static_selectorELNS0_4arch9wavefront6targetE0EEEvS14_: ; @_ZN7rocprim17ROCPRIM_400000_NS6detail17trampoline_kernelINS0_14default_configENS1_22reduce_config_selectorIN6thrust23THRUST_200600_302600_NS5tupleIblNS6_9null_typeES8_S8_S8_S8_S8_S8_S8_EEEEZNS1_11reduce_implILb1ES3_NS6_12zip_iteratorINS7_INS6_11hip_rocprim26transform_input_iterator_tIbNSD_35transform_pair_of_input_iterators_tIbNS6_6detail15normal_iteratorINS6_10device_ptrIKdEEEESL_NS6_8equal_toIdEEEENSG_9not_fun_tINSD_8identityEEEEENSD_19counting_iterator_tIlEES8_S8_S8_S8_S8_S8_S8_S8_EEEEPS9_S9_NSD_9__find_if7functorIS9_EEEE10hipError_tPvRmT1_T2_T3_mT4_P12ihipStream_tbEUlT_E1_NS1_11comp_targetILNS1_3genE10ELNS1_11target_archE1200ELNS1_3gpuE4ELNS1_3repE0EEENS1_30default_config_static_selectorELNS0_4arch9wavefront6targetE0EEEvS14_
; %bb.0:
	.section	.rodata,"a",@progbits
	.p2align	6, 0x0
	.amdhsa_kernel _ZN7rocprim17ROCPRIM_400000_NS6detail17trampoline_kernelINS0_14default_configENS1_22reduce_config_selectorIN6thrust23THRUST_200600_302600_NS5tupleIblNS6_9null_typeES8_S8_S8_S8_S8_S8_S8_EEEEZNS1_11reduce_implILb1ES3_NS6_12zip_iteratorINS7_INS6_11hip_rocprim26transform_input_iterator_tIbNSD_35transform_pair_of_input_iterators_tIbNS6_6detail15normal_iteratorINS6_10device_ptrIKdEEEESL_NS6_8equal_toIdEEEENSG_9not_fun_tINSD_8identityEEEEENSD_19counting_iterator_tIlEES8_S8_S8_S8_S8_S8_S8_S8_EEEEPS9_S9_NSD_9__find_if7functorIS9_EEEE10hipError_tPvRmT1_T2_T3_mT4_P12ihipStream_tbEUlT_E1_NS1_11comp_targetILNS1_3genE10ELNS1_11target_archE1200ELNS1_3gpuE4ELNS1_3repE0EEENS1_30default_config_static_selectorELNS0_4arch9wavefront6targetE0EEEvS14_
		.amdhsa_group_segment_fixed_size 0
		.amdhsa_private_segment_fixed_size 0
		.amdhsa_kernarg_size 88
		.amdhsa_user_sgpr_count 15
		.amdhsa_user_sgpr_dispatch_ptr 0
		.amdhsa_user_sgpr_queue_ptr 0
		.amdhsa_user_sgpr_kernarg_segment_ptr 1
		.amdhsa_user_sgpr_dispatch_id 0
		.amdhsa_user_sgpr_private_segment_size 0
		.amdhsa_wavefront_size32 1
		.amdhsa_uses_dynamic_stack 0
		.amdhsa_enable_private_segment 0
		.amdhsa_system_sgpr_workgroup_id_x 1
		.amdhsa_system_sgpr_workgroup_id_y 0
		.amdhsa_system_sgpr_workgroup_id_z 0
		.amdhsa_system_sgpr_workgroup_info 0
		.amdhsa_system_vgpr_workitem_id 0
		.amdhsa_next_free_vgpr 1
		.amdhsa_next_free_sgpr 1
		.amdhsa_reserve_vcc 0
		.amdhsa_float_round_mode_32 0
		.amdhsa_float_round_mode_16_64 0
		.amdhsa_float_denorm_mode_32 3
		.amdhsa_float_denorm_mode_16_64 3
		.amdhsa_dx10_clamp 1
		.amdhsa_ieee_mode 1
		.amdhsa_fp16_overflow 0
		.amdhsa_workgroup_processor_mode 1
		.amdhsa_memory_ordered 1
		.amdhsa_forward_progress 0
		.amdhsa_shared_vgpr_count 0
		.amdhsa_exception_fp_ieee_invalid_op 0
		.amdhsa_exception_fp_denorm_src 0
		.amdhsa_exception_fp_ieee_div_zero 0
		.amdhsa_exception_fp_ieee_overflow 0
		.amdhsa_exception_fp_ieee_underflow 0
		.amdhsa_exception_fp_ieee_inexact 0
		.amdhsa_exception_int_div_zero 0
	.end_amdhsa_kernel
	.section	.text._ZN7rocprim17ROCPRIM_400000_NS6detail17trampoline_kernelINS0_14default_configENS1_22reduce_config_selectorIN6thrust23THRUST_200600_302600_NS5tupleIblNS6_9null_typeES8_S8_S8_S8_S8_S8_S8_EEEEZNS1_11reduce_implILb1ES3_NS6_12zip_iteratorINS7_INS6_11hip_rocprim26transform_input_iterator_tIbNSD_35transform_pair_of_input_iterators_tIbNS6_6detail15normal_iteratorINS6_10device_ptrIKdEEEESL_NS6_8equal_toIdEEEENSG_9not_fun_tINSD_8identityEEEEENSD_19counting_iterator_tIlEES8_S8_S8_S8_S8_S8_S8_S8_EEEEPS9_S9_NSD_9__find_if7functorIS9_EEEE10hipError_tPvRmT1_T2_T3_mT4_P12ihipStream_tbEUlT_E1_NS1_11comp_targetILNS1_3genE10ELNS1_11target_archE1200ELNS1_3gpuE4ELNS1_3repE0EEENS1_30default_config_static_selectorELNS0_4arch9wavefront6targetE0EEEvS14_,"axG",@progbits,_ZN7rocprim17ROCPRIM_400000_NS6detail17trampoline_kernelINS0_14default_configENS1_22reduce_config_selectorIN6thrust23THRUST_200600_302600_NS5tupleIblNS6_9null_typeES8_S8_S8_S8_S8_S8_S8_EEEEZNS1_11reduce_implILb1ES3_NS6_12zip_iteratorINS7_INS6_11hip_rocprim26transform_input_iterator_tIbNSD_35transform_pair_of_input_iterators_tIbNS6_6detail15normal_iteratorINS6_10device_ptrIKdEEEESL_NS6_8equal_toIdEEEENSG_9not_fun_tINSD_8identityEEEEENSD_19counting_iterator_tIlEES8_S8_S8_S8_S8_S8_S8_S8_EEEEPS9_S9_NSD_9__find_if7functorIS9_EEEE10hipError_tPvRmT1_T2_T3_mT4_P12ihipStream_tbEUlT_E1_NS1_11comp_targetILNS1_3genE10ELNS1_11target_archE1200ELNS1_3gpuE4ELNS1_3repE0EEENS1_30default_config_static_selectorELNS0_4arch9wavefront6targetE0EEEvS14_,comdat
.Lfunc_end441:
	.size	_ZN7rocprim17ROCPRIM_400000_NS6detail17trampoline_kernelINS0_14default_configENS1_22reduce_config_selectorIN6thrust23THRUST_200600_302600_NS5tupleIblNS6_9null_typeES8_S8_S8_S8_S8_S8_S8_EEEEZNS1_11reduce_implILb1ES3_NS6_12zip_iteratorINS7_INS6_11hip_rocprim26transform_input_iterator_tIbNSD_35transform_pair_of_input_iterators_tIbNS6_6detail15normal_iteratorINS6_10device_ptrIKdEEEESL_NS6_8equal_toIdEEEENSG_9not_fun_tINSD_8identityEEEEENSD_19counting_iterator_tIlEES8_S8_S8_S8_S8_S8_S8_S8_EEEEPS9_S9_NSD_9__find_if7functorIS9_EEEE10hipError_tPvRmT1_T2_T3_mT4_P12ihipStream_tbEUlT_E1_NS1_11comp_targetILNS1_3genE10ELNS1_11target_archE1200ELNS1_3gpuE4ELNS1_3repE0EEENS1_30default_config_static_selectorELNS0_4arch9wavefront6targetE0EEEvS14_, .Lfunc_end441-_ZN7rocprim17ROCPRIM_400000_NS6detail17trampoline_kernelINS0_14default_configENS1_22reduce_config_selectorIN6thrust23THRUST_200600_302600_NS5tupleIblNS6_9null_typeES8_S8_S8_S8_S8_S8_S8_EEEEZNS1_11reduce_implILb1ES3_NS6_12zip_iteratorINS7_INS6_11hip_rocprim26transform_input_iterator_tIbNSD_35transform_pair_of_input_iterators_tIbNS6_6detail15normal_iteratorINS6_10device_ptrIKdEEEESL_NS6_8equal_toIdEEEENSG_9not_fun_tINSD_8identityEEEEENSD_19counting_iterator_tIlEES8_S8_S8_S8_S8_S8_S8_S8_EEEEPS9_S9_NSD_9__find_if7functorIS9_EEEE10hipError_tPvRmT1_T2_T3_mT4_P12ihipStream_tbEUlT_E1_NS1_11comp_targetILNS1_3genE10ELNS1_11target_archE1200ELNS1_3gpuE4ELNS1_3repE0EEENS1_30default_config_static_selectorELNS0_4arch9wavefront6targetE0EEEvS14_
                                        ; -- End function
	.section	.AMDGPU.csdata,"",@progbits
; Kernel info:
; codeLenInByte = 0
; NumSgprs: 0
; NumVgprs: 0
; ScratchSize: 0
; MemoryBound: 0
; FloatMode: 240
; IeeeMode: 1
; LDSByteSize: 0 bytes/workgroup (compile time only)
; SGPRBlocks: 0
; VGPRBlocks: 0
; NumSGPRsForWavesPerEU: 1
; NumVGPRsForWavesPerEU: 1
; Occupancy: 16
; WaveLimiterHint : 0
; COMPUTE_PGM_RSRC2:SCRATCH_EN: 0
; COMPUTE_PGM_RSRC2:USER_SGPR: 15
; COMPUTE_PGM_RSRC2:TRAP_HANDLER: 0
; COMPUTE_PGM_RSRC2:TGID_X_EN: 1
; COMPUTE_PGM_RSRC2:TGID_Y_EN: 0
; COMPUTE_PGM_RSRC2:TGID_Z_EN: 0
; COMPUTE_PGM_RSRC2:TIDIG_COMP_CNT: 0
	.section	.text._ZN7rocprim17ROCPRIM_400000_NS6detail17trampoline_kernelINS0_14default_configENS1_22reduce_config_selectorIN6thrust23THRUST_200600_302600_NS5tupleIblNS6_9null_typeES8_S8_S8_S8_S8_S8_S8_EEEEZNS1_11reduce_implILb1ES3_NS6_12zip_iteratorINS7_INS6_11hip_rocprim26transform_input_iterator_tIbNSD_35transform_pair_of_input_iterators_tIbNS6_6detail15normal_iteratorINS6_10device_ptrIKdEEEESL_NS6_8equal_toIdEEEENSG_9not_fun_tINSD_8identityEEEEENSD_19counting_iterator_tIlEES8_S8_S8_S8_S8_S8_S8_S8_EEEEPS9_S9_NSD_9__find_if7functorIS9_EEEE10hipError_tPvRmT1_T2_T3_mT4_P12ihipStream_tbEUlT_E1_NS1_11comp_targetILNS1_3genE9ELNS1_11target_archE1100ELNS1_3gpuE3ELNS1_3repE0EEENS1_30default_config_static_selectorELNS0_4arch9wavefront6targetE0EEEvS14_,"axG",@progbits,_ZN7rocprim17ROCPRIM_400000_NS6detail17trampoline_kernelINS0_14default_configENS1_22reduce_config_selectorIN6thrust23THRUST_200600_302600_NS5tupleIblNS6_9null_typeES8_S8_S8_S8_S8_S8_S8_EEEEZNS1_11reduce_implILb1ES3_NS6_12zip_iteratorINS7_INS6_11hip_rocprim26transform_input_iterator_tIbNSD_35transform_pair_of_input_iterators_tIbNS6_6detail15normal_iteratorINS6_10device_ptrIKdEEEESL_NS6_8equal_toIdEEEENSG_9not_fun_tINSD_8identityEEEEENSD_19counting_iterator_tIlEES8_S8_S8_S8_S8_S8_S8_S8_EEEEPS9_S9_NSD_9__find_if7functorIS9_EEEE10hipError_tPvRmT1_T2_T3_mT4_P12ihipStream_tbEUlT_E1_NS1_11comp_targetILNS1_3genE9ELNS1_11target_archE1100ELNS1_3gpuE3ELNS1_3repE0EEENS1_30default_config_static_selectorELNS0_4arch9wavefront6targetE0EEEvS14_,comdat
	.protected	_ZN7rocprim17ROCPRIM_400000_NS6detail17trampoline_kernelINS0_14default_configENS1_22reduce_config_selectorIN6thrust23THRUST_200600_302600_NS5tupleIblNS6_9null_typeES8_S8_S8_S8_S8_S8_S8_EEEEZNS1_11reduce_implILb1ES3_NS6_12zip_iteratorINS7_INS6_11hip_rocprim26transform_input_iterator_tIbNSD_35transform_pair_of_input_iterators_tIbNS6_6detail15normal_iteratorINS6_10device_ptrIKdEEEESL_NS6_8equal_toIdEEEENSG_9not_fun_tINSD_8identityEEEEENSD_19counting_iterator_tIlEES8_S8_S8_S8_S8_S8_S8_S8_EEEEPS9_S9_NSD_9__find_if7functorIS9_EEEE10hipError_tPvRmT1_T2_T3_mT4_P12ihipStream_tbEUlT_E1_NS1_11comp_targetILNS1_3genE9ELNS1_11target_archE1100ELNS1_3gpuE3ELNS1_3repE0EEENS1_30default_config_static_selectorELNS0_4arch9wavefront6targetE0EEEvS14_ ; -- Begin function _ZN7rocprim17ROCPRIM_400000_NS6detail17trampoline_kernelINS0_14default_configENS1_22reduce_config_selectorIN6thrust23THRUST_200600_302600_NS5tupleIblNS6_9null_typeES8_S8_S8_S8_S8_S8_S8_EEEEZNS1_11reduce_implILb1ES3_NS6_12zip_iteratorINS7_INS6_11hip_rocprim26transform_input_iterator_tIbNSD_35transform_pair_of_input_iterators_tIbNS6_6detail15normal_iteratorINS6_10device_ptrIKdEEEESL_NS6_8equal_toIdEEEENSG_9not_fun_tINSD_8identityEEEEENSD_19counting_iterator_tIlEES8_S8_S8_S8_S8_S8_S8_S8_EEEEPS9_S9_NSD_9__find_if7functorIS9_EEEE10hipError_tPvRmT1_T2_T3_mT4_P12ihipStream_tbEUlT_E1_NS1_11comp_targetILNS1_3genE9ELNS1_11target_archE1100ELNS1_3gpuE3ELNS1_3repE0EEENS1_30default_config_static_selectorELNS0_4arch9wavefront6targetE0EEEvS14_
	.globl	_ZN7rocprim17ROCPRIM_400000_NS6detail17trampoline_kernelINS0_14default_configENS1_22reduce_config_selectorIN6thrust23THRUST_200600_302600_NS5tupleIblNS6_9null_typeES8_S8_S8_S8_S8_S8_S8_EEEEZNS1_11reduce_implILb1ES3_NS6_12zip_iteratorINS7_INS6_11hip_rocprim26transform_input_iterator_tIbNSD_35transform_pair_of_input_iterators_tIbNS6_6detail15normal_iteratorINS6_10device_ptrIKdEEEESL_NS6_8equal_toIdEEEENSG_9not_fun_tINSD_8identityEEEEENSD_19counting_iterator_tIlEES8_S8_S8_S8_S8_S8_S8_S8_EEEEPS9_S9_NSD_9__find_if7functorIS9_EEEE10hipError_tPvRmT1_T2_T3_mT4_P12ihipStream_tbEUlT_E1_NS1_11comp_targetILNS1_3genE9ELNS1_11target_archE1100ELNS1_3gpuE3ELNS1_3repE0EEENS1_30default_config_static_selectorELNS0_4arch9wavefront6targetE0EEEvS14_
	.p2align	8
	.type	_ZN7rocprim17ROCPRIM_400000_NS6detail17trampoline_kernelINS0_14default_configENS1_22reduce_config_selectorIN6thrust23THRUST_200600_302600_NS5tupleIblNS6_9null_typeES8_S8_S8_S8_S8_S8_S8_EEEEZNS1_11reduce_implILb1ES3_NS6_12zip_iteratorINS7_INS6_11hip_rocprim26transform_input_iterator_tIbNSD_35transform_pair_of_input_iterators_tIbNS6_6detail15normal_iteratorINS6_10device_ptrIKdEEEESL_NS6_8equal_toIdEEEENSG_9not_fun_tINSD_8identityEEEEENSD_19counting_iterator_tIlEES8_S8_S8_S8_S8_S8_S8_S8_EEEEPS9_S9_NSD_9__find_if7functorIS9_EEEE10hipError_tPvRmT1_T2_T3_mT4_P12ihipStream_tbEUlT_E1_NS1_11comp_targetILNS1_3genE9ELNS1_11target_archE1100ELNS1_3gpuE3ELNS1_3repE0EEENS1_30default_config_static_selectorELNS0_4arch9wavefront6targetE0EEEvS14_,@function
_ZN7rocprim17ROCPRIM_400000_NS6detail17trampoline_kernelINS0_14default_configENS1_22reduce_config_selectorIN6thrust23THRUST_200600_302600_NS5tupleIblNS6_9null_typeES8_S8_S8_S8_S8_S8_S8_EEEEZNS1_11reduce_implILb1ES3_NS6_12zip_iteratorINS7_INS6_11hip_rocprim26transform_input_iterator_tIbNSD_35transform_pair_of_input_iterators_tIbNS6_6detail15normal_iteratorINS6_10device_ptrIKdEEEESL_NS6_8equal_toIdEEEENSG_9not_fun_tINSD_8identityEEEEENSD_19counting_iterator_tIlEES8_S8_S8_S8_S8_S8_S8_S8_EEEEPS9_S9_NSD_9__find_if7functorIS9_EEEE10hipError_tPvRmT1_T2_T3_mT4_P12ihipStream_tbEUlT_E1_NS1_11comp_targetILNS1_3genE9ELNS1_11target_archE1100ELNS1_3gpuE3ELNS1_3repE0EEENS1_30default_config_static_selectorELNS0_4arch9wavefront6targetE0EEEvS14_: ; @_ZN7rocprim17ROCPRIM_400000_NS6detail17trampoline_kernelINS0_14default_configENS1_22reduce_config_selectorIN6thrust23THRUST_200600_302600_NS5tupleIblNS6_9null_typeES8_S8_S8_S8_S8_S8_S8_EEEEZNS1_11reduce_implILb1ES3_NS6_12zip_iteratorINS7_INS6_11hip_rocprim26transform_input_iterator_tIbNSD_35transform_pair_of_input_iterators_tIbNS6_6detail15normal_iteratorINS6_10device_ptrIKdEEEESL_NS6_8equal_toIdEEEENSG_9not_fun_tINSD_8identityEEEEENSD_19counting_iterator_tIlEES8_S8_S8_S8_S8_S8_S8_S8_EEEEPS9_S9_NSD_9__find_if7functorIS9_EEEE10hipError_tPvRmT1_T2_T3_mT4_P12ihipStream_tbEUlT_E1_NS1_11comp_targetILNS1_3genE9ELNS1_11target_archE1100ELNS1_3gpuE3ELNS1_3repE0EEENS1_30default_config_static_selectorELNS0_4arch9wavefront6targetE0EEEvS14_
; %bb.0:
	s_mov_b32 s10, s15
	s_clause 0x4
	s_load_b32 s29, s[0:1], 0x4
	s_load_b128 s[16:19], s[0:1], 0x8
	s_load_b128 s[12:15], s[0:1], 0x28
	s_load_b32 s28, s[0:1], 0x40
	s_load_b64 s[20:21], s[0:1], 0x48
	s_waitcnt lgkmcnt(0)
	s_cmp_lt_i32 s29, 4
	s_cbranch_scc1 .LBB442_19
; %bb.1:
	s_cmp_gt_i32 s29, 7
	s_cbranch_scc0 .LBB442_20
; %bb.2:
	s_cmp_eq_u32 s29, 8
	s_mov_b32 s9, 0
	s_cbranch_scc0 .LBB442_21
; %bb.3:
	s_mov_b32 s11, 0
	s_lshl_b32 s26, s10, 11
	s_mov_b32 s27, s11
	s_lshr_b64 s[4:5], s[14:15], 11
	s_lshl_b64 s[2:3], s[26:27], 3
	s_delay_alu instid0(SALU_CYCLE_1)
	s_add_u32 s22, s16, s2
	s_addc_u32 s23, s17, s3
	s_add_u32 s24, s18, s2
	s_addc_u32 s25, s19, s3
	;; [unrolled: 2-line block ×3, first 2 shown]
	s_cmp_lg_u64 s[4:5], s[10:11]
	s_cbranch_scc0 .LBB442_40
; %bb.4:
	v_lshlrev_b32_e32 v7, 3, v0
	v_mov_b32_e32 v33, 0x100
	s_delay_alu instid0(VALU_DEP_2) | instskip(NEXT) | instid1(VALU_DEP_1)
	v_add_co_u32 v27, s2, s22, v7
	v_add_co_ci_u32_e64 v28, null, s23, 0, s2
	v_add_co_u32 v25, s2, s24, v7
	s_delay_alu instid0(VALU_DEP_3) | instskip(NEXT) | instid1(VALU_DEP_3)
	v_add_co_u32 v9, vcc_lo, 0x1000, v27
	v_add_co_ci_u32_e32 v10, vcc_lo, 0, v28, vcc_lo
	v_add_co_ci_u32_e64 v26, null, s25, 0, s2
	v_add_co_u32 v11, vcc_lo, v27, 0x2000
	v_add_co_ci_u32_e32 v12, vcc_lo, 0, v28, vcc_lo
	v_add_co_u32 v13, vcc_lo, 0x1000, v25
	s_delay_alu instid0(VALU_DEP_4)
	v_add_co_ci_u32_e32 v14, vcc_lo, 0, v26, vcc_lo
	v_add_co_u32 v15, vcc_lo, v25, 0x2000
	s_clause 0x3
	global_load_b64 v[1:2], v7, s[22:23]
	global_load_b64 v[3:4], v7, s[24:25] offset:2048
	global_load_b64 v[5:6], v7, s[24:25]
	global_load_b64 v[7:8], v7, s[22:23] offset:2048
	v_add_co_ci_u32_e32 v16, vcc_lo, 0, v26, vcc_lo
	v_add_co_u32 v17, vcc_lo, 0x2000, v27
	v_add_co_ci_u32_e32 v18, vcc_lo, 0, v28, vcc_lo
	v_add_co_u32 v21, vcc_lo, 0x2000, v25
	global_load_b64 v[9:10], v[9:10], off offset:2048
	global_load_b64 v[13:14], v[13:14], off offset:2048
	v_add_co_ci_u32_e32 v22, vcc_lo, 0, v26, vcc_lo
	v_add_co_u32 v25, vcc_lo, 0x3000, v25
	s_clause 0x1
	global_load_b64 v[19:20], v[11:12], off offset:-4096
	global_load_b64 v[11:12], v[11:12], off
	s_clause 0x1
	global_load_b64 v[23:24], v[15:16], off offset:-4096
	global_load_b64 v[15:16], v[15:16], off
	v_add_co_ci_u32_e32 v26, vcc_lo, 0, v26, vcc_lo
	v_add_co_u32 v27, vcc_lo, 0x3000, v27
	v_add_co_ci_u32_e32 v28, vcc_lo, 0, v28, vcc_lo
	global_load_b64 v[17:18], v[17:18], off offset:2048
	s_clause 0x1
	global_load_b64 v[21:22], v[21:22], off offset:2048
	global_load_b64 v[29:30], v[25:26], off
	s_clause 0x1
	global_load_b64 v[31:32], v[27:28], off
	global_load_b64 v[27:28], v[27:28], off offset:2048
	global_load_b64 v[25:26], v[25:26], off offset:2048
	s_waitcnt vmcnt(13)
	v_cmp_neq_f64_e64 s2, v[1:2], v[5:6]
	v_mov_b32_e32 v2, 0x500
	s_waitcnt vmcnt(12)
	v_cmp_neq_f64_e32 vcc_lo, v[7:8], v[3:4]
	v_mov_b32_e32 v1, 0x300
	s_waitcnt vmcnt(10)
	v_cmp_neq_f64_e64 s4, v[9:10], v[13:14]
	s_waitcnt vmcnt(7)
	v_cmp_neq_f64_e64 s3, v[19:20], v[23:24]
	;; [unrolled: 2-line block ×6, first 2 shown]
	v_cndmask_b32_e32 v3, 0x200, v33, vcc_lo
	s_delay_alu instid0(VALU_DEP_1) | instskip(SKIP_3) | instid1(VALU_DEP_1)
	v_cndmask_b32_e64 v3, v3, 0, s2
	s_or_b32 s2, s2, vcc_lo
	v_cndmask_b32_e64 v1, 0x400, v1, s4
	s_or_b32 vcc_lo, s2, s3
	v_cndmask_b32_e32 v1, v1, v3, vcc_lo
	s_or_b32 s2, vcc_lo, s4
	v_cndmask_b32_e64 v2, 0x600, v2, s6
	s_or_b32 vcc_lo, s2, s5
	s_mov_b32 s4, exec_lo
	s_or_b32 s2, vcc_lo, s6
	s_delay_alu instid0(VALU_DEP_1) | instskip(SKIP_3) | instid1(VALU_DEP_2)
	v_cndmask_b32_e32 v1, v2, v1, vcc_lo
	s_or_b32 vcc_lo, s2, s7
	v_add_co_u32 v2, s2, s27, v0
	s_or_b32 s3, vcc_lo, s8
	v_cndmask_b32_e32 v1, 0x700, v1, vcc_lo
	v_cndmask_b32_e64 v5, 0, 1, s3
	v_add_co_ci_u32_e64 v3, null, s30, 0, s2
	s_delay_alu instid0(VALU_DEP_3) | instskip(NEXT) | instid1(VALU_DEP_3)
	v_add_co_u32 v1, vcc_lo, v2, v1
	v_mov_b32_dpp v6, v5 quad_perm:[1,0,3,2] row_mask:0xf bank_mask:0xf
	s_delay_alu instid0(VALU_DEP_3) | instskip(NEXT) | instid1(VALU_DEP_3)
	v_add_co_ci_u32_e32 v2, vcc_lo, 0, v3, vcc_lo
	v_mov_b32_dpp v3, v1 quad_perm:[1,0,3,2] row_mask:0xf bank_mask:0xf
	s_delay_alu instid0(VALU_DEP_3) | instskip(NEXT) | instid1(VALU_DEP_3)
	v_and_b32_e32 v7, 1, v6
	v_mov_b32_dpp v4, v2 quad_perm:[1,0,3,2] row_mask:0xf bank_mask:0xf
	s_delay_alu instid0(VALU_DEP_2)
	v_cmpx_eq_u32_e32 1, v7
; %bb.5:
	v_cndmask_b32_e64 v5, v6, 1, s3
	s_delay_alu instid0(VALU_DEP_3) | instskip(NEXT) | instid1(VALU_DEP_2)
	v_cmp_lt_i64_e32 vcc_lo, v[1:2], v[3:4]
	v_and_b32_e32 v6, 1, v5
	v_and_b32_e32 v5, 0xff, v5
	s_and_b32 vcc_lo, s3, vcc_lo
	s_and_not1_b32 s3, s3, exec_lo
	v_dual_cndmask_b32 v2, v4, v2 :: v_dual_cndmask_b32 v1, v3, v1
	v_cmp_eq_u32_e64 s2, 1, v6
	s_delay_alu instid0(VALU_DEP_1) | instskip(NEXT) | instid1(SALU_CYCLE_1)
	s_and_b32 s2, s2, exec_lo
	s_or_b32 s3, s3, s2
; %bb.6:
	s_or_b32 exec_lo, exec_lo, s4
	v_mov_b32_dpp v6, v5 quad_perm:[2,3,0,1] row_mask:0xf bank_mask:0xf
	v_mov_b32_dpp v3, v1 quad_perm:[2,3,0,1] row_mask:0xf bank_mask:0xf
	v_mov_b32_dpp v4, v2 quad_perm:[2,3,0,1] row_mask:0xf bank_mask:0xf
	s_mov_b32 s4, exec_lo
	s_delay_alu instid0(VALU_DEP_3) | instskip(NEXT) | instid1(VALU_DEP_1)
	v_and_b32_e32 v7, 1, v6
	v_cmpx_eq_u32_e32 1, v7
; %bb.7:
	v_cndmask_b32_e64 v5, v6, 1, s3
	v_cmp_lt_i64_e32 vcc_lo, v[1:2], v[3:4]
	s_delay_alu instid0(VALU_DEP_2)
	v_and_b32_e32 v6, 1, v5
	v_and_b32_e32 v5, 0xff, v5
	s_and_b32 vcc_lo, s3, vcc_lo
	s_and_not1_b32 s3, s3, exec_lo
	v_dual_cndmask_b32 v2, v4, v2 :: v_dual_cndmask_b32 v1, v3, v1
	v_cmp_eq_u32_e64 s2, 1, v6
	s_delay_alu instid0(VALU_DEP_1) | instskip(NEXT) | instid1(SALU_CYCLE_1)
	s_and_b32 s2, s2, exec_lo
	s_or_b32 s3, s3, s2
; %bb.8:
	s_or_b32 exec_lo, exec_lo, s4
	v_mov_b32_dpp v6, v5 row_ror:4 row_mask:0xf bank_mask:0xf
	v_mov_b32_dpp v3, v1 row_ror:4 row_mask:0xf bank_mask:0xf
	;; [unrolled: 1-line block ×3, first 2 shown]
	s_mov_b32 s4, exec_lo
	s_delay_alu instid0(VALU_DEP_3) | instskip(NEXT) | instid1(VALU_DEP_1)
	v_and_b32_e32 v7, 1, v6
	v_cmpx_eq_u32_e32 1, v7
; %bb.9:
	v_cndmask_b32_e64 v5, v6, 1, s3
	v_cmp_lt_i64_e32 vcc_lo, v[1:2], v[3:4]
	s_delay_alu instid0(VALU_DEP_2)
	v_and_b32_e32 v6, 1, v5
	v_and_b32_e32 v5, 0xff, v5
	s_and_b32 vcc_lo, s3, vcc_lo
	s_and_not1_b32 s3, s3, exec_lo
	v_dual_cndmask_b32 v2, v4, v2 :: v_dual_cndmask_b32 v1, v3, v1
	v_cmp_eq_u32_e64 s2, 1, v6
	s_delay_alu instid0(VALU_DEP_1) | instskip(NEXT) | instid1(SALU_CYCLE_1)
	s_and_b32 s2, s2, exec_lo
	s_or_b32 s3, s3, s2
; %bb.10:
	s_or_b32 exec_lo, exec_lo, s4
	v_mov_b32_dpp v6, v5 row_ror:8 row_mask:0xf bank_mask:0xf
	v_mov_b32_dpp v3, v1 row_ror:8 row_mask:0xf bank_mask:0xf
	;; [unrolled: 1-line block ×3, first 2 shown]
	s_mov_b32 s4, exec_lo
	s_delay_alu instid0(VALU_DEP_3) | instskip(NEXT) | instid1(VALU_DEP_1)
	v_and_b32_e32 v7, 1, v6
	v_cmpx_eq_u32_e32 1, v7
; %bb.11:
	v_cndmask_b32_e64 v5, v6, 1, s3
	v_cmp_lt_i64_e32 vcc_lo, v[1:2], v[3:4]
	s_delay_alu instid0(VALU_DEP_2)
	v_and_b32_e32 v6, 1, v5
	v_and_b32_e32 v5, 0xff, v5
	s_and_b32 vcc_lo, s3, vcc_lo
	s_and_not1_b32 s3, s3, exec_lo
	v_dual_cndmask_b32 v2, v4, v2 :: v_dual_cndmask_b32 v1, v3, v1
	v_cmp_eq_u32_e64 s2, 1, v6
	s_delay_alu instid0(VALU_DEP_1) | instskip(NEXT) | instid1(SALU_CYCLE_1)
	s_and_b32 s2, s2, exec_lo
	s_or_b32 s3, s3, s2
; %bb.12:
	s_or_b32 exec_lo, exec_lo, s4
	ds_swizzle_b32 v6, v5 offset:swizzle(BROADCAST,32,15)
	ds_swizzle_b32 v3, v1 offset:swizzle(BROADCAST,32,15)
	;; [unrolled: 1-line block ×3, first 2 shown]
	s_mov_b32 s2, exec_lo
	s_waitcnt lgkmcnt(2)
	v_and_b32_e32 v7, 1, v6
	s_delay_alu instid0(VALU_DEP_1)
	v_cmpx_eq_u32_e32 1, v7
	s_cbranch_execz .LBB442_14
; %bb.13:
	s_waitcnt lgkmcnt(0)
	v_cmp_lt_i64_e32 vcc_lo, v[1:2], v[3:4]
	v_and_b32_e32 v5, 0xff, v6
	s_delay_alu instid0(VALU_DEP_1)
	v_cndmask_b32_e64 v5, v5, 1, s3
	s_and_b32 vcc_lo, s3, vcc_lo
	v_dual_cndmask_b32 v1, v3, v1 :: v_dual_cndmask_b32 v2, v4, v2
.LBB442_14:
	s_or_b32 exec_lo, exec_lo, s2
	s_waitcnt lgkmcnt(1)
	v_mov_b32_e32 v3, 0
	s_mov_b32 s2, exec_lo
	ds_bpermute_b32 v6, v3, v5 offset:124
	ds_bpermute_b32 v1, v3, v1 offset:124
	;; [unrolled: 1-line block ×3, first 2 shown]
	v_mbcnt_lo_u32_b32 v3, -1, 0
	s_delay_alu instid0(VALU_DEP_1)
	v_cmpx_eq_u32_e32 0, v3
	s_cbranch_execz .LBB442_16
; %bb.15:
	s_waitcnt lgkmcnt(3)
	v_lshrrev_b32_e32 v4, 1, v0
	s_delay_alu instid0(VALU_DEP_1)
	v_and_b32_e32 v4, 0x70, v4
	s_waitcnt lgkmcnt(2)
	ds_store_b8 v4, v6 offset:384
	s_waitcnt lgkmcnt(1)
	ds_store_b64 v4, v[1:2] offset:392
.LBB442_16:
	s_or_b32 exec_lo, exec_lo, s2
	s_delay_alu instid0(SALU_CYCLE_1)
	s_mov_b32 s4, exec_lo
	s_waitcnt lgkmcnt(0)
	s_barrier
	buffer_gl0_inv
	v_cmpx_gt_u32_e32 32, v0
	s_cbranch_execz .LBB442_18
; %bb.17:
	v_and_b32_e32 v6, 7, v3
	s_delay_alu instid0(VALU_DEP_1)
	v_lshlrev_b32_e32 v1, 4, v6
	v_cmp_ne_u32_e32 vcc_lo, 7, v6
	ds_load_u8 v7, v1 offset:384
	ds_load_b64 v[1:2], v1 offset:392
	v_add_co_ci_u32_e32 v4, vcc_lo, 0, v3, vcc_lo
	v_cmp_gt_u32_e32 vcc_lo, 6, v6
	s_delay_alu instid0(VALU_DEP_2)
	v_lshlrev_b32_e32 v5, 2, v4
	v_cndmask_b32_e64 v10, 0, 1, vcc_lo
	s_waitcnt lgkmcnt(1)
	v_and_b32_e32 v4, 0xff, v7
	v_and_b32_e32 v11, 1, v7
	ds_bpermute_b32 v8, v5, v4
	s_waitcnt lgkmcnt(1)
	ds_bpermute_b32 v4, v5, v1
	ds_bpermute_b32 v5, v5, v2
	v_cmp_eq_u32_e64 s3, 1, v11
	s_waitcnt lgkmcnt(2)
	v_and_b32_e32 v9, 1, v8
	s_waitcnt lgkmcnt(0)
	v_cmp_lt_i64_e64 s2, v[4:5], v[1:2]
	s_delay_alu instid0(VALU_DEP_2) | instskip(SKIP_2) | instid1(VALU_DEP_4)
	v_cmp_eq_u32_e32 vcc_lo, 1, v9
	v_lshlrev_b32_e32 v9, 1, v10
	v_cndmask_b32_e64 v7, v7, 1, vcc_lo
	s_and_b32 vcc_lo, vcc_lo, s2
	v_dual_cndmask_b32 v1, v1, v4 :: v_dual_cndmask_b32 v2, v2, v5
	s_delay_alu instid0(VALU_DEP_2) | instskip(SKIP_2) | instid1(VALU_DEP_4)
	v_cndmask_b32_e64 v7, v8, v7, s3
	v_add_lshl_u32 v8, v9, v3, 2
	v_cmp_gt_u32_e32 vcc_lo, 4, v6
	v_cndmask_b32_e64 v1, v4, v1, s3
	v_cndmask_b32_e64 v2, v5, v2, s3
	v_and_b32_e32 v9, 0xff, v7
	v_and_b32_e32 v10, 1, v7
	v_cndmask_b32_e64 v6, 0, 1, vcc_lo
	ds_bpermute_b32 v4, v8, v1
	ds_bpermute_b32 v5, v8, v2
	;; [unrolled: 1-line block ×3, first 2 shown]
	v_cmp_eq_u32_e64 s3, 1, v10
	s_waitcnt lgkmcnt(1)
	v_cmp_lt_i64_e64 s2, v[4:5], v[1:2]
	s_waitcnt lgkmcnt(0)
	v_and_b32_e32 v8, 1, v9
	s_delay_alu instid0(VALU_DEP_1) | instskip(SKIP_1) | instid1(VALU_DEP_4)
	v_cmp_eq_u32_e32 vcc_lo, 1, v8
	v_cndmask_b32_e64 v7, v7, 1, vcc_lo
	s_and_b32 vcc_lo, vcc_lo, s2
	v_dual_cndmask_b32 v1, v1, v4 :: v_dual_cndmask_b32 v2, v2, v5
	s_delay_alu instid0(VALU_DEP_2) | instskip(NEXT) | instid1(VALU_DEP_2)
	v_cndmask_b32_e64 v7, v9, v7, s3
	v_cndmask_b32_e64 v1, v4, v1, s3
	v_lshlrev_b32_e32 v6, 2, v6
	s_delay_alu instid0(VALU_DEP_4) | instskip(NEXT) | instid1(VALU_DEP_2)
	v_cndmask_b32_e64 v2, v5, v2, s3
	v_add_lshl_u32 v6, v6, v3, 2
	v_and_b32_e32 v3, 0xff, v7
	ds_bpermute_b32 v4, v6, v2
	ds_bpermute_b32 v5, v6, v3
	;; [unrolled: 1-line block ×3, first 2 shown]
	s_waitcnt lgkmcnt(1)
	v_and_b32_e32 v6, 1, v5
	s_waitcnt lgkmcnt(0)
	v_cmp_lt_i64_e32 vcc_lo, v[3:4], v[1:2]
	s_delay_alu instid0(VALU_DEP_2) | instskip(SKIP_1) | instid1(VALU_DEP_2)
	v_cmp_eq_u32_e64 s2, 1, v6
	v_and_b32_e32 v6, 1, v7
	v_cndmask_b32_e64 v7, v7, 1, s2
	s_and_b32 vcc_lo, s2, vcc_lo
	s_delay_alu instid0(VALU_DEP_2) | instskip(SKIP_1) | instid1(VALU_DEP_2)
	v_cmp_eq_u32_e64 s2, 1, v6
	v_dual_cndmask_b32 v1, v1, v3 :: v_dual_cndmask_b32 v2, v2, v4
	v_cndmask_b32_e64 v5, v5, v7, s2
	s_delay_alu instid0(VALU_DEP_2) | instskip(NEXT) | instid1(VALU_DEP_3)
	v_cndmask_b32_e64 v1, v3, v1, s2
	v_cndmask_b32_e64 v2, v4, v2, s2
	s_delay_alu instid0(VALU_DEP_3)
	v_and_b32_e32 v6, 0xff, v5
.LBB442_18:
	s_or_b32 exec_lo, exec_lo, s4
	s_branch .LBB442_85
.LBB442_19:
	s_mov_b32 s24, 0
                                        ; implicit-def: $vgpr3_vgpr4
                                        ; implicit-def: $vgpr5
	s_cbranch_execnz .LBB442_129
	s_branch .LBB442_200
.LBB442_20:
	s_mov_b32 s9, -1
.LBB442_21:
	s_mov_b32 s24, 0
                                        ; implicit-def: $vgpr3_vgpr4
                                        ; implicit-def: $vgpr5
	s_and_b32 vcc_lo, exec_lo, s9
	s_cbranch_vccz .LBB442_90
.LBB442_22:
	s_cmp_eq_u32 s29, 4
	s_cbranch_scc0 .LBB442_39
; %bb.23:
	s_mov_b32 s11, 0
	s_lshl_b32 s22, s10, 10
	s_mov_b32 s23, s11
	s_lshr_b64 s[26:27], s[14:15], 10
	s_lshl_b64 s[2:3], s[22:23], 3
	s_delay_alu instid0(SALU_CYCLE_1)
	s_add_u32 s6, s16, s2
	s_addc_u32 s7, s17, s3
	s_add_u32 s8, s18, s2
	s_addc_u32 s9, s19, s3
	s_add_u32 s5, s12, s22
	s_addc_u32 s23, s13, 0
	s_cmp_lg_u64 s[26:27], s[10:11]
	s_cbranch_scc0 .LBB442_91
; %bb.24:
	v_lshlrev_b32_e32 v11, 3, v0
	v_mov_b32_e32 v17, 0x100
	s_waitcnt lgkmcnt(2)
	s_delay_alu instid0(VALU_DEP_2) | instskip(NEXT) | instid1(VALU_DEP_1)
	v_add_co_u32 v5, s2, s6, v11
	v_add_co_ci_u32_e64 v6, null, s7, 0, s2
	s_waitcnt lgkmcnt(1)
	v_add_co_u32 v3, s2, s8, v11
	s_waitcnt lgkmcnt(0)
	v_add_co_ci_u32_e64 v4, null, s9, 0, s2
	global_load_b64 v[1:2], v11, s[8:9] offset:2048
	v_add_co_u32 v3, vcc_lo, 0x1000, v3
	v_add_co_ci_u32_e32 v4, vcc_lo, 0, v4, vcc_lo
	v_add_co_u32 v5, vcc_lo, 0x1000, v5
	v_add_co_ci_u32_e32 v6, vcc_lo, 0, v6, vcc_lo
	s_clause 0x2
	global_load_b64 v[7:8], v11, s[6:7] offset:2048
	global_load_b64 v[9:10], v11, s[8:9]
	global_load_b64 v[11:12], v11, s[6:7]
	global_load_b64 v[13:14], v[3:4], off
	s_clause 0x1
	global_load_b64 v[15:16], v[5:6], off
	global_load_b64 v[5:6], v[5:6], off offset:2048
	global_load_b64 v[3:4], v[3:4], off offset:2048
	s_waitcnt vmcnt(6)
	v_cmp_neq_f64_e32 vcc_lo, v[7:8], v[1:2]
	s_waitcnt vmcnt(4)
	v_cmp_neq_f64_e64 s2, v[11:12], v[9:10]
	s_waitcnt vmcnt(2)
	v_cmp_neq_f64_e64 s3, v[15:16], v[13:14]
	;; [unrolled: 2-line block ×3, first 2 shown]
	v_cndmask_b32_e32 v1, 0x200, v17, vcc_lo
	s_delay_alu instid0(VALU_DEP_1)
	v_cndmask_b32_e64 v1, v1, 0, s2
	s_or_b32 s2, s2, vcc_lo
	s_delay_alu instid0(VALU_DEP_4) | instid1(SALU_CYCLE_1)
	s_or_b32 vcc_lo, s2, s3
	v_add_co_u32 v2, s2, s5, v0
	s_delay_alu instid0(VALU_DEP_2) | instskip(SKIP_3) | instid1(VALU_DEP_3)
	v_cndmask_b32_e32 v1, 0x300, v1, vcc_lo
	s_or_b32 s3, vcc_lo, s4
	v_add_co_ci_u32_e64 v3, null, s23, 0, s2
	v_cndmask_b32_e64 v5, 0, 1, s3
	v_add_co_u32 v1, vcc_lo, v2, v1
	s_delay_alu instid0(VALU_DEP_3) | instskip(NEXT) | instid1(VALU_DEP_3)
	v_add_co_ci_u32_e32 v2, vcc_lo, 0, v3, vcc_lo
	v_mov_b32_dpp v6, v5 quad_perm:[1,0,3,2] row_mask:0xf bank_mask:0xf
	s_delay_alu instid0(VALU_DEP_3) | instskip(SKIP_1) | instid1(VALU_DEP_3)
	v_mov_b32_dpp v3, v1 quad_perm:[1,0,3,2] row_mask:0xf bank_mask:0xf
	s_mov_b32 s4, exec_lo
	v_mov_b32_dpp v4, v2 quad_perm:[1,0,3,2] row_mask:0xf bank_mask:0xf
	s_delay_alu instid0(VALU_DEP_3) | instskip(NEXT) | instid1(VALU_DEP_1)
	v_and_b32_e32 v7, 1, v6
	v_cmpx_eq_u32_e32 1, v7
; %bb.25:
	v_cndmask_b32_e64 v5, v6, 1, s3
	s_delay_alu instid0(VALU_DEP_4) | instskip(NEXT) | instid1(VALU_DEP_2)
	v_cmp_lt_i64_e32 vcc_lo, v[1:2], v[3:4]
	v_and_b32_e32 v6, 1, v5
	v_and_b32_e32 v5, 0xff, v5
	s_and_b32 vcc_lo, s3, vcc_lo
	s_and_not1_b32 s3, s3, exec_lo
	v_dual_cndmask_b32 v2, v4, v2 :: v_dual_cndmask_b32 v1, v3, v1
	v_cmp_eq_u32_e64 s2, 1, v6
	s_delay_alu instid0(VALU_DEP_1) | instskip(NEXT) | instid1(SALU_CYCLE_1)
	s_and_b32 s2, s2, exec_lo
	s_or_b32 s3, s3, s2
; %bb.26:
	s_or_b32 exec_lo, exec_lo, s4
	v_mov_b32_dpp v6, v5 quad_perm:[2,3,0,1] row_mask:0xf bank_mask:0xf
	v_mov_b32_dpp v3, v1 quad_perm:[2,3,0,1] row_mask:0xf bank_mask:0xf
	;; [unrolled: 1-line block ×3, first 2 shown]
	s_mov_b32 s4, exec_lo
	s_delay_alu instid0(VALU_DEP_3) | instskip(NEXT) | instid1(VALU_DEP_1)
	v_and_b32_e32 v7, 1, v6
	v_cmpx_eq_u32_e32 1, v7
; %bb.27:
	v_cndmask_b32_e64 v5, v6, 1, s3
	v_cmp_lt_i64_e32 vcc_lo, v[1:2], v[3:4]
	s_delay_alu instid0(VALU_DEP_2)
	v_and_b32_e32 v6, 1, v5
	v_and_b32_e32 v5, 0xff, v5
	s_and_b32 vcc_lo, s3, vcc_lo
	s_and_not1_b32 s3, s3, exec_lo
	v_dual_cndmask_b32 v2, v4, v2 :: v_dual_cndmask_b32 v1, v3, v1
	v_cmp_eq_u32_e64 s2, 1, v6
	s_delay_alu instid0(VALU_DEP_1) | instskip(NEXT) | instid1(SALU_CYCLE_1)
	s_and_b32 s2, s2, exec_lo
	s_or_b32 s3, s3, s2
; %bb.28:
	s_or_b32 exec_lo, exec_lo, s4
	v_mov_b32_dpp v6, v5 row_ror:4 row_mask:0xf bank_mask:0xf
	v_mov_b32_dpp v3, v1 row_ror:4 row_mask:0xf bank_mask:0xf
	;; [unrolled: 1-line block ×3, first 2 shown]
	s_mov_b32 s4, exec_lo
	s_delay_alu instid0(VALU_DEP_3) | instskip(NEXT) | instid1(VALU_DEP_1)
	v_and_b32_e32 v7, 1, v6
	v_cmpx_eq_u32_e32 1, v7
; %bb.29:
	v_cndmask_b32_e64 v5, v6, 1, s3
	v_cmp_lt_i64_e32 vcc_lo, v[1:2], v[3:4]
	s_delay_alu instid0(VALU_DEP_2)
	v_and_b32_e32 v6, 1, v5
	v_and_b32_e32 v5, 0xff, v5
	s_and_b32 vcc_lo, s3, vcc_lo
	s_and_not1_b32 s3, s3, exec_lo
	v_dual_cndmask_b32 v2, v4, v2 :: v_dual_cndmask_b32 v1, v3, v1
	v_cmp_eq_u32_e64 s2, 1, v6
	s_delay_alu instid0(VALU_DEP_1) | instskip(NEXT) | instid1(SALU_CYCLE_1)
	s_and_b32 s2, s2, exec_lo
	s_or_b32 s3, s3, s2
; %bb.30:
	s_or_b32 exec_lo, exec_lo, s4
	v_mov_b32_dpp v6, v5 row_ror:8 row_mask:0xf bank_mask:0xf
	v_mov_b32_dpp v3, v1 row_ror:8 row_mask:0xf bank_mask:0xf
	;; [unrolled: 1-line block ×3, first 2 shown]
	s_mov_b32 s4, exec_lo
	s_delay_alu instid0(VALU_DEP_3) | instskip(NEXT) | instid1(VALU_DEP_1)
	v_and_b32_e32 v7, 1, v6
	v_cmpx_eq_u32_e32 1, v7
; %bb.31:
	v_cndmask_b32_e64 v5, v6, 1, s3
	v_cmp_lt_i64_e32 vcc_lo, v[1:2], v[3:4]
	s_delay_alu instid0(VALU_DEP_2)
	v_and_b32_e32 v6, 1, v5
	v_and_b32_e32 v5, 0xff, v5
	s_and_b32 vcc_lo, s3, vcc_lo
	s_and_not1_b32 s3, s3, exec_lo
	v_dual_cndmask_b32 v2, v4, v2 :: v_dual_cndmask_b32 v1, v3, v1
	v_cmp_eq_u32_e64 s2, 1, v6
	s_delay_alu instid0(VALU_DEP_1) | instskip(NEXT) | instid1(SALU_CYCLE_1)
	s_and_b32 s2, s2, exec_lo
	s_or_b32 s3, s3, s2
; %bb.32:
	s_or_b32 exec_lo, exec_lo, s4
	ds_swizzle_b32 v6, v5 offset:swizzle(BROADCAST,32,15)
	ds_swizzle_b32 v3, v1 offset:swizzle(BROADCAST,32,15)
	;; [unrolled: 1-line block ×3, first 2 shown]
	s_mov_b32 s2, exec_lo
	s_waitcnt lgkmcnt(2)
	v_and_b32_e32 v7, 1, v6
	s_delay_alu instid0(VALU_DEP_1)
	v_cmpx_eq_u32_e32 1, v7
	s_cbranch_execz .LBB442_34
; %bb.33:
	s_waitcnt lgkmcnt(0)
	v_cmp_lt_i64_e32 vcc_lo, v[1:2], v[3:4]
	v_and_b32_e32 v5, 0xff, v6
	s_delay_alu instid0(VALU_DEP_1)
	v_cndmask_b32_e64 v5, v5, 1, s3
	s_and_b32 vcc_lo, s3, vcc_lo
	v_dual_cndmask_b32 v1, v3, v1 :: v_dual_cndmask_b32 v2, v4, v2
.LBB442_34:
	s_or_b32 exec_lo, exec_lo, s2
	s_waitcnt lgkmcnt(1)
	v_mov_b32_e32 v3, 0
	s_mov_b32 s2, exec_lo
	ds_bpermute_b32 v6, v3, v5 offset:124
	ds_bpermute_b32 v1, v3, v1 offset:124
	;; [unrolled: 1-line block ×3, first 2 shown]
	v_mbcnt_lo_u32_b32 v3, -1, 0
	s_delay_alu instid0(VALU_DEP_1)
	v_cmpx_eq_u32_e32 0, v3
	s_cbranch_execz .LBB442_36
; %bb.35:
	s_waitcnt lgkmcnt(3)
	v_lshrrev_b32_e32 v4, 1, v0
	s_delay_alu instid0(VALU_DEP_1)
	v_and_b32_e32 v4, 0x70, v4
	s_waitcnt lgkmcnt(2)
	ds_store_b8 v4, v6 offset:256
	s_waitcnt lgkmcnt(1)
	ds_store_b64 v4, v[1:2] offset:264
.LBB442_36:
	s_or_b32 exec_lo, exec_lo, s2
	s_delay_alu instid0(SALU_CYCLE_1)
	s_mov_b32 s4, exec_lo
	s_waitcnt lgkmcnt(0)
	s_barrier
	buffer_gl0_inv
	v_cmpx_gt_u32_e32 32, v0
	s_cbranch_execz .LBB442_38
; %bb.37:
	v_and_b32_e32 v6, 7, v3
	s_delay_alu instid0(VALU_DEP_1)
	v_lshlrev_b32_e32 v1, 4, v6
	v_cmp_ne_u32_e32 vcc_lo, 7, v6
	ds_load_u8 v7, v1 offset:256
	ds_load_b64 v[1:2], v1 offset:264
	v_add_co_ci_u32_e32 v4, vcc_lo, 0, v3, vcc_lo
	v_cmp_gt_u32_e32 vcc_lo, 6, v6
	s_delay_alu instid0(VALU_DEP_2)
	v_lshlrev_b32_e32 v5, 2, v4
	v_cndmask_b32_e64 v10, 0, 1, vcc_lo
	s_waitcnt lgkmcnt(1)
	v_and_b32_e32 v4, 0xff, v7
	v_and_b32_e32 v11, 1, v7
	ds_bpermute_b32 v8, v5, v4
	s_waitcnt lgkmcnt(1)
	ds_bpermute_b32 v4, v5, v1
	ds_bpermute_b32 v5, v5, v2
	v_cmp_eq_u32_e64 s3, 1, v11
	s_waitcnt lgkmcnt(2)
	v_and_b32_e32 v9, 1, v8
	s_waitcnt lgkmcnt(0)
	v_cmp_lt_i64_e64 s2, v[4:5], v[1:2]
	s_delay_alu instid0(VALU_DEP_2) | instskip(SKIP_2) | instid1(VALU_DEP_4)
	v_cmp_eq_u32_e32 vcc_lo, 1, v9
	v_lshlrev_b32_e32 v9, 1, v10
	v_cndmask_b32_e64 v7, v7, 1, vcc_lo
	s_and_b32 vcc_lo, vcc_lo, s2
	v_dual_cndmask_b32 v1, v1, v4 :: v_dual_cndmask_b32 v2, v2, v5
	s_delay_alu instid0(VALU_DEP_2) | instskip(SKIP_2) | instid1(VALU_DEP_4)
	v_cndmask_b32_e64 v7, v8, v7, s3
	v_add_lshl_u32 v8, v9, v3, 2
	v_cmp_gt_u32_e32 vcc_lo, 4, v6
	v_cndmask_b32_e64 v1, v4, v1, s3
	v_cndmask_b32_e64 v2, v5, v2, s3
	v_and_b32_e32 v9, 0xff, v7
	v_and_b32_e32 v10, 1, v7
	v_cndmask_b32_e64 v6, 0, 1, vcc_lo
	ds_bpermute_b32 v4, v8, v1
	ds_bpermute_b32 v5, v8, v2
	;; [unrolled: 1-line block ×3, first 2 shown]
	v_cmp_eq_u32_e64 s3, 1, v10
	s_waitcnt lgkmcnt(1)
	v_cmp_lt_i64_e64 s2, v[4:5], v[1:2]
	s_waitcnt lgkmcnt(0)
	v_and_b32_e32 v8, 1, v9
	s_delay_alu instid0(VALU_DEP_1) | instskip(SKIP_1) | instid1(VALU_DEP_4)
	v_cmp_eq_u32_e32 vcc_lo, 1, v8
	v_cndmask_b32_e64 v7, v7, 1, vcc_lo
	s_and_b32 vcc_lo, vcc_lo, s2
	v_dual_cndmask_b32 v1, v1, v4 :: v_dual_cndmask_b32 v2, v2, v5
	s_delay_alu instid0(VALU_DEP_2) | instskip(NEXT) | instid1(VALU_DEP_2)
	v_cndmask_b32_e64 v7, v9, v7, s3
	v_cndmask_b32_e64 v1, v4, v1, s3
	v_lshlrev_b32_e32 v6, 2, v6
	s_delay_alu instid0(VALU_DEP_4) | instskip(NEXT) | instid1(VALU_DEP_2)
	v_cndmask_b32_e64 v2, v5, v2, s3
	v_add_lshl_u32 v6, v6, v3, 2
	v_and_b32_e32 v3, 0xff, v7
	ds_bpermute_b32 v4, v6, v2
	ds_bpermute_b32 v5, v6, v3
	;; [unrolled: 1-line block ×3, first 2 shown]
	s_waitcnt lgkmcnt(1)
	v_and_b32_e32 v6, 1, v5
	s_waitcnt lgkmcnt(0)
	v_cmp_lt_i64_e32 vcc_lo, v[3:4], v[1:2]
	s_delay_alu instid0(VALU_DEP_2) | instskip(SKIP_1) | instid1(VALU_DEP_2)
	v_cmp_eq_u32_e64 s2, 1, v6
	v_and_b32_e32 v6, 1, v7
	v_cndmask_b32_e64 v7, v7, 1, s2
	s_and_b32 vcc_lo, s2, vcc_lo
	s_delay_alu instid0(VALU_DEP_2) | instskip(SKIP_1) | instid1(VALU_DEP_2)
	v_cmp_eq_u32_e64 s2, 1, v6
	v_dual_cndmask_b32 v1, v1, v3 :: v_dual_cndmask_b32 v2, v2, v4
	v_cndmask_b32_e64 v5, v5, v7, s2
	s_delay_alu instid0(VALU_DEP_2) | instskip(NEXT) | instid1(VALU_DEP_3)
	v_cndmask_b32_e64 v1, v3, v1, s2
	v_cndmask_b32_e64 v2, v4, v2, s2
	s_delay_alu instid0(VALU_DEP_3)
	v_and_b32_e32 v6, 0xff, v5
.LBB442_38:
	s_or_b32 exec_lo, exec_lo, s4
	s_branch .LBB442_124
.LBB442_39:
                                        ; implicit-def: $vgpr3_vgpr4
                                        ; implicit-def: $vgpr5
	s_branch .LBB442_200
.LBB442_40:
                                        ; implicit-def: $vgpr1_vgpr2
                                        ; implicit-def: $vgpr6
	s_cbranch_execz .LBB442_85
; %bb.41:
	v_mov_b32_e32 v9, 0
	v_dual_mov_b32 v10, 0 :: v_dual_mov_b32 v21, 0
	s_delay_alu instid0(VALU_DEP_2) | instskip(SKIP_2) | instid1(VALU_DEP_3)
	v_mov_b32_e32 v1, v9
	v_mov_b32_e32 v17, 0
	s_sub_i32 s26, s14, s26
	v_mov_b32_e32 v2, v10
	s_mov_b32 s2, exec_lo
	v_cmpx_gt_u32_e64 s26, v0
	s_cbranch_execz .LBB442_43
; %bb.42:
	v_lshlrev_b32_e32 v1, 3, v0
	s_clause 0x1
	global_load_b64 v[3:4], v1, s[22:23]
	global_load_b64 v[5:6], v1, s[24:25]
	v_add_co_u32 v1, s3, s27, v0
	s_delay_alu instid0(VALU_DEP_1)
	v_add_co_ci_u32_e64 v2, null, s30, 0, s3
	s_waitcnt vmcnt(0)
	v_cmp_neq_f64_e32 vcc_lo, v[3:4], v[5:6]
	v_cndmask_b32_e64 v17, 0, 1, vcc_lo
.LBB442_43:
	s_or_b32 exec_lo, exec_lo, s2
	v_or_b32_e32 v3, 0x100, v0
	s_delay_alu instid0(VALU_DEP_1) | instskip(NEXT) | instid1(VALU_DEP_1)
	v_cmp_gt_u32_e64 s7, s26, v3
	s_and_saveexec_b32 s2, s7
	s_cbranch_execz .LBB442_45
; %bb.44:
	v_lshlrev_b32_e32 v6, 3, v0
	v_add_co_u32 v9, s3, s27, v3
	s_delay_alu instid0(VALU_DEP_1)
	v_add_co_ci_u32_e64 v10, null, s30, 0, s3
	s_clause 0x1
	global_load_b64 v[4:5], v6, s[22:23] offset:2048
	global_load_b64 v[6:7], v6, s[24:25] offset:2048
	s_waitcnt vmcnt(0)
	v_cmp_neq_f64_e32 vcc_lo, v[4:5], v[6:7]
	v_cndmask_b32_e64 v21, 0, 1, vcc_lo
.LBB442_45:
	s_or_b32 exec_lo, exec_lo, s2
	v_dual_mov_b32 v7, 0 :: v_dual_mov_b32 v20, 0
	v_mov_b32_e32 v8, 0
	v_or_b32_e32 v3, 0x200, v0
	v_mov_b32_e32 v24, 0
	s_delay_alu instid0(VALU_DEP_3) | instskip(NEXT) | instid1(VALU_DEP_3)
	v_dual_mov_b32 v16, v8 :: v_dual_mov_b32 v15, v7
	v_cmp_gt_u32_e64 s6, s26, v3
	s_delay_alu instid0(VALU_DEP_1)
	s_and_saveexec_b32 s2, s6
	s_cbranch_execz .LBB442_47
; %bb.46:
	v_lshlrev_b32_e32 v6, 3, v3
	v_add_co_u32 v15, s3, s27, v3
	s_delay_alu instid0(VALU_DEP_1)
	v_add_co_ci_u32_e64 v16, null, s30, 0, s3
	s_clause 0x1
	global_load_b64 v[4:5], v6, s[22:23]
	global_load_b64 v[11:12], v6, s[24:25]
	s_waitcnt vmcnt(0)
	v_cmp_neq_f64_e32 vcc_lo, v[4:5], v[11:12]
	v_cndmask_b32_e64 v24, 0, 1, vcc_lo
.LBB442_47:
	s_or_b32 exec_lo, exec_lo, s2
	v_or_b32_e32 v3, 0x300, v0
	s_delay_alu instid0(VALU_DEP_1) | instskip(NEXT) | instid1(VALU_DEP_1)
	v_cmp_gt_u32_e64 s5, s26, v3
	s_and_saveexec_b32 s2, s5
	s_cbranch_execz .LBB442_49
; %bb.48:
	v_lshlrev_b32_e32 v6, 3, v3
	v_add_co_u32 v7, s3, s27, v3
	s_delay_alu instid0(VALU_DEP_1)
	v_add_co_ci_u32_e64 v8, null, s30, 0, s3
	s_clause 0x1
	global_load_b64 v[4:5], v6, s[22:23]
	global_load_b64 v[11:12], v6, s[24:25]
	s_waitcnt vmcnt(0)
	v_cmp_neq_f64_e32 vcc_lo, v[4:5], v[11:12]
	v_cndmask_b32_e64 v20, 0, 1, vcc_lo
.LBB442_49:
	s_or_b32 exec_lo, exec_lo, s2
	v_mov_b32_e32 v5, 0
	v_dual_mov_b32 v6, 0 :: v_dual_mov_b32 v19, 0
	v_or_b32_e32 v3, 0x400, v0
	s_delay_alu instid0(VALU_DEP_2) | instskip(NEXT) | instid1(VALU_DEP_4)
	v_dual_mov_b32 v23, 0 :: v_dual_mov_b32 v14, v6
	v_mov_b32_e32 v13, v5
	s_delay_alu instid0(VALU_DEP_3) | instskip(NEXT) | instid1(VALU_DEP_1)
	v_cmp_gt_u32_e64 s4, s26, v3
	s_and_saveexec_b32 s2, s4
	s_cbranch_execz .LBB442_51
; %bb.50:
	v_lshlrev_b32_e32 v4, 3, v3
	v_add_co_u32 v13, s3, s27, v3
	s_delay_alu instid0(VALU_DEP_1)
	v_add_co_ci_u32_e64 v14, null, s30, 0, s3
	s_clause 0x1
	global_load_b64 v[11:12], v4, s[22:23]
	global_load_b64 v[22:23], v4, s[24:25]
	s_waitcnt vmcnt(0)
	v_cmp_neq_f64_e32 vcc_lo, v[11:12], v[22:23]
	v_cndmask_b32_e64 v23, 0, 1, vcc_lo
.LBB442_51:
	s_or_b32 exec_lo, exec_lo, s2
	v_or_b32_e32 v3, 0x500, v0
	s_delay_alu instid0(VALU_DEP_1) | instskip(NEXT) | instid1(VALU_DEP_1)
	v_cmp_gt_u32_e64 s3, s26, v3
	s_and_saveexec_b32 s2, s3
	s_cbranch_execz .LBB442_53
; %bb.52:
	v_lshlrev_b32_e32 v4, 3, v3
	v_add_co_u32 v5, s8, s27, v3
	s_delay_alu instid0(VALU_DEP_1)
	v_add_co_ci_u32_e64 v6, null, s30, 0, s8
	s_clause 0x1
	global_load_b64 v[11:12], v4, s[22:23]
	global_load_b64 v[18:19], v4, s[24:25]
	s_waitcnt vmcnt(0)
	v_cmp_neq_f64_e32 vcc_lo, v[11:12], v[18:19]
	v_cndmask_b32_e64 v19, 0, 1, vcc_lo
.LBB442_53:
	s_or_b32 exec_lo, exec_lo, s2
	v_dual_mov_b32 v3, 0 :: v_dual_mov_b32 v18, 0
	v_mov_b32_e32 v4, 0
	v_or_b32_e32 v25, 0x600, v0
	v_mov_b32_e32 v22, 0
	s_delay_alu instid0(VALU_DEP_3) | instskip(NEXT) | instid1(VALU_DEP_3)
	v_dual_mov_b32 v12, v4 :: v_dual_mov_b32 v11, v3
	v_cmp_gt_u32_e64 s2, s26, v25
	s_delay_alu instid0(VALU_DEP_1)
	s_and_saveexec_b32 s8, s2
	s_cbranch_execz .LBB442_55
; %bb.54:
	v_lshlrev_b32_e32 v11, 3, v25
	s_clause 0x1
	global_load_b64 v[26:27], v11, s[22:23]
	global_load_b64 v[28:29], v11, s[24:25]
	v_add_co_u32 v11, s31, s27, v25
	s_delay_alu instid0(VALU_DEP_1)
	v_add_co_ci_u32_e64 v12, null, s30, 0, s31
	s_waitcnt vmcnt(0)
	v_cmp_neq_f64_e32 vcc_lo, v[26:27], v[28:29]
	v_cndmask_b32_e64 v22, 0, 1, vcc_lo
.LBB442_55:
	s_or_b32 exec_lo, exec_lo, s8
	v_or_b32_e32 v25, 0x700, v0
	s_delay_alu instid0(VALU_DEP_1)
	v_cmp_gt_u32_e32 vcc_lo, s26, v25
	s_and_saveexec_b32 s31, vcc_lo
	s_cbranch_execnz .LBB442_232
; %bb.56:
	s_or_b32 exec_lo, exec_lo, s31
	s_and_saveexec_b32 s22, s7
	s_cbranch_execnz .LBB442_233
.LBB442_57:
	s_or_b32 exec_lo, exec_lo, s22
	s_and_saveexec_b32 s8, s6
	s_cbranch_execnz .LBB442_234
.LBB442_58:
	s_or_b32 exec_lo, exec_lo, s8
	s_and_saveexec_b32 s7, s5
	s_cbranch_execnz .LBB442_235
.LBB442_59:
	s_or_b32 exec_lo, exec_lo, s7
	s_and_saveexec_b32 s6, s4
	s_cbranch_execnz .LBB442_236
.LBB442_60:
	s_or_b32 exec_lo, exec_lo, s6
	s_and_saveexec_b32 s5, s3
	s_cbranch_execnz .LBB442_237
.LBB442_61:
	s_or_b32 exec_lo, exec_lo, s5
	s_and_saveexec_b32 s4, s2
	s_cbranch_execnz .LBB442_238
.LBB442_62:
	s_or_b32 exec_lo, exec_lo, s4
	s_and_saveexec_b32 s3, vcc_lo
.LBB442_63:
	v_and_b32_e32 v5, 1, v18
	v_cmp_lt_i64_e32 vcc_lo, v[3:4], v[1:2]
	s_delay_alu instid0(VALU_DEP_2) | instskip(NEXT) | instid1(VALU_DEP_1)
	v_cmp_eq_u32_e64 s2, 1, v5
	s_and_b32 vcc_lo, s2, vcc_lo
	v_cndmask_b32_e64 v6, v17, 1, s2
	v_dual_cndmask_b32 v2, v2, v4 :: v_dual_and_b32 v5, 1, v17
	v_cndmask_b32_e32 v1, v1, v3, vcc_lo
	s_delay_alu instid0(VALU_DEP_2) | instskip(NEXT) | instid1(VALU_DEP_3)
	v_cmp_eq_u32_e32 vcc_lo, 1, v5
	v_cndmask_b32_e32 v2, v4, v2, vcc_lo
	v_cndmask_b32_e32 v17, v18, v6, vcc_lo
	s_delay_alu instid0(VALU_DEP_4)
	v_cndmask_b32_e32 v1, v3, v1, vcc_lo
.LBB442_64:
	s_or_b32 exec_lo, exec_lo, s3
	v_mbcnt_lo_u32_b32 v5, -1, 0
	v_and_b32_e32 v7, 0xe0, v0
	s_min_u32 s3, s26, 0x100
	v_and_b32_e32 v6, 0xffff, v17
	s_delay_alu instid0(VALU_DEP_3) | instskip(NEXT) | instid1(VALU_DEP_3)
	v_cmp_ne_u32_e32 vcc_lo, 31, v5
	v_sub_nc_u32_e64 v8, s3, v7 clamp
	v_add_nc_u32_e32 v7, 1, v5
	v_add_co_ci_u32_e32 v3, vcc_lo, 0, v5, vcc_lo
	s_delay_alu instid0(VALU_DEP_2) | instskip(NEXT) | instid1(VALU_DEP_2)
	v_cmp_lt_u32_e32 vcc_lo, v7, v8
	v_dual_mov_b32 v7, v6 :: v_dual_lshlrev_b32 v4, 2, v3
	ds_bpermute_b32 v9, v4, v6
	ds_bpermute_b32 v3, v4, v1
	;; [unrolled: 1-line block ×3, first 2 shown]
	s_and_saveexec_b32 s2, vcc_lo
	s_delay_alu instid0(SALU_CYCLE_1)
	s_xor_b32 s4, exec_lo, s2
	s_cbranch_execz .LBB442_66
; %bb.65:
	s_waitcnt lgkmcnt(2)
	v_and_b32_e32 v7, 1, v9
	s_waitcnt lgkmcnt(0)
	v_cmp_lt_i64_e32 vcc_lo, v[3:4], v[1:2]
	s_delay_alu instid0(VALU_DEP_2) | instskip(SKIP_1) | instid1(VALU_DEP_2)
	v_cmp_eq_u32_e64 s2, 1, v7
	v_and_b32_e32 v7, 1, v17
	v_cndmask_b32_e64 v6, v6, 1, s2
	s_and_b32 vcc_lo, s2, vcc_lo
	s_delay_alu instid0(VALU_DEP_2) | instskip(SKIP_1) | instid1(VALU_DEP_2)
	v_cmp_eq_u32_e64 s2, 1, v7
	v_dual_cndmask_b32 v2, v2, v4 :: v_dual_cndmask_b32 v1, v1, v3
	v_cndmask_b32_e64 v7, v9, v6, s2
	s_delay_alu instid0(VALU_DEP_2) | instskip(NEXT) | instid1(VALU_DEP_3)
	v_cndmask_b32_e64 v2, v4, v2, s2
	v_cndmask_b32_e64 v1, v3, v1, s2
	s_delay_alu instid0(VALU_DEP_3)
	v_and_b32_e32 v6, 0xff, v7
.LBB442_66:
	s_or_b32 exec_lo, exec_lo, s4
	v_cmp_gt_u32_e32 vcc_lo, 30, v5
	v_add_nc_u32_e32 v10, 2, v5
	s_mov_b32 s4, exec_lo
	s_waitcnt lgkmcnt(1)
	v_cndmask_b32_e64 v3, 0, 1, vcc_lo
	s_delay_alu instid0(VALU_DEP_1) | instskip(SKIP_1) | instid1(VALU_DEP_1)
	v_lshlrev_b32_e32 v3, 1, v3
	s_waitcnt lgkmcnt(0)
	v_add_lshl_u32 v4, v3, v5, 2
	ds_bpermute_b32 v9, v4, v6
	ds_bpermute_b32 v3, v4, v1
	ds_bpermute_b32 v4, v4, v2
	v_cmpx_lt_u32_e64 v10, v8
	s_cbranch_execz .LBB442_68
; %bb.67:
	s_waitcnt lgkmcnt(2)
	v_and_b32_e32 v6, 1, v9
	s_waitcnt lgkmcnt(0)
	v_cmp_lt_i64_e32 vcc_lo, v[3:4], v[1:2]
	s_delay_alu instid0(VALU_DEP_2) | instskip(SKIP_1) | instid1(VALU_DEP_2)
	v_cmp_eq_u32_e64 s2, 1, v6
	v_and_b32_e32 v6, 1, v7
	v_cndmask_b32_e64 v7, v7, 1, s2
	s_and_b32 vcc_lo, s2, vcc_lo
	s_delay_alu instid0(VALU_DEP_2) | instskip(SKIP_1) | instid1(VALU_DEP_2)
	v_cmp_eq_u32_e64 s2, 1, v6
	v_dual_cndmask_b32 v1, v1, v3 :: v_dual_cndmask_b32 v2, v2, v4
	v_cndmask_b32_e64 v7, v9, v7, s2
	s_delay_alu instid0(VALU_DEP_2) | instskip(NEXT) | instid1(VALU_DEP_3)
	v_cndmask_b32_e64 v1, v3, v1, s2
	v_cndmask_b32_e64 v2, v4, v2, s2
	s_delay_alu instid0(VALU_DEP_3)
	v_and_b32_e32 v6, 0xff, v7
.LBB442_68:
	s_or_b32 exec_lo, exec_lo, s4
	v_cmp_gt_u32_e32 vcc_lo, 28, v5
	v_add_nc_u32_e32 v10, 4, v5
	s_mov_b32 s4, exec_lo
	s_waitcnt lgkmcnt(1)
	v_cndmask_b32_e64 v3, 0, 1, vcc_lo
	s_delay_alu instid0(VALU_DEP_1) | instskip(SKIP_1) | instid1(VALU_DEP_1)
	v_lshlrev_b32_e32 v3, 2, v3
	s_waitcnt lgkmcnt(0)
	v_add_lshl_u32 v4, v3, v5, 2
	ds_bpermute_b32 v9, v4, v6
	ds_bpermute_b32 v3, v4, v1
	ds_bpermute_b32 v4, v4, v2
	v_cmpx_lt_u32_e64 v10, v8
	;; [unrolled: 35-line block ×4, first 2 shown]
	s_cbranch_execz .LBB442_74
; %bb.73:
	s_waitcnt lgkmcnt(2)
	v_and_b32_e32 v6, 1, v9
	s_waitcnt lgkmcnt(0)
	v_cmp_lt_i64_e32 vcc_lo, v[3:4], v[1:2]
	s_delay_alu instid0(VALU_DEP_2) | instskip(SKIP_1) | instid1(VALU_DEP_2)
	v_cmp_eq_u32_e64 s2, 1, v6
	v_and_b32_e32 v6, 1, v7
	v_cndmask_b32_e64 v7, v7, 1, s2
	s_and_b32 vcc_lo, s2, vcc_lo
	s_delay_alu instid0(VALU_DEP_2) | instskip(SKIP_1) | instid1(VALU_DEP_2)
	v_cmp_eq_u32_e64 s2, 1, v6
	v_dual_cndmask_b32 v1, v1, v3 :: v_dual_cndmask_b32 v2, v2, v4
	v_cndmask_b32_e64 v7, v9, v7, s2
	s_delay_alu instid0(VALU_DEP_2) | instskip(NEXT) | instid1(VALU_DEP_3)
	v_cndmask_b32_e64 v1, v3, v1, s2
	v_cndmask_b32_e64 v2, v4, v2, s2
	s_delay_alu instid0(VALU_DEP_3)
	v_and_b32_e32 v6, 0xff, v7
.LBB442_74:
	s_or_b32 exec_lo, exec_lo, s4
	s_delay_alu instid0(SALU_CYCLE_1)
	s_mov_b32 s2, exec_lo
	v_cmpx_eq_u32_e32 0, v5
	s_cbranch_execz .LBB442_76
; %bb.75:
	s_waitcnt lgkmcnt(1)
	v_lshrrev_b32_e32 v3, 1, v0
	s_delay_alu instid0(VALU_DEP_1)
	v_and_b32_e32 v3, 0x70, v3
	ds_store_b8 v3, v7 offset:512
	ds_store_b64 v3, v[1:2] offset:520
.LBB442_76:
	s_or_b32 exec_lo, exec_lo, s2
	s_delay_alu instid0(SALU_CYCLE_1)
	s_mov_b32 s4, exec_lo
	s_waitcnt lgkmcnt(0)
	s_barrier
	buffer_gl0_inv
	v_cmpx_gt_u32_e32 8, v0
	s_cbranch_execz .LBB442_84
; %bb.77:
	v_lshlrev_b32_e32 v1, 4, v5
	v_and_b32_e32 v8, 7, v5
	s_add_i32 s3, s3, 31
	s_mov_b32 s5, exec_lo
	s_lshr_b32 s3, s3, 5
	ds_load_u8 v7, v1 offset:512
	ds_load_b64 v[1:2], v1 offset:520
	v_cmp_ne_u32_e32 vcc_lo, 7, v8
	v_add_nc_u32_e32 v10, 1, v8
	v_add_co_ci_u32_e32 v3, vcc_lo, 0, v5, vcc_lo
	s_delay_alu instid0(VALU_DEP_1)
	v_lshlrev_b32_e32 v4, 2, v3
	s_waitcnt lgkmcnt(1)
	v_and_b32_e32 v6, 0xff, v7
	s_waitcnt lgkmcnt(0)
	ds_bpermute_b32 v3, v4, v1
	ds_bpermute_b32 v9, v4, v6
	;; [unrolled: 1-line block ×3, first 2 shown]
	v_cmpx_gt_u32_e64 s3, v10
	s_cbranch_execz .LBB442_79
; %bb.78:
	s_waitcnt lgkmcnt(1)
	v_and_b32_e32 v6, 1, v9
	s_waitcnt lgkmcnt(0)
	v_cmp_lt_i64_e32 vcc_lo, v[3:4], v[1:2]
	s_delay_alu instid0(VALU_DEP_2) | instskip(SKIP_1) | instid1(VALU_DEP_2)
	v_cmp_eq_u32_e64 s2, 1, v6
	v_and_b32_e32 v6, 1, v7
	v_cndmask_b32_e64 v7, v7, 1, s2
	s_and_b32 vcc_lo, s2, vcc_lo
	s_delay_alu instid0(VALU_DEP_2) | instskip(SKIP_1) | instid1(VALU_DEP_2)
	v_cmp_eq_u32_e64 s2, 1, v6
	v_dual_cndmask_b32 v1, v1, v3 :: v_dual_cndmask_b32 v2, v2, v4
	v_cndmask_b32_e64 v7, v9, v7, s2
	s_delay_alu instid0(VALU_DEP_2) | instskip(NEXT) | instid1(VALU_DEP_3)
	v_cndmask_b32_e64 v1, v3, v1, s2
	v_cndmask_b32_e64 v2, v4, v2, s2
	s_delay_alu instid0(VALU_DEP_3)
	v_and_b32_e32 v6, 0xff, v7
.LBB442_79:
	s_or_b32 exec_lo, exec_lo, s5
	v_cmp_gt_u32_e32 vcc_lo, 6, v8
	v_add_nc_u32_e32 v10, 2, v8
	s_mov_b32 s5, exec_lo
	s_waitcnt lgkmcnt(2)
	v_cndmask_b32_e64 v3, 0, 1, vcc_lo
	s_delay_alu instid0(VALU_DEP_1) | instskip(SKIP_1) | instid1(VALU_DEP_1)
	v_lshlrev_b32_e32 v3, 1, v3
	s_waitcnt lgkmcnt(0)
	v_add_lshl_u32 v4, v3, v5, 2
	ds_bpermute_b32 v9, v4, v6
	ds_bpermute_b32 v3, v4, v1
	;; [unrolled: 1-line block ×3, first 2 shown]
	v_cmpx_gt_u32_e64 s3, v10
	s_cbranch_execz .LBB442_81
; %bb.80:
	s_waitcnt lgkmcnt(2)
	v_and_b32_e32 v6, 1, v9
	s_waitcnt lgkmcnt(0)
	v_cmp_lt_i64_e32 vcc_lo, v[3:4], v[1:2]
	s_delay_alu instid0(VALU_DEP_2) | instskip(SKIP_1) | instid1(VALU_DEP_2)
	v_cmp_eq_u32_e64 s2, 1, v6
	v_and_b32_e32 v6, 1, v7
	v_cndmask_b32_e64 v7, v7, 1, s2
	s_and_b32 vcc_lo, s2, vcc_lo
	s_delay_alu instid0(VALU_DEP_2) | instskip(SKIP_1) | instid1(VALU_DEP_2)
	v_cmp_eq_u32_e64 s2, 1, v6
	v_dual_cndmask_b32 v1, v1, v3 :: v_dual_cndmask_b32 v2, v2, v4
	v_cndmask_b32_e64 v7, v9, v7, s2
	s_delay_alu instid0(VALU_DEP_2) | instskip(NEXT) | instid1(VALU_DEP_3)
	v_cndmask_b32_e64 v1, v3, v1, s2
	v_cndmask_b32_e64 v2, v4, v2, s2
	s_delay_alu instid0(VALU_DEP_3)
	v_and_b32_e32 v6, 0xff, v7
.LBB442_81:
	s_or_b32 exec_lo, exec_lo, s5
	v_cmp_gt_u32_e32 vcc_lo, 4, v8
	v_add_nc_u32_e32 v8, 4, v8
	s_waitcnt lgkmcnt(1)
	v_cndmask_b32_e64 v3, 0, 1, vcc_lo
	s_delay_alu instid0(VALU_DEP_2) | instskip(NEXT) | instid1(VALU_DEP_2)
	v_cmp_gt_u32_e32 vcc_lo, s3, v8
	v_lshlrev_b32_e32 v3, 2, v3
	s_waitcnt lgkmcnt(0)
	s_delay_alu instid0(VALU_DEP_1)
	v_add_lshl_u32 v4, v3, v5, 2
	ds_bpermute_b32 v5, v4, v6
	ds_bpermute_b32 v3, v4, v1
	;; [unrolled: 1-line block ×3, first 2 shown]
	s_and_saveexec_b32 s3, vcc_lo
	s_cbranch_execz .LBB442_83
; %bb.82:
	s_waitcnt lgkmcnt(2)
	v_and_b32_e32 v6, 1, v5
	s_waitcnt lgkmcnt(0)
	v_cmp_lt_i64_e32 vcc_lo, v[3:4], v[1:2]
	s_delay_alu instid0(VALU_DEP_2) | instskip(SKIP_1) | instid1(VALU_DEP_2)
	v_cmp_eq_u32_e64 s2, 1, v6
	v_and_b32_e32 v6, 1, v7
	v_cndmask_b32_e64 v7, v7, 1, s2
	s_and_b32 vcc_lo, s2, vcc_lo
	s_delay_alu instid0(VALU_DEP_2) | instskip(SKIP_1) | instid1(VALU_DEP_2)
	v_cmp_eq_u32_e64 s2, 1, v6
	v_dual_cndmask_b32 v1, v1, v3 :: v_dual_cndmask_b32 v2, v2, v4
	v_cndmask_b32_e64 v5, v5, v7, s2
	s_delay_alu instid0(VALU_DEP_2) | instskip(NEXT) | instid1(VALU_DEP_3)
	v_cndmask_b32_e64 v1, v3, v1, s2
	v_cndmask_b32_e64 v2, v4, v2, s2
	s_delay_alu instid0(VALU_DEP_3)
	v_and_b32_e32 v6, 0xff, v5
.LBB442_83:
	s_or_b32 exec_lo, exec_lo, s3
.LBB442_84:
	s_delay_alu instid0(SALU_CYCLE_1)
	s_or_b32 exec_lo, exec_lo, s4
.LBB442_85:
	s_mov_b32 s24, 0
                                        ; implicit-def: $vgpr3_vgpr4
                                        ; implicit-def: $vgpr5
	s_mov_b32 s2, exec_lo
	v_cmpx_eq_u32_e32 0, v0
	s_xor_b32 s4, exec_lo, s2
	s_cbranch_execz .LBB442_89
; %bb.86:
	s_waitcnt lgkmcnt(0)
	v_dual_mov_b32 v3, s20 :: v_dual_mov_b32 v4, s21
	v_mov_b32_e32 v5, s28
	s_cmp_eq_u64 s[14:15], 0
	s_cbranch_scc1 .LBB442_88
; %bb.87:
	v_and_b32_e32 v3, 1, v6
	v_cmp_gt_i64_e32 vcc_lo, s[20:21], v[1:2]
	s_bitcmp1_b32 s28, 0
	s_cselect_b32 s3, -1, 0
	s_delay_alu instid0(VALU_DEP_2) | instskip(NEXT) | instid1(VALU_DEP_1)
	v_cmp_eq_u32_e64 s2, 1, v3
	s_and_b32 vcc_lo, s2, vcc_lo
	v_cndmask_b32_e64 v3, s28, 1, s2
	v_cndmask_b32_e32 v7, s20, v1, vcc_lo
	v_cndmask_b32_e32 v4, s21, v2, vcc_lo
	s_delay_alu instid0(VALU_DEP_3) | instskip(NEXT) | instid1(VALU_DEP_3)
	v_cndmask_b32_e64 v5, v6, v3, s3
	v_cndmask_b32_e64 v3, v1, v7, s3
	s_delay_alu instid0(VALU_DEP_3)
	v_cndmask_b32_e64 v4, v2, v4, s3
.LBB442_88:
	s_mov_b32 s24, exec_lo
.LBB442_89:
	s_or_b32 exec_lo, exec_lo, s4
	s_delay_alu instid0(SALU_CYCLE_1)
	s_and_b32 vcc_lo, exec_lo, s9
	s_cbranch_vccnz .LBB442_22
.LBB442_90:
	s_branch .LBB442_200
.LBB442_91:
                                        ; implicit-def: $vgpr1_vgpr2
                                        ; implicit-def: $vgpr6
	s_cbranch_execz .LBB442_124
; %bb.92:
	s_waitcnt lgkmcnt(2)
	v_mov_b32_e32 v5, 0
	v_dual_mov_b32 v6, 0 :: v_dual_mov_b32 v11, 0
	s_delay_alu instid0(VALU_DEP_2) | instskip(SKIP_2) | instid1(VALU_DEP_3)
	v_mov_b32_e32 v1, v5
	v_mov_b32_e32 v9, 0
	s_sub_i32 s22, s14, s22
	v_mov_b32_e32 v2, v6
	s_mov_b32 s2, exec_lo
	v_cmpx_gt_u32_e64 s22, v0
	s_cbranch_execz .LBB442_94
; %bb.93:
	v_lshlrev_b32_e32 v1, 3, v0
	s_waitcnt lgkmcnt(0)
	s_clause 0x1
	global_load_b64 v[3:4], v1, s[6:7]
	global_load_b64 v[7:8], v1, s[8:9]
	v_add_co_u32 v1, s3, s5, v0
	s_delay_alu instid0(VALU_DEP_1)
	v_add_co_ci_u32_e64 v2, null, s23, 0, s3
	s_waitcnt vmcnt(0)
	v_cmp_neq_f64_e32 vcc_lo, v[3:4], v[7:8]
	v_cndmask_b32_e64 v9, 0, 1, vcc_lo
.LBB442_94:
	s_or_b32 exec_lo, exec_lo, s2
	s_waitcnt lgkmcnt(1)
	v_or_b32_e32 v3, 0x100, v0
	s_delay_alu instid0(VALU_DEP_1) | instskip(NEXT) | instid1(VALU_DEP_1)
	v_cmp_gt_u32_e64 s3, s22, v3
	s_and_saveexec_b32 s2, s3
	s_cbranch_execz .LBB442_96
; %bb.95:
	s_waitcnt lgkmcnt(0)
	v_lshlrev_b32_e32 v4, 3, v0
	v_add_co_u32 v5, s4, s5, v3
	s_delay_alu instid0(VALU_DEP_1)
	v_add_co_ci_u32_e64 v6, null, s23, 0, s4
	s_clause 0x1
	global_load_b64 v[7:8], v4, s[6:7] offset:2048
	global_load_b64 v[10:11], v4, s[8:9] offset:2048
	s_waitcnt vmcnt(0)
	v_cmp_neq_f64_e32 vcc_lo, v[7:8], v[10:11]
	v_cndmask_b32_e64 v11, 0, 1, vcc_lo
.LBB442_96:
	s_or_b32 exec_lo, exec_lo, s2
	s_waitcnt lgkmcnt(0)
	v_dual_mov_b32 v3, 0 :: v_dual_mov_b32 v10, 0
	v_mov_b32_e32 v4, 0
	v_or_b32_e32 v13, 0x200, v0
	v_mov_b32_e32 v12, 0
	s_delay_alu instid0(VALU_DEP_3) | instskip(NEXT) | instid1(VALU_DEP_3)
	v_dual_mov_b32 v8, v4 :: v_dual_mov_b32 v7, v3
	v_cmp_gt_u32_e64 s2, s22, v13
	s_delay_alu instid0(VALU_DEP_1)
	s_and_saveexec_b32 s4, s2
	s_cbranch_execz .LBB442_98
; %bb.97:
	v_lshlrev_b32_e32 v7, 3, v13
	s_clause 0x1
	global_load_b64 v[14:15], v7, s[6:7]
	global_load_b64 v[16:17], v7, s[8:9]
	v_add_co_u32 v7, s25, s5, v13
	s_delay_alu instid0(VALU_DEP_1)
	v_add_co_ci_u32_e64 v8, null, s23, 0, s25
	s_waitcnt vmcnt(0)
	v_cmp_neq_f64_e32 vcc_lo, v[14:15], v[16:17]
	v_cndmask_b32_e64 v12, 0, 1, vcc_lo
.LBB442_98:
	s_or_b32 exec_lo, exec_lo, s4
	v_or_b32_e32 v13, 0x300, v0
	s_delay_alu instid0(VALU_DEP_1)
	v_cmp_gt_u32_e32 vcc_lo, s22, v13
	s_and_saveexec_b32 s25, vcc_lo
	s_cbranch_execnz .LBB442_239
; %bb.99:
	s_or_b32 exec_lo, exec_lo, s25
	s_and_saveexec_b32 s5, s3
	s_cbranch_execnz .LBB442_240
.LBB442_100:
	s_or_b32 exec_lo, exec_lo, s5
	s_and_saveexec_b32 s4, s2
	s_cbranch_execnz .LBB442_241
.LBB442_101:
	s_or_b32 exec_lo, exec_lo, s4
	s_and_saveexec_b32 s3, vcc_lo
.LBB442_102:
	v_and_b32_e32 v5, 1, v10
	v_cmp_lt_i64_e32 vcc_lo, v[3:4], v[1:2]
	s_delay_alu instid0(VALU_DEP_2) | instskip(NEXT) | instid1(VALU_DEP_1)
	v_cmp_eq_u32_e64 s2, 1, v5
	s_and_b32 vcc_lo, s2, vcc_lo
	v_cndmask_b32_e64 v6, v9, 1, s2
	v_dual_cndmask_b32 v2, v2, v4 :: v_dual_and_b32 v5, 1, v9
	v_cndmask_b32_e32 v1, v1, v3, vcc_lo
	s_delay_alu instid0(VALU_DEP_2) | instskip(NEXT) | instid1(VALU_DEP_3)
	v_cmp_eq_u32_e32 vcc_lo, 1, v5
	v_cndmask_b32_e32 v2, v4, v2, vcc_lo
	v_cndmask_b32_e32 v9, v10, v6, vcc_lo
	s_delay_alu instid0(VALU_DEP_4)
	v_cndmask_b32_e32 v1, v3, v1, vcc_lo
.LBB442_103:
	s_or_b32 exec_lo, exec_lo, s3
	v_mbcnt_lo_u32_b32 v5, -1, 0
	v_and_b32_e32 v7, 0xe0, v0
	s_min_u32 s3, s22, 0x100
	v_and_b32_e32 v6, 0xffff, v9
	s_delay_alu instid0(VALU_DEP_3) | instskip(NEXT) | instid1(VALU_DEP_3)
	v_cmp_ne_u32_e32 vcc_lo, 31, v5
	v_sub_nc_u32_e64 v8, s3, v7 clamp
	v_add_nc_u32_e32 v7, 1, v5
	v_add_co_ci_u32_e32 v3, vcc_lo, 0, v5, vcc_lo
	s_delay_alu instid0(VALU_DEP_2) | instskip(NEXT) | instid1(VALU_DEP_2)
	v_cmp_lt_u32_e32 vcc_lo, v7, v8
	v_dual_mov_b32 v7, v6 :: v_dual_lshlrev_b32 v4, 2, v3
	ds_bpermute_b32 v10, v4, v6
	ds_bpermute_b32 v3, v4, v1
	;; [unrolled: 1-line block ×3, first 2 shown]
	s_and_saveexec_b32 s2, vcc_lo
	s_delay_alu instid0(SALU_CYCLE_1)
	s_xor_b32 s4, exec_lo, s2
	s_cbranch_execz .LBB442_105
; %bb.104:
	s_waitcnt lgkmcnt(2)
	v_and_b32_e32 v7, 1, v10
	s_waitcnt lgkmcnt(0)
	v_cmp_lt_i64_e32 vcc_lo, v[3:4], v[1:2]
	s_delay_alu instid0(VALU_DEP_2) | instskip(SKIP_1) | instid1(VALU_DEP_2)
	v_cmp_eq_u32_e64 s2, 1, v7
	v_and_b32_e32 v7, 1, v9
	v_cndmask_b32_e64 v6, v6, 1, s2
	s_and_b32 vcc_lo, s2, vcc_lo
	s_delay_alu instid0(VALU_DEP_2) | instskip(SKIP_1) | instid1(VALU_DEP_2)
	v_cmp_eq_u32_e64 s2, 1, v7
	v_dual_cndmask_b32 v2, v2, v4 :: v_dual_cndmask_b32 v1, v1, v3
	v_cndmask_b32_e64 v7, v10, v6, s2
	s_delay_alu instid0(VALU_DEP_2) | instskip(NEXT) | instid1(VALU_DEP_3)
	v_cndmask_b32_e64 v2, v4, v2, s2
	v_cndmask_b32_e64 v1, v3, v1, s2
	s_delay_alu instid0(VALU_DEP_3)
	v_and_b32_e32 v6, 0xff, v7
.LBB442_105:
	s_or_b32 exec_lo, exec_lo, s4
	v_cmp_gt_u32_e32 vcc_lo, 30, v5
	s_waitcnt lgkmcnt(2)
	v_add_nc_u32_e32 v10, 2, v5
	s_mov_b32 s4, exec_lo
	s_waitcnt lgkmcnt(1)
	v_cndmask_b32_e64 v3, 0, 1, vcc_lo
	s_delay_alu instid0(VALU_DEP_1) | instskip(SKIP_1) | instid1(VALU_DEP_1)
	v_lshlrev_b32_e32 v3, 1, v3
	s_waitcnt lgkmcnt(0)
	v_add_lshl_u32 v4, v3, v5, 2
	ds_bpermute_b32 v9, v4, v6
	ds_bpermute_b32 v3, v4, v1
	ds_bpermute_b32 v4, v4, v2
	v_cmpx_lt_u32_e64 v10, v8
	s_cbranch_execz .LBB442_107
; %bb.106:
	s_waitcnt lgkmcnt(2)
	v_and_b32_e32 v6, 1, v9
	s_waitcnt lgkmcnt(0)
	v_cmp_lt_i64_e32 vcc_lo, v[3:4], v[1:2]
	s_delay_alu instid0(VALU_DEP_2) | instskip(SKIP_1) | instid1(VALU_DEP_2)
	v_cmp_eq_u32_e64 s2, 1, v6
	v_and_b32_e32 v6, 1, v7
	v_cndmask_b32_e64 v7, v7, 1, s2
	s_and_b32 vcc_lo, s2, vcc_lo
	s_delay_alu instid0(VALU_DEP_2) | instskip(SKIP_1) | instid1(VALU_DEP_2)
	v_cmp_eq_u32_e64 s2, 1, v6
	v_dual_cndmask_b32 v1, v1, v3 :: v_dual_cndmask_b32 v2, v2, v4
	v_cndmask_b32_e64 v7, v9, v7, s2
	s_delay_alu instid0(VALU_DEP_2) | instskip(NEXT) | instid1(VALU_DEP_3)
	v_cndmask_b32_e64 v1, v3, v1, s2
	v_cndmask_b32_e64 v2, v4, v2, s2
	s_delay_alu instid0(VALU_DEP_3)
	v_and_b32_e32 v6, 0xff, v7
.LBB442_107:
	s_or_b32 exec_lo, exec_lo, s4
	v_cmp_gt_u32_e32 vcc_lo, 28, v5
	v_add_nc_u32_e32 v10, 4, v5
	s_mov_b32 s4, exec_lo
	s_waitcnt lgkmcnt(1)
	v_cndmask_b32_e64 v3, 0, 1, vcc_lo
	s_delay_alu instid0(VALU_DEP_1) | instskip(SKIP_1) | instid1(VALU_DEP_1)
	v_lshlrev_b32_e32 v3, 2, v3
	s_waitcnt lgkmcnt(0)
	v_add_lshl_u32 v4, v3, v5, 2
	ds_bpermute_b32 v9, v4, v6
	ds_bpermute_b32 v3, v4, v1
	ds_bpermute_b32 v4, v4, v2
	v_cmpx_lt_u32_e64 v10, v8
	s_cbranch_execz .LBB442_109
; %bb.108:
	s_waitcnt lgkmcnt(2)
	v_and_b32_e32 v6, 1, v9
	s_waitcnt lgkmcnt(0)
	v_cmp_lt_i64_e32 vcc_lo, v[3:4], v[1:2]
	s_delay_alu instid0(VALU_DEP_2) | instskip(SKIP_1) | instid1(VALU_DEP_2)
	v_cmp_eq_u32_e64 s2, 1, v6
	v_and_b32_e32 v6, 1, v7
	v_cndmask_b32_e64 v7, v7, 1, s2
	s_and_b32 vcc_lo, s2, vcc_lo
	s_delay_alu instid0(VALU_DEP_2) | instskip(SKIP_1) | instid1(VALU_DEP_2)
	v_cmp_eq_u32_e64 s2, 1, v6
	v_dual_cndmask_b32 v1, v1, v3 :: v_dual_cndmask_b32 v2, v2, v4
	v_cndmask_b32_e64 v7, v9, v7, s2
	s_delay_alu instid0(VALU_DEP_2) | instskip(NEXT) | instid1(VALU_DEP_3)
	v_cndmask_b32_e64 v1, v3, v1, s2
	v_cndmask_b32_e64 v2, v4, v2, s2
	s_delay_alu instid0(VALU_DEP_3)
	v_and_b32_e32 v6, 0xff, v7
.LBB442_109:
	s_or_b32 exec_lo, exec_lo, s4
	v_cmp_gt_u32_e32 vcc_lo, 24, v5
	;; [unrolled: 35-line block ×3, first 2 shown]
	v_add_nc_u32_e32 v10, 16, v5
	s_mov_b32 s4, exec_lo
	s_waitcnt lgkmcnt(1)
	v_cndmask_b32_e64 v3, 0, 1, vcc_lo
	s_delay_alu instid0(VALU_DEP_1) | instskip(SKIP_1) | instid1(VALU_DEP_1)
	v_lshlrev_b32_e32 v3, 4, v3
	s_waitcnt lgkmcnt(0)
	v_add_lshl_u32 v4, v3, v5, 2
	ds_bpermute_b32 v9, v4, v6
	ds_bpermute_b32 v3, v4, v1
	;; [unrolled: 1-line block ×3, first 2 shown]
	v_cmpx_lt_u32_e64 v10, v8
	s_cbranch_execz .LBB442_113
; %bb.112:
	s_waitcnt lgkmcnt(2)
	v_and_b32_e32 v6, 1, v9
	s_waitcnt lgkmcnt(0)
	v_cmp_lt_i64_e32 vcc_lo, v[3:4], v[1:2]
	s_delay_alu instid0(VALU_DEP_2) | instskip(SKIP_1) | instid1(VALU_DEP_2)
	v_cmp_eq_u32_e64 s2, 1, v6
	v_and_b32_e32 v6, 1, v7
	v_cndmask_b32_e64 v7, v7, 1, s2
	s_and_b32 vcc_lo, s2, vcc_lo
	s_delay_alu instid0(VALU_DEP_2) | instskip(SKIP_1) | instid1(VALU_DEP_2)
	v_cmp_eq_u32_e64 s2, 1, v6
	v_dual_cndmask_b32 v1, v1, v3 :: v_dual_cndmask_b32 v2, v2, v4
	v_cndmask_b32_e64 v7, v9, v7, s2
	s_delay_alu instid0(VALU_DEP_2) | instskip(NEXT) | instid1(VALU_DEP_3)
	v_cndmask_b32_e64 v1, v3, v1, s2
	v_cndmask_b32_e64 v2, v4, v2, s2
	s_delay_alu instid0(VALU_DEP_3)
	v_and_b32_e32 v6, 0xff, v7
.LBB442_113:
	s_or_b32 exec_lo, exec_lo, s4
	s_delay_alu instid0(SALU_CYCLE_1)
	s_mov_b32 s2, exec_lo
	v_cmpx_eq_u32_e32 0, v5
	s_cbranch_execz .LBB442_115
; %bb.114:
	s_waitcnt lgkmcnt(1)
	v_lshrrev_b32_e32 v3, 1, v0
	s_delay_alu instid0(VALU_DEP_1)
	v_and_b32_e32 v3, 0x70, v3
	ds_store_b8 v3, v7 offset:512
	ds_store_b64 v3, v[1:2] offset:520
.LBB442_115:
	s_or_b32 exec_lo, exec_lo, s2
	s_delay_alu instid0(SALU_CYCLE_1)
	s_mov_b32 s4, exec_lo
	s_waitcnt lgkmcnt(0)
	s_barrier
	buffer_gl0_inv
	v_cmpx_gt_u32_e32 8, v0
	s_cbranch_execz .LBB442_123
; %bb.116:
	v_lshlrev_b32_e32 v1, 4, v5
	v_and_b32_e32 v8, 7, v5
	s_add_i32 s3, s3, 31
	s_mov_b32 s5, exec_lo
	s_lshr_b32 s3, s3, 5
	ds_load_u8 v7, v1 offset:512
	ds_load_b64 v[1:2], v1 offset:520
	v_cmp_ne_u32_e32 vcc_lo, 7, v8
	v_add_nc_u32_e32 v10, 1, v8
	v_add_co_ci_u32_e32 v3, vcc_lo, 0, v5, vcc_lo
	s_delay_alu instid0(VALU_DEP_1)
	v_lshlrev_b32_e32 v4, 2, v3
	s_waitcnt lgkmcnt(1)
	v_and_b32_e32 v6, 0xff, v7
	s_waitcnt lgkmcnt(0)
	ds_bpermute_b32 v3, v4, v1
	ds_bpermute_b32 v9, v4, v6
	;; [unrolled: 1-line block ×3, first 2 shown]
	v_cmpx_gt_u32_e64 s3, v10
	s_cbranch_execz .LBB442_118
; %bb.117:
	s_waitcnt lgkmcnt(1)
	v_and_b32_e32 v6, 1, v9
	s_waitcnt lgkmcnt(0)
	v_cmp_lt_i64_e32 vcc_lo, v[3:4], v[1:2]
	s_delay_alu instid0(VALU_DEP_2) | instskip(SKIP_1) | instid1(VALU_DEP_2)
	v_cmp_eq_u32_e64 s2, 1, v6
	v_and_b32_e32 v6, 1, v7
	v_cndmask_b32_e64 v7, v7, 1, s2
	s_and_b32 vcc_lo, s2, vcc_lo
	s_delay_alu instid0(VALU_DEP_2) | instskip(SKIP_1) | instid1(VALU_DEP_2)
	v_cmp_eq_u32_e64 s2, 1, v6
	v_dual_cndmask_b32 v1, v1, v3 :: v_dual_cndmask_b32 v2, v2, v4
	v_cndmask_b32_e64 v7, v9, v7, s2
	s_delay_alu instid0(VALU_DEP_2) | instskip(NEXT) | instid1(VALU_DEP_3)
	v_cndmask_b32_e64 v1, v3, v1, s2
	v_cndmask_b32_e64 v2, v4, v2, s2
	s_delay_alu instid0(VALU_DEP_3)
	v_and_b32_e32 v6, 0xff, v7
.LBB442_118:
	s_or_b32 exec_lo, exec_lo, s5
	v_cmp_gt_u32_e32 vcc_lo, 6, v8
	v_add_nc_u32_e32 v10, 2, v8
	s_mov_b32 s5, exec_lo
	s_waitcnt lgkmcnt(2)
	v_cndmask_b32_e64 v3, 0, 1, vcc_lo
	s_delay_alu instid0(VALU_DEP_1) | instskip(SKIP_1) | instid1(VALU_DEP_1)
	v_lshlrev_b32_e32 v3, 1, v3
	s_waitcnt lgkmcnt(0)
	v_add_lshl_u32 v4, v3, v5, 2
	ds_bpermute_b32 v9, v4, v6
	ds_bpermute_b32 v3, v4, v1
	;; [unrolled: 1-line block ×3, first 2 shown]
	v_cmpx_gt_u32_e64 s3, v10
	s_cbranch_execz .LBB442_120
; %bb.119:
	s_waitcnt lgkmcnt(2)
	v_and_b32_e32 v6, 1, v9
	s_waitcnt lgkmcnt(0)
	v_cmp_lt_i64_e32 vcc_lo, v[3:4], v[1:2]
	s_delay_alu instid0(VALU_DEP_2) | instskip(SKIP_1) | instid1(VALU_DEP_2)
	v_cmp_eq_u32_e64 s2, 1, v6
	v_and_b32_e32 v6, 1, v7
	v_cndmask_b32_e64 v7, v7, 1, s2
	s_and_b32 vcc_lo, s2, vcc_lo
	s_delay_alu instid0(VALU_DEP_2) | instskip(SKIP_1) | instid1(VALU_DEP_2)
	v_cmp_eq_u32_e64 s2, 1, v6
	v_dual_cndmask_b32 v1, v1, v3 :: v_dual_cndmask_b32 v2, v2, v4
	v_cndmask_b32_e64 v7, v9, v7, s2
	s_delay_alu instid0(VALU_DEP_2) | instskip(NEXT) | instid1(VALU_DEP_3)
	v_cndmask_b32_e64 v1, v3, v1, s2
	v_cndmask_b32_e64 v2, v4, v2, s2
	s_delay_alu instid0(VALU_DEP_3)
	v_and_b32_e32 v6, 0xff, v7
.LBB442_120:
	s_or_b32 exec_lo, exec_lo, s5
	v_cmp_gt_u32_e32 vcc_lo, 4, v8
	v_add_nc_u32_e32 v8, 4, v8
	s_waitcnt lgkmcnt(1)
	v_cndmask_b32_e64 v3, 0, 1, vcc_lo
	s_delay_alu instid0(VALU_DEP_2) | instskip(NEXT) | instid1(VALU_DEP_2)
	v_cmp_gt_u32_e32 vcc_lo, s3, v8
	v_lshlrev_b32_e32 v3, 2, v3
	s_waitcnt lgkmcnt(0)
	s_delay_alu instid0(VALU_DEP_1)
	v_add_lshl_u32 v4, v3, v5, 2
	ds_bpermute_b32 v5, v4, v6
	ds_bpermute_b32 v3, v4, v1
	;; [unrolled: 1-line block ×3, first 2 shown]
	s_and_saveexec_b32 s3, vcc_lo
	s_cbranch_execz .LBB442_122
; %bb.121:
	s_waitcnt lgkmcnt(2)
	v_and_b32_e32 v6, 1, v5
	s_waitcnt lgkmcnt(0)
	v_cmp_lt_i64_e32 vcc_lo, v[3:4], v[1:2]
	s_delay_alu instid0(VALU_DEP_2) | instskip(SKIP_1) | instid1(VALU_DEP_2)
	v_cmp_eq_u32_e64 s2, 1, v6
	v_and_b32_e32 v6, 1, v7
	v_cndmask_b32_e64 v7, v7, 1, s2
	s_and_b32 vcc_lo, s2, vcc_lo
	s_delay_alu instid0(VALU_DEP_2) | instskip(SKIP_1) | instid1(VALU_DEP_2)
	v_cmp_eq_u32_e64 s2, 1, v6
	v_dual_cndmask_b32 v1, v1, v3 :: v_dual_cndmask_b32 v2, v2, v4
	v_cndmask_b32_e64 v5, v5, v7, s2
	s_delay_alu instid0(VALU_DEP_2) | instskip(NEXT) | instid1(VALU_DEP_3)
	v_cndmask_b32_e64 v1, v3, v1, s2
	v_cndmask_b32_e64 v2, v4, v2, s2
	s_delay_alu instid0(VALU_DEP_3)
	v_and_b32_e32 v6, 0xff, v5
.LBB442_122:
	s_or_b32 exec_lo, exec_lo, s3
.LBB442_123:
	s_delay_alu instid0(SALU_CYCLE_1)
	s_or_b32 exec_lo, exec_lo, s4
.LBB442_124:
                                        ; implicit-def: $vgpr3_vgpr4
                                        ; implicit-def: $vgpr5
	s_delay_alu instid0(SALU_CYCLE_1)
	s_mov_b32 s2, exec_lo
	v_cmpx_eq_u32_e32 0, v0
	s_xor_b32 s4, exec_lo, s2
	s_cbranch_execz .LBB442_128
; %bb.125:
	s_waitcnt lgkmcnt(0)
	v_dual_mov_b32 v3, s20 :: v_dual_mov_b32 v4, s21
	v_mov_b32_e32 v5, s28
	s_cmp_eq_u64 s[14:15], 0
	s_cbranch_scc1 .LBB442_127
; %bb.126:
	v_and_b32_e32 v3, 1, v6
	v_cmp_gt_i64_e32 vcc_lo, s[20:21], v[1:2]
	s_bitcmp1_b32 s28, 0
	s_cselect_b32 s3, -1, 0
	s_delay_alu instid0(VALU_DEP_2) | instskip(NEXT) | instid1(VALU_DEP_1)
	v_cmp_eq_u32_e64 s2, 1, v3
	s_and_b32 vcc_lo, s2, vcc_lo
	v_cndmask_b32_e64 v3, s28, 1, s2
	v_cndmask_b32_e32 v7, s20, v1, vcc_lo
	v_cndmask_b32_e32 v4, s21, v2, vcc_lo
	s_delay_alu instid0(VALU_DEP_3) | instskip(NEXT) | instid1(VALU_DEP_3)
	v_cndmask_b32_e64 v5, v6, v3, s3
	v_cndmask_b32_e64 v3, v1, v7, s3
	s_delay_alu instid0(VALU_DEP_3)
	v_cndmask_b32_e64 v4, v2, v4, s3
.LBB442_127:
	s_or_b32 s24, s24, exec_lo
.LBB442_128:
	s_or_b32 exec_lo, exec_lo, s4
	s_branch .LBB442_200
.LBB442_129:
	s_cmp_gt_i32 s29, 1
	s_cbranch_scc0 .LBB442_147
; %bb.130:
	s_cmp_eq_u32 s29, 2
	s_cbranch_scc0 .LBB442_148
; %bb.131:
	s_mov_b32 s11, 0
	s_lshl_b32 s8, s10, 9
	s_mov_b32 s9, s11
	s_lshr_b64 s[26:27], s[14:15], 9
	s_lshl_b64 s[2:3], s[8:9], 3
	s_delay_alu instid0(SALU_CYCLE_1)
	s_add_u32 s4, s16, s2
	s_addc_u32 s5, s17, s3
	s_add_u32 s6, s18, s2
	s_addc_u32 s7, s19, s3
	;; [unrolled: 2-line block ×3, first 2 shown]
	s_cmp_lg_u64 s[26:27], s[10:11]
	s_cbranch_scc0 .LBB442_149
; %bb.132:
	v_lshlrev_b32_e32 v7, 3, v0
	v_add_co_u32 v9, s2, s9, v0
	s_delay_alu instid0(VALU_DEP_1)
	v_add_co_ci_u32_e64 v10, null, s22, 0, s2
	global_load_b64 v[1:2], v7, s[6:7] offset:2048
	s_waitcnt lgkmcnt(0)
	s_clause 0x2
	global_load_b64 v[3:4], v7, s[6:7]
	global_load_b64 v[5:6], v7, s[4:5] offset:2048
	global_load_b64 v[7:8], v7, s[4:5]
	v_add_co_u32 v11, vcc_lo, 0x100, v9
	v_add_co_ci_u32_e32 v12, vcc_lo, 0, v10, vcc_lo
	s_mov_b32 s23, exec_lo
	s_waitcnt vmcnt(1)
	v_cmp_neq_f64_e32 vcc_lo, v[5:6], v[1:2]
	s_waitcnt vmcnt(0)
	v_cmp_neq_f64_e64 s2, v[7:8], v[3:4]
	s_delay_alu instid0(VALU_DEP_1) | instskip(SKIP_3) | instid1(VALU_DEP_3)
	s_or_b32 s3, s2, vcc_lo
	v_cndmask_b32_e64 v2, v12, v10, s2
	v_cndmask_b32_e64 v5, 0, 1, s3
	;; [unrolled: 1-line block ×3, first 2 shown]
	v_mov_b32_dpp v4, v2 quad_perm:[1,0,3,2] row_mask:0xf bank_mask:0xf
	s_delay_alu instid0(VALU_DEP_3) | instskip(NEXT) | instid1(VALU_DEP_3)
	v_mov_b32_dpp v6, v5 quad_perm:[1,0,3,2] row_mask:0xf bank_mask:0xf
	v_mov_b32_dpp v3, v1 quad_perm:[1,0,3,2] row_mask:0xf bank_mask:0xf
	s_delay_alu instid0(VALU_DEP_2) | instskip(NEXT) | instid1(VALU_DEP_1)
	v_and_b32_e32 v7, 1, v6
	v_cmpx_eq_u32_e32 1, v7
; %bb.133:
	v_cndmask_b32_e64 v5, v6, 1, s3
	s_delay_alu instid0(VALU_DEP_4) | instskip(NEXT) | instid1(VALU_DEP_2)
	v_cmp_lt_i64_e32 vcc_lo, v[1:2], v[3:4]
	v_and_b32_e32 v6, 1, v5
	v_and_b32_e32 v5, 0xff, v5
	s_and_b32 vcc_lo, s3, vcc_lo
	s_and_not1_b32 s3, s3, exec_lo
	v_dual_cndmask_b32 v2, v4, v2 :: v_dual_cndmask_b32 v1, v3, v1
	v_cmp_eq_u32_e64 s2, 1, v6
	s_delay_alu instid0(VALU_DEP_1) | instskip(NEXT) | instid1(SALU_CYCLE_1)
	s_and_b32 s2, s2, exec_lo
	s_or_b32 s3, s3, s2
; %bb.134:
	s_or_b32 exec_lo, exec_lo, s23
	v_mov_b32_dpp v6, v5 quad_perm:[2,3,0,1] row_mask:0xf bank_mask:0xf
	v_mov_b32_dpp v3, v1 quad_perm:[2,3,0,1] row_mask:0xf bank_mask:0xf
	;; [unrolled: 1-line block ×3, first 2 shown]
	s_mov_b32 s23, exec_lo
	s_delay_alu instid0(VALU_DEP_3) | instskip(NEXT) | instid1(VALU_DEP_1)
	v_and_b32_e32 v7, 1, v6
	v_cmpx_eq_u32_e32 1, v7
; %bb.135:
	v_cndmask_b32_e64 v5, v6, 1, s3
	v_cmp_lt_i64_e32 vcc_lo, v[1:2], v[3:4]
	s_delay_alu instid0(VALU_DEP_2)
	v_and_b32_e32 v6, 1, v5
	v_and_b32_e32 v5, 0xff, v5
	s_and_b32 vcc_lo, s3, vcc_lo
	s_and_not1_b32 s3, s3, exec_lo
	v_dual_cndmask_b32 v2, v4, v2 :: v_dual_cndmask_b32 v1, v3, v1
	v_cmp_eq_u32_e64 s2, 1, v6
	s_delay_alu instid0(VALU_DEP_1) | instskip(NEXT) | instid1(SALU_CYCLE_1)
	s_and_b32 s2, s2, exec_lo
	s_or_b32 s3, s3, s2
; %bb.136:
	s_or_b32 exec_lo, exec_lo, s23
	v_mov_b32_dpp v6, v5 row_ror:4 row_mask:0xf bank_mask:0xf
	v_mov_b32_dpp v3, v1 row_ror:4 row_mask:0xf bank_mask:0xf
	;; [unrolled: 1-line block ×3, first 2 shown]
	s_mov_b32 s23, exec_lo
	s_delay_alu instid0(VALU_DEP_3) | instskip(NEXT) | instid1(VALU_DEP_1)
	v_and_b32_e32 v7, 1, v6
	v_cmpx_eq_u32_e32 1, v7
; %bb.137:
	v_cndmask_b32_e64 v5, v6, 1, s3
	v_cmp_lt_i64_e32 vcc_lo, v[1:2], v[3:4]
	s_delay_alu instid0(VALU_DEP_2)
	v_and_b32_e32 v6, 1, v5
	v_and_b32_e32 v5, 0xff, v5
	s_and_b32 vcc_lo, s3, vcc_lo
	s_and_not1_b32 s3, s3, exec_lo
	v_dual_cndmask_b32 v2, v4, v2 :: v_dual_cndmask_b32 v1, v3, v1
	v_cmp_eq_u32_e64 s2, 1, v6
	s_delay_alu instid0(VALU_DEP_1) | instskip(NEXT) | instid1(SALU_CYCLE_1)
	s_and_b32 s2, s2, exec_lo
	s_or_b32 s3, s3, s2
; %bb.138:
	s_or_b32 exec_lo, exec_lo, s23
	v_mov_b32_dpp v6, v5 row_ror:8 row_mask:0xf bank_mask:0xf
	v_mov_b32_dpp v3, v1 row_ror:8 row_mask:0xf bank_mask:0xf
	;; [unrolled: 1-line block ×3, first 2 shown]
	s_mov_b32 s23, exec_lo
	s_delay_alu instid0(VALU_DEP_3) | instskip(NEXT) | instid1(VALU_DEP_1)
	v_and_b32_e32 v7, 1, v6
	v_cmpx_eq_u32_e32 1, v7
; %bb.139:
	v_cndmask_b32_e64 v5, v6, 1, s3
	v_cmp_lt_i64_e32 vcc_lo, v[1:2], v[3:4]
	s_delay_alu instid0(VALU_DEP_2)
	v_and_b32_e32 v6, 1, v5
	v_and_b32_e32 v5, 0xff, v5
	s_and_b32 vcc_lo, s3, vcc_lo
	s_and_not1_b32 s3, s3, exec_lo
	v_dual_cndmask_b32 v2, v4, v2 :: v_dual_cndmask_b32 v1, v3, v1
	v_cmp_eq_u32_e64 s2, 1, v6
	s_delay_alu instid0(VALU_DEP_1) | instskip(NEXT) | instid1(SALU_CYCLE_1)
	s_and_b32 s2, s2, exec_lo
	s_or_b32 s3, s3, s2
; %bb.140:
	s_or_b32 exec_lo, exec_lo, s23
	ds_swizzle_b32 v6, v5 offset:swizzle(BROADCAST,32,15)
	ds_swizzle_b32 v3, v1 offset:swizzle(BROADCAST,32,15)
	ds_swizzle_b32 v4, v2 offset:swizzle(BROADCAST,32,15)
	s_mov_b32 s2, exec_lo
	s_waitcnt lgkmcnt(2)
	v_and_b32_e32 v7, 1, v6
	s_delay_alu instid0(VALU_DEP_1)
	v_cmpx_eq_u32_e32 1, v7
	s_cbranch_execz .LBB442_142
; %bb.141:
	s_waitcnt lgkmcnt(0)
	v_cmp_lt_i64_e32 vcc_lo, v[1:2], v[3:4]
	v_and_b32_e32 v5, 0xff, v6
	s_delay_alu instid0(VALU_DEP_1)
	v_cndmask_b32_e64 v5, v5, 1, s3
	s_and_b32 vcc_lo, s3, vcc_lo
	v_dual_cndmask_b32 v1, v3, v1 :: v_dual_cndmask_b32 v2, v4, v2
.LBB442_142:
	s_or_b32 exec_lo, exec_lo, s2
	s_waitcnt lgkmcnt(1)
	v_mov_b32_e32 v3, 0
	s_mov_b32 s2, exec_lo
	ds_bpermute_b32 v6, v3, v5 offset:124
	ds_bpermute_b32 v1, v3, v1 offset:124
	;; [unrolled: 1-line block ×3, first 2 shown]
	v_mbcnt_lo_u32_b32 v3, -1, 0
	s_delay_alu instid0(VALU_DEP_1)
	v_cmpx_eq_u32_e32 0, v3
	s_cbranch_execz .LBB442_144
; %bb.143:
	s_waitcnt lgkmcnt(3)
	v_lshrrev_b32_e32 v4, 1, v0
	s_delay_alu instid0(VALU_DEP_1)
	v_and_b32_e32 v4, 0x70, v4
	s_waitcnt lgkmcnt(2)
	ds_store_b8 v4, v6 offset:128
	s_waitcnt lgkmcnt(1)
	ds_store_b64 v4, v[1:2] offset:136
.LBB442_144:
	s_or_b32 exec_lo, exec_lo, s2
	s_delay_alu instid0(SALU_CYCLE_1)
	s_mov_b32 s23, exec_lo
	s_waitcnt lgkmcnt(0)
	s_barrier
	buffer_gl0_inv
	v_cmpx_gt_u32_e32 32, v0
	s_cbranch_execz .LBB442_146
; %bb.145:
	v_and_b32_e32 v6, 7, v3
	s_delay_alu instid0(VALU_DEP_1)
	v_lshlrev_b32_e32 v1, 4, v6
	v_cmp_ne_u32_e32 vcc_lo, 7, v6
	ds_load_u8 v7, v1 offset:128
	ds_load_b64 v[1:2], v1 offset:136
	v_add_co_ci_u32_e32 v4, vcc_lo, 0, v3, vcc_lo
	v_cmp_gt_u32_e32 vcc_lo, 6, v6
	s_delay_alu instid0(VALU_DEP_2)
	v_lshlrev_b32_e32 v5, 2, v4
	v_cndmask_b32_e64 v10, 0, 1, vcc_lo
	s_waitcnt lgkmcnt(1)
	v_and_b32_e32 v4, 0xff, v7
	v_and_b32_e32 v11, 1, v7
	ds_bpermute_b32 v8, v5, v4
	s_waitcnt lgkmcnt(1)
	ds_bpermute_b32 v4, v5, v1
	ds_bpermute_b32 v5, v5, v2
	v_cmp_eq_u32_e64 s3, 1, v11
	s_waitcnt lgkmcnt(2)
	v_and_b32_e32 v9, 1, v8
	s_waitcnt lgkmcnt(0)
	v_cmp_lt_i64_e64 s2, v[4:5], v[1:2]
	s_delay_alu instid0(VALU_DEP_2) | instskip(SKIP_2) | instid1(VALU_DEP_4)
	v_cmp_eq_u32_e32 vcc_lo, 1, v9
	v_lshlrev_b32_e32 v9, 1, v10
	v_cndmask_b32_e64 v7, v7, 1, vcc_lo
	s_and_b32 vcc_lo, vcc_lo, s2
	v_dual_cndmask_b32 v1, v1, v4 :: v_dual_cndmask_b32 v2, v2, v5
	s_delay_alu instid0(VALU_DEP_2) | instskip(SKIP_2) | instid1(VALU_DEP_4)
	v_cndmask_b32_e64 v7, v8, v7, s3
	v_add_lshl_u32 v8, v9, v3, 2
	v_cmp_gt_u32_e32 vcc_lo, 4, v6
	v_cndmask_b32_e64 v1, v4, v1, s3
	v_cndmask_b32_e64 v2, v5, v2, s3
	v_and_b32_e32 v9, 0xff, v7
	v_and_b32_e32 v10, 1, v7
	v_cndmask_b32_e64 v6, 0, 1, vcc_lo
	ds_bpermute_b32 v4, v8, v1
	ds_bpermute_b32 v5, v8, v2
	;; [unrolled: 1-line block ×3, first 2 shown]
	v_cmp_eq_u32_e64 s3, 1, v10
	s_waitcnt lgkmcnt(1)
	v_cmp_lt_i64_e64 s2, v[4:5], v[1:2]
	s_waitcnt lgkmcnt(0)
	v_and_b32_e32 v8, 1, v9
	s_delay_alu instid0(VALU_DEP_1) | instskip(SKIP_1) | instid1(VALU_DEP_4)
	v_cmp_eq_u32_e32 vcc_lo, 1, v8
	v_cndmask_b32_e64 v7, v7, 1, vcc_lo
	s_and_b32 vcc_lo, vcc_lo, s2
	v_dual_cndmask_b32 v1, v1, v4 :: v_dual_cndmask_b32 v2, v2, v5
	s_delay_alu instid0(VALU_DEP_2) | instskip(NEXT) | instid1(VALU_DEP_2)
	v_cndmask_b32_e64 v7, v9, v7, s3
	v_cndmask_b32_e64 v1, v4, v1, s3
	v_lshlrev_b32_e32 v6, 2, v6
	s_delay_alu instid0(VALU_DEP_4) | instskip(NEXT) | instid1(VALU_DEP_2)
	v_cndmask_b32_e64 v2, v5, v2, s3
	v_add_lshl_u32 v6, v6, v3, 2
	v_and_b32_e32 v3, 0xff, v7
	ds_bpermute_b32 v4, v6, v2
	ds_bpermute_b32 v5, v6, v3
	;; [unrolled: 1-line block ×3, first 2 shown]
	s_waitcnt lgkmcnt(1)
	v_and_b32_e32 v6, 1, v5
	s_waitcnt lgkmcnt(0)
	v_cmp_lt_i64_e32 vcc_lo, v[3:4], v[1:2]
	s_delay_alu instid0(VALU_DEP_2) | instskip(SKIP_1) | instid1(VALU_DEP_2)
	v_cmp_eq_u32_e64 s2, 1, v6
	v_and_b32_e32 v6, 1, v7
	v_cndmask_b32_e64 v7, v7, 1, s2
	s_and_b32 vcc_lo, s2, vcc_lo
	s_delay_alu instid0(VALU_DEP_2) | instskip(SKIP_1) | instid1(VALU_DEP_2)
	v_cmp_eq_u32_e64 s2, 1, v6
	v_dual_cndmask_b32 v1, v1, v3 :: v_dual_cndmask_b32 v2, v2, v4
	v_cndmask_b32_e64 v5, v5, v7, s2
	s_delay_alu instid0(VALU_DEP_2) | instskip(NEXT) | instid1(VALU_DEP_3)
	v_cndmask_b32_e64 v1, v3, v1, s2
	v_cndmask_b32_e64 v2, v4, v2, s2
	s_delay_alu instid0(VALU_DEP_3)
	v_and_b32_e32 v6, 0xff, v5
.LBB442_146:
	s_or_b32 exec_lo, exec_lo, s23
	s_branch .LBB442_177
.LBB442_147:
                                        ; implicit-def: $vgpr3_vgpr4
                                        ; implicit-def: $vgpr5
	s_cbranch_execnz .LBB442_182
	s_branch .LBB442_200
.LBB442_148:
                                        ; implicit-def: $vgpr3_vgpr4
                                        ; implicit-def: $vgpr5
	s_branch .LBB442_200
.LBB442_149:
                                        ; implicit-def: $vgpr1_vgpr2
                                        ; implicit-def: $vgpr6
	s_cbranch_execz .LBB442_177
; %bb.150:
	s_waitcnt lgkmcnt(0)
	v_mov_b32_e32 v3, 0
	v_dual_mov_b32 v4, 0 :: v_dual_mov_b32 v5, 0
	s_delay_alu instid0(VALU_DEP_2) | instskip(SKIP_2) | instid1(VALU_DEP_3)
	v_mov_b32_e32 v1, v3
	v_mov_b32_e32 v7, 0
	s_sub_i32 s3, s14, s8
	v_mov_b32_e32 v2, v4
	s_mov_b32 s2, exec_lo
	v_cmpx_gt_u32_e64 s3, v0
	s_cbranch_execz .LBB442_152
; %bb.151:
	v_lshlrev_b32_e32 v1, 3, v0
	s_clause 0x1
	global_load_b64 v[6:7], v1, s[4:5]
	global_load_b64 v[8:9], v1, s[6:7]
	v_add_co_u32 v1, s8, s9, v0
	s_delay_alu instid0(VALU_DEP_1)
	v_add_co_ci_u32_e64 v2, null, s22, 0, s8
	s_waitcnt vmcnt(0)
	v_cmp_neq_f64_e32 vcc_lo, v[6:7], v[8:9]
	v_cndmask_b32_e64 v7, 0, 1, vcc_lo
.LBB442_152:
	s_or_b32 exec_lo, exec_lo, s2
	v_or_b32_e32 v6, 0x100, v0
	s_delay_alu instid0(VALU_DEP_1)
	v_cmp_gt_u32_e32 vcc_lo, s3, v6
	s_and_saveexec_b32 s8, vcc_lo
	s_cbranch_execz .LBB442_154
; %bb.153:
	v_lshlrev_b32_e32 v3, 3, v0
	s_clause 0x1
	global_load_b64 v[8:9], v3, s[4:5] offset:2048
	global_load_b64 v[10:11], v3, s[6:7] offset:2048
	v_add_co_u32 v3, s2, s9, v6
	s_delay_alu instid0(VALU_DEP_1) | instskip(SKIP_2) | instid1(VALU_DEP_1)
	v_add_co_ci_u32_e64 v4, null, s22, 0, s2
	s_waitcnt vmcnt(0)
	v_cmp_neq_f64_e64 s2, v[8:9], v[10:11]
	v_cndmask_b32_e64 v5, 0, 1, s2
.LBB442_154:
	s_or_b32 exec_lo, exec_lo, s8
	s_and_saveexec_b32 s4, vcc_lo
; %bb.155:
	s_delay_alu instid0(VALU_DEP_1) | instskip(SKIP_1) | instid1(VALU_DEP_2)
	v_and_b32_e32 v6, 1, v5
	v_cmp_lt_i64_e32 vcc_lo, v[3:4], v[1:2]
	v_cmp_eq_u32_e64 s2, 1, v6
	s_delay_alu instid0(VALU_DEP_1) | instskip(SKIP_4) | instid1(VALU_DEP_3)
	s_and_b32 vcc_lo, s2, vcc_lo
	v_cndmask_b32_e32 v1, v1, v3, vcc_lo
	v_and_b32_e32 v6, 1, v7
	v_cndmask_b32_e64 v7, v7, 1, s2
	v_cndmask_b32_e32 v2, v2, v4, vcc_lo
	v_cmp_eq_u32_e32 vcc_lo, 1, v6
	s_delay_alu instid0(VALU_DEP_2)
	v_dual_cndmask_b32 v7, v5, v7 :: v_dual_cndmask_b32 v2, v4, v2
	v_cndmask_b32_e32 v1, v3, v1, vcc_lo
; %bb.156:
	s_or_b32 exec_lo, exec_lo, s4
	v_mbcnt_lo_u32_b32 v5, -1, 0
	s_delay_alu instid0(VALU_DEP_3)
	v_and_b32_e32 v6, 0xffff, v7
	v_and_b32_e32 v8, 0xe0, v0
	s_min_u32 s3, s3, 0x100
	s_mov_b32 s4, exec_lo
	v_cmp_ne_u32_e32 vcc_lo, 31, v5
	v_add_nc_u32_e32 v10, 1, v5
	v_sub_nc_u32_e64 v8, s3, v8 clamp
	v_add_co_ci_u32_e32 v3, vcc_lo, 0, v5, vcc_lo
	s_delay_alu instid0(VALU_DEP_1)
	v_lshlrev_b32_e32 v4, 2, v3
	ds_bpermute_b32 v9, v4, v6
	ds_bpermute_b32 v3, v4, v1
	ds_bpermute_b32 v4, v4, v2
	v_cmpx_lt_u32_e64 v10, v8
	s_cbranch_execz .LBB442_158
; %bb.157:
	s_waitcnt lgkmcnt(2)
	v_and_b32_e32 v6, 1, v9
	s_waitcnt lgkmcnt(0)
	v_cmp_lt_i64_e32 vcc_lo, v[3:4], v[1:2]
	s_delay_alu instid0(VALU_DEP_2) | instskip(SKIP_1) | instid1(VALU_DEP_2)
	v_cmp_eq_u32_e64 s2, 1, v6
	v_and_b32_e32 v6, 1, v7
	v_cndmask_b32_e64 v7, v7, 1, s2
	s_and_b32 vcc_lo, s2, vcc_lo
	s_delay_alu instid0(VALU_DEP_2) | instskip(SKIP_1) | instid1(VALU_DEP_2)
	v_cmp_eq_u32_e64 s2, 1, v6
	v_dual_cndmask_b32 v1, v1, v3 :: v_dual_cndmask_b32 v2, v2, v4
	v_cndmask_b32_e64 v7, v9, v7, s2
	s_delay_alu instid0(VALU_DEP_2) | instskip(NEXT) | instid1(VALU_DEP_3)
	v_cndmask_b32_e64 v1, v3, v1, s2
	v_cndmask_b32_e64 v2, v4, v2, s2
	s_delay_alu instid0(VALU_DEP_3)
	v_and_b32_e32 v6, 0xff, v7
.LBB442_158:
	s_or_b32 exec_lo, exec_lo, s4
	v_cmp_gt_u32_e32 vcc_lo, 30, v5
	v_add_nc_u32_e32 v10, 2, v5
	s_mov_b32 s4, exec_lo
	s_waitcnt lgkmcnt(1)
	v_cndmask_b32_e64 v3, 0, 1, vcc_lo
	s_delay_alu instid0(VALU_DEP_1) | instskip(SKIP_1) | instid1(VALU_DEP_1)
	v_lshlrev_b32_e32 v3, 1, v3
	s_waitcnt lgkmcnt(0)
	v_add_lshl_u32 v4, v3, v5, 2
	ds_bpermute_b32 v9, v4, v6
	ds_bpermute_b32 v3, v4, v1
	ds_bpermute_b32 v4, v4, v2
	v_cmpx_lt_u32_e64 v10, v8
	s_cbranch_execz .LBB442_160
; %bb.159:
	s_waitcnt lgkmcnt(2)
	v_and_b32_e32 v6, 1, v9
	s_waitcnt lgkmcnt(0)
	v_cmp_lt_i64_e32 vcc_lo, v[3:4], v[1:2]
	s_delay_alu instid0(VALU_DEP_2) | instskip(SKIP_1) | instid1(VALU_DEP_2)
	v_cmp_eq_u32_e64 s2, 1, v6
	v_and_b32_e32 v6, 1, v7
	v_cndmask_b32_e64 v7, v7, 1, s2
	s_and_b32 vcc_lo, s2, vcc_lo
	s_delay_alu instid0(VALU_DEP_2) | instskip(SKIP_1) | instid1(VALU_DEP_2)
	v_cmp_eq_u32_e64 s2, 1, v6
	v_dual_cndmask_b32 v1, v1, v3 :: v_dual_cndmask_b32 v2, v2, v4
	v_cndmask_b32_e64 v7, v9, v7, s2
	s_delay_alu instid0(VALU_DEP_2) | instskip(NEXT) | instid1(VALU_DEP_3)
	v_cndmask_b32_e64 v1, v3, v1, s2
	v_cndmask_b32_e64 v2, v4, v2, s2
	s_delay_alu instid0(VALU_DEP_3)
	v_and_b32_e32 v6, 0xff, v7
.LBB442_160:
	s_or_b32 exec_lo, exec_lo, s4
	v_cmp_gt_u32_e32 vcc_lo, 28, v5
	v_add_nc_u32_e32 v10, 4, v5
	s_mov_b32 s4, exec_lo
	s_waitcnt lgkmcnt(1)
	v_cndmask_b32_e64 v3, 0, 1, vcc_lo
	s_delay_alu instid0(VALU_DEP_1) | instskip(SKIP_1) | instid1(VALU_DEP_1)
	v_lshlrev_b32_e32 v3, 2, v3
	s_waitcnt lgkmcnt(0)
	v_add_lshl_u32 v4, v3, v5, 2
	;; [unrolled: 35-line block ×4, first 2 shown]
	ds_bpermute_b32 v9, v4, v6
	ds_bpermute_b32 v3, v4, v1
	;; [unrolled: 1-line block ×3, first 2 shown]
	v_cmpx_lt_u32_e64 v10, v8
	s_cbranch_execz .LBB442_166
; %bb.165:
	s_waitcnt lgkmcnt(2)
	v_and_b32_e32 v6, 1, v9
	s_waitcnt lgkmcnt(0)
	v_cmp_lt_i64_e32 vcc_lo, v[3:4], v[1:2]
	s_delay_alu instid0(VALU_DEP_2) | instskip(SKIP_1) | instid1(VALU_DEP_2)
	v_cmp_eq_u32_e64 s2, 1, v6
	v_and_b32_e32 v6, 1, v7
	v_cndmask_b32_e64 v7, v7, 1, s2
	s_and_b32 vcc_lo, s2, vcc_lo
	s_delay_alu instid0(VALU_DEP_2) | instskip(SKIP_1) | instid1(VALU_DEP_2)
	v_cmp_eq_u32_e64 s2, 1, v6
	v_dual_cndmask_b32 v1, v1, v3 :: v_dual_cndmask_b32 v2, v2, v4
	v_cndmask_b32_e64 v7, v9, v7, s2
	s_delay_alu instid0(VALU_DEP_2) | instskip(NEXT) | instid1(VALU_DEP_3)
	v_cndmask_b32_e64 v1, v3, v1, s2
	v_cndmask_b32_e64 v2, v4, v2, s2
	s_delay_alu instid0(VALU_DEP_3)
	v_and_b32_e32 v6, 0xff, v7
.LBB442_166:
	s_or_b32 exec_lo, exec_lo, s4
	s_delay_alu instid0(SALU_CYCLE_1)
	s_mov_b32 s2, exec_lo
	v_cmpx_eq_u32_e32 0, v5
	s_cbranch_execz .LBB442_168
; %bb.167:
	s_waitcnt lgkmcnt(1)
	v_lshrrev_b32_e32 v3, 1, v0
	s_delay_alu instid0(VALU_DEP_1)
	v_and_b32_e32 v3, 0x70, v3
	ds_store_b8 v3, v7 offset:512
	ds_store_b64 v3, v[1:2] offset:520
.LBB442_168:
	s_or_b32 exec_lo, exec_lo, s2
	s_delay_alu instid0(SALU_CYCLE_1)
	s_mov_b32 s4, exec_lo
	s_waitcnt lgkmcnt(0)
	s_barrier
	buffer_gl0_inv
	v_cmpx_gt_u32_e32 8, v0
	s_cbranch_execz .LBB442_176
; %bb.169:
	v_lshlrev_b32_e32 v1, 4, v5
	v_and_b32_e32 v8, 7, v5
	s_add_i32 s3, s3, 31
	s_mov_b32 s5, exec_lo
	s_lshr_b32 s3, s3, 5
	ds_load_u8 v7, v1 offset:512
	ds_load_b64 v[1:2], v1 offset:520
	v_cmp_ne_u32_e32 vcc_lo, 7, v8
	v_add_nc_u32_e32 v10, 1, v8
	v_add_co_ci_u32_e32 v3, vcc_lo, 0, v5, vcc_lo
	s_delay_alu instid0(VALU_DEP_1)
	v_lshlrev_b32_e32 v4, 2, v3
	s_waitcnt lgkmcnt(1)
	v_and_b32_e32 v6, 0xff, v7
	s_waitcnt lgkmcnt(0)
	ds_bpermute_b32 v3, v4, v1
	ds_bpermute_b32 v9, v4, v6
	ds_bpermute_b32 v4, v4, v2
	v_cmpx_gt_u32_e64 s3, v10
	s_cbranch_execz .LBB442_171
; %bb.170:
	s_waitcnt lgkmcnt(1)
	v_and_b32_e32 v6, 1, v9
	s_waitcnt lgkmcnt(0)
	v_cmp_lt_i64_e32 vcc_lo, v[3:4], v[1:2]
	s_delay_alu instid0(VALU_DEP_2) | instskip(SKIP_1) | instid1(VALU_DEP_2)
	v_cmp_eq_u32_e64 s2, 1, v6
	v_and_b32_e32 v6, 1, v7
	v_cndmask_b32_e64 v7, v7, 1, s2
	s_and_b32 vcc_lo, s2, vcc_lo
	s_delay_alu instid0(VALU_DEP_2) | instskip(SKIP_1) | instid1(VALU_DEP_2)
	v_cmp_eq_u32_e64 s2, 1, v6
	v_dual_cndmask_b32 v1, v1, v3 :: v_dual_cndmask_b32 v2, v2, v4
	v_cndmask_b32_e64 v7, v9, v7, s2
	s_delay_alu instid0(VALU_DEP_2) | instskip(NEXT) | instid1(VALU_DEP_3)
	v_cndmask_b32_e64 v1, v3, v1, s2
	v_cndmask_b32_e64 v2, v4, v2, s2
	s_delay_alu instid0(VALU_DEP_3)
	v_and_b32_e32 v6, 0xff, v7
.LBB442_171:
	s_or_b32 exec_lo, exec_lo, s5
	v_cmp_gt_u32_e32 vcc_lo, 6, v8
	v_add_nc_u32_e32 v10, 2, v8
	s_mov_b32 s5, exec_lo
	s_waitcnt lgkmcnt(2)
	v_cndmask_b32_e64 v3, 0, 1, vcc_lo
	s_delay_alu instid0(VALU_DEP_1) | instskip(SKIP_1) | instid1(VALU_DEP_1)
	v_lshlrev_b32_e32 v3, 1, v3
	s_waitcnt lgkmcnt(0)
	v_add_lshl_u32 v4, v3, v5, 2
	ds_bpermute_b32 v9, v4, v6
	ds_bpermute_b32 v3, v4, v1
	;; [unrolled: 1-line block ×3, first 2 shown]
	v_cmpx_gt_u32_e64 s3, v10
	s_cbranch_execz .LBB442_173
; %bb.172:
	s_waitcnt lgkmcnt(2)
	v_and_b32_e32 v6, 1, v9
	s_waitcnt lgkmcnt(0)
	v_cmp_lt_i64_e32 vcc_lo, v[3:4], v[1:2]
	s_delay_alu instid0(VALU_DEP_2) | instskip(SKIP_1) | instid1(VALU_DEP_2)
	v_cmp_eq_u32_e64 s2, 1, v6
	v_and_b32_e32 v6, 1, v7
	v_cndmask_b32_e64 v7, v7, 1, s2
	s_and_b32 vcc_lo, s2, vcc_lo
	s_delay_alu instid0(VALU_DEP_2) | instskip(SKIP_1) | instid1(VALU_DEP_2)
	v_cmp_eq_u32_e64 s2, 1, v6
	v_dual_cndmask_b32 v1, v1, v3 :: v_dual_cndmask_b32 v2, v2, v4
	v_cndmask_b32_e64 v7, v9, v7, s2
	s_delay_alu instid0(VALU_DEP_2) | instskip(NEXT) | instid1(VALU_DEP_3)
	v_cndmask_b32_e64 v1, v3, v1, s2
	v_cndmask_b32_e64 v2, v4, v2, s2
	s_delay_alu instid0(VALU_DEP_3)
	v_and_b32_e32 v6, 0xff, v7
.LBB442_173:
	s_or_b32 exec_lo, exec_lo, s5
	v_cmp_gt_u32_e32 vcc_lo, 4, v8
	v_add_nc_u32_e32 v8, 4, v8
	s_waitcnt lgkmcnt(1)
	v_cndmask_b32_e64 v3, 0, 1, vcc_lo
	s_delay_alu instid0(VALU_DEP_2) | instskip(NEXT) | instid1(VALU_DEP_2)
	v_cmp_gt_u32_e32 vcc_lo, s3, v8
	v_lshlrev_b32_e32 v3, 2, v3
	s_waitcnt lgkmcnt(0)
	s_delay_alu instid0(VALU_DEP_1)
	v_add_lshl_u32 v4, v3, v5, 2
	ds_bpermute_b32 v5, v4, v6
	ds_bpermute_b32 v3, v4, v1
	;; [unrolled: 1-line block ×3, first 2 shown]
	s_and_saveexec_b32 s3, vcc_lo
	s_cbranch_execz .LBB442_175
; %bb.174:
	s_waitcnt lgkmcnt(2)
	v_and_b32_e32 v6, 1, v5
	s_waitcnt lgkmcnt(0)
	v_cmp_lt_i64_e32 vcc_lo, v[3:4], v[1:2]
	s_delay_alu instid0(VALU_DEP_2) | instskip(SKIP_1) | instid1(VALU_DEP_2)
	v_cmp_eq_u32_e64 s2, 1, v6
	v_and_b32_e32 v6, 1, v7
	v_cndmask_b32_e64 v7, v7, 1, s2
	s_and_b32 vcc_lo, s2, vcc_lo
	s_delay_alu instid0(VALU_DEP_2) | instskip(SKIP_1) | instid1(VALU_DEP_2)
	v_cmp_eq_u32_e64 s2, 1, v6
	v_dual_cndmask_b32 v1, v1, v3 :: v_dual_cndmask_b32 v2, v2, v4
	v_cndmask_b32_e64 v5, v5, v7, s2
	s_delay_alu instid0(VALU_DEP_2) | instskip(NEXT) | instid1(VALU_DEP_3)
	v_cndmask_b32_e64 v1, v3, v1, s2
	v_cndmask_b32_e64 v2, v4, v2, s2
	s_delay_alu instid0(VALU_DEP_3)
	v_and_b32_e32 v6, 0xff, v5
.LBB442_175:
	s_or_b32 exec_lo, exec_lo, s3
.LBB442_176:
	s_delay_alu instid0(SALU_CYCLE_1)
	s_or_b32 exec_lo, exec_lo, s4
.LBB442_177:
                                        ; implicit-def: $vgpr3_vgpr4
                                        ; implicit-def: $vgpr5
	s_delay_alu instid0(SALU_CYCLE_1)
	s_mov_b32 s2, exec_lo
	v_cmpx_eq_u32_e32 0, v0
	s_xor_b32 s4, exec_lo, s2
	s_cbranch_execz .LBB442_181
; %bb.178:
	s_waitcnt lgkmcnt(0)
	v_dual_mov_b32 v3, s20 :: v_dual_mov_b32 v4, s21
	v_mov_b32_e32 v5, s28
	s_cmp_eq_u64 s[14:15], 0
	s_cbranch_scc1 .LBB442_180
; %bb.179:
	v_and_b32_e32 v3, 1, v6
	v_cmp_gt_i64_e32 vcc_lo, s[20:21], v[1:2]
	s_bitcmp1_b32 s28, 0
	s_cselect_b32 s3, -1, 0
	s_delay_alu instid0(VALU_DEP_2) | instskip(NEXT) | instid1(VALU_DEP_1)
	v_cmp_eq_u32_e64 s2, 1, v3
	s_and_b32 vcc_lo, s2, vcc_lo
	v_cndmask_b32_e64 v3, s28, 1, s2
	v_cndmask_b32_e32 v7, s20, v1, vcc_lo
	v_cndmask_b32_e32 v4, s21, v2, vcc_lo
	s_delay_alu instid0(VALU_DEP_3) | instskip(NEXT) | instid1(VALU_DEP_3)
	v_cndmask_b32_e64 v5, v6, v3, s3
	v_cndmask_b32_e64 v3, v1, v7, s3
	s_delay_alu instid0(VALU_DEP_3)
	v_cndmask_b32_e64 v4, v2, v4, s3
.LBB442_180:
	s_or_b32 s24, s24, exec_lo
.LBB442_181:
	s_or_b32 exec_lo, exec_lo, s4
	s_branch .LBB442_200
.LBB442_182:
	s_cmp_eq_u32 s29, 1
	s_cbranch_scc0 .LBB442_199
; %bb.183:
	s_mov_b32 s5, 0
	s_lshr_b64 s[2:3], s[14:15], 8
	s_mov_b32 s11, s5
	s_lshl_b32 s4, s10, 8
	s_cmp_lg_u64 s[2:3], s[10:11]
	s_cbranch_scc0 .LBB442_203
; %bb.184:
	s_lshl_b64 s[2:3], s[4:5], 3
	s_waitcnt lgkmcnt(1)
	v_lshlrev_b32_e32 v3, 3, v0
	s_add_u32 s6, s16, s2
	s_addc_u32 s7, s17, s3
	s_add_u32 s2, s18, s2
	s_addc_u32 s3, s19, s3
	global_load_b64 v[1:2], v3, s[6:7]
	s_waitcnt lgkmcnt(0)
	global_load_b64 v[3:4], v3, s[2:3]
	s_add_u32 s2, s12, s4
	s_addc_u32 s3, s13, 0
	s_waitcnt vmcnt(0)
	v_cmp_neq_f64_e32 vcc_lo, v[1:2], v[3:4]
	v_cndmask_b32_e64 v1, 0, 1, vcc_lo
	v_cndmask_b32_e64 v6, 0, 1, vcc_lo
	s_delay_alu instid0(VALU_DEP_2) | instskip(SKIP_1) | instid1(VALU_DEP_1)
	v_mov_b32_dpp v5, v1 quad_perm:[1,0,3,2] row_mask:0xf bank_mask:0xf
	v_add_co_u32 v1, s2, s2, v0
	v_add_co_ci_u32_e64 v2, null, s3, 0, s2
	s_delay_alu instid0(VALU_DEP_3) | instskip(NEXT) | instid1(VALU_DEP_3)
	v_and_b32_e32 v7, 1, v5
	v_mov_b32_dpp v3, v1 quad_perm:[1,0,3,2] row_mask:0xf bank_mask:0xf
	s_mov_b32 s3, exec_lo
	s_delay_alu instid0(VALU_DEP_3) | instskip(NEXT) | instid1(VALU_DEP_3)
	v_mov_b32_dpp v4, v2 quad_perm:[1,0,3,2] row_mask:0xf bank_mask:0xf
	v_cmpx_eq_u32_e32 1, v7
; %bb.185:
	s_delay_alu instid0(VALU_DEP_2) | instskip(SKIP_1) | instid1(VALU_DEP_2)
	v_cmp_lt_i64_e64 s2, v[1:2], v[3:4]
	v_cndmask_b32_e64 v6, v5, 1, vcc_lo
	s_and_b32 vcc_lo, vcc_lo, s2
	v_dual_cndmask_b32 v2, v4, v2 :: v_dual_cndmask_b32 v1, v3, v1
; %bb.186:
	s_or_b32 exec_lo, exec_lo, s3
	s_delay_alu instid0(VALU_DEP_2) | instskip(SKIP_1) | instid1(VALU_DEP_3)
	v_and_b32_e32 v5, 0xff, v6
	v_and_b32_e32 v6, 1, v6
	v_mov_b32_dpp v3, v1 quad_perm:[2,3,0,1] row_mask:0xf bank_mask:0xf
	v_mov_b32_dpp v4, v2 quad_perm:[2,3,0,1] row_mask:0xf bank_mask:0xf
	s_mov_b32 s6, exec_lo
	v_mov_b32_dpp v7, v5 quad_perm:[2,3,0,1] row_mask:0xf bank_mask:0xf
	v_cmp_eq_u32_e64 s3, 1, v6
	s_delay_alu instid0(VALU_DEP_2) | instskip(NEXT) | instid1(VALU_DEP_1)
	v_and_b32_e32 v8, 1, v7
	v_cmpx_eq_u32_e32 1, v8
; %bb.187:
	s_delay_alu instid0(VALU_DEP_3) | instskip(SKIP_1) | instid1(VALU_DEP_2)
	v_cndmask_b32_e64 v5, v7, 1, s3
	v_cmp_lt_i64_e32 vcc_lo, v[1:2], v[3:4]
	v_and_b32_e32 v6, 1, v5
	v_and_b32_e32 v5, 0xff, v5
	s_and_b32 vcc_lo, s3, vcc_lo
	s_and_not1_b32 s3, s3, exec_lo
	v_dual_cndmask_b32 v2, v4, v2 :: v_dual_cndmask_b32 v1, v3, v1
	v_cmp_eq_u32_e64 s2, 1, v6
	s_delay_alu instid0(VALU_DEP_1) | instskip(NEXT) | instid1(SALU_CYCLE_1)
	s_and_b32 s2, s2, exec_lo
	s_or_b32 s3, s3, s2
; %bb.188:
	s_or_b32 exec_lo, exec_lo, s6
	v_mov_b32_dpp v6, v5 row_ror:4 row_mask:0xf bank_mask:0xf
	v_mov_b32_dpp v3, v1 row_ror:4 row_mask:0xf bank_mask:0xf
	;; [unrolled: 1-line block ×3, first 2 shown]
	s_mov_b32 s6, exec_lo
	s_delay_alu instid0(VALU_DEP_3) | instskip(NEXT) | instid1(VALU_DEP_1)
	v_and_b32_e32 v7, 1, v6
	v_cmpx_eq_u32_e32 1, v7
; %bb.189:
	v_cndmask_b32_e64 v5, v6, 1, s3
	v_cmp_lt_i64_e32 vcc_lo, v[1:2], v[3:4]
	s_delay_alu instid0(VALU_DEP_2)
	v_and_b32_e32 v6, 1, v5
	v_and_b32_e32 v5, 0xff, v5
	s_and_b32 vcc_lo, s3, vcc_lo
	s_and_not1_b32 s3, s3, exec_lo
	v_dual_cndmask_b32 v2, v4, v2 :: v_dual_cndmask_b32 v1, v3, v1
	v_cmp_eq_u32_e64 s2, 1, v6
	s_delay_alu instid0(VALU_DEP_1) | instskip(NEXT) | instid1(SALU_CYCLE_1)
	s_and_b32 s2, s2, exec_lo
	s_or_b32 s3, s3, s2
; %bb.190:
	s_or_b32 exec_lo, exec_lo, s6
	v_mov_b32_dpp v6, v5 row_ror:8 row_mask:0xf bank_mask:0xf
	v_mov_b32_dpp v3, v1 row_ror:8 row_mask:0xf bank_mask:0xf
	;; [unrolled: 1-line block ×3, first 2 shown]
	s_mov_b32 s6, exec_lo
	s_delay_alu instid0(VALU_DEP_3) | instskip(NEXT) | instid1(VALU_DEP_1)
	v_and_b32_e32 v7, 1, v6
	v_cmpx_eq_u32_e32 1, v7
; %bb.191:
	v_cndmask_b32_e64 v5, v6, 1, s3
	v_cmp_lt_i64_e32 vcc_lo, v[1:2], v[3:4]
	s_delay_alu instid0(VALU_DEP_2)
	v_and_b32_e32 v6, 1, v5
	v_and_b32_e32 v5, 0xff, v5
	s_and_b32 vcc_lo, s3, vcc_lo
	s_and_not1_b32 s3, s3, exec_lo
	v_dual_cndmask_b32 v2, v4, v2 :: v_dual_cndmask_b32 v1, v3, v1
	v_cmp_eq_u32_e64 s2, 1, v6
	s_delay_alu instid0(VALU_DEP_1) | instskip(NEXT) | instid1(SALU_CYCLE_1)
	s_and_b32 s2, s2, exec_lo
	s_or_b32 s3, s3, s2
; %bb.192:
	s_or_b32 exec_lo, exec_lo, s6
	ds_swizzle_b32 v6, v5 offset:swizzle(BROADCAST,32,15)
	ds_swizzle_b32 v3, v1 offset:swizzle(BROADCAST,32,15)
	;; [unrolled: 1-line block ×3, first 2 shown]
	s_mov_b32 s2, exec_lo
	s_waitcnt lgkmcnt(2)
	v_and_b32_e32 v7, 1, v6
	s_delay_alu instid0(VALU_DEP_1)
	v_cmpx_eq_u32_e32 1, v7
	s_cbranch_execz .LBB442_194
; %bb.193:
	s_waitcnt lgkmcnt(0)
	v_cmp_lt_i64_e32 vcc_lo, v[1:2], v[3:4]
	v_and_b32_e32 v5, 0xff, v6
	s_delay_alu instid0(VALU_DEP_1)
	v_cndmask_b32_e64 v5, v5, 1, s3
	s_and_b32 vcc_lo, s3, vcc_lo
	v_dual_cndmask_b32 v1, v3, v1 :: v_dual_cndmask_b32 v2, v4, v2
.LBB442_194:
	s_or_b32 exec_lo, exec_lo, s2
	s_waitcnt lgkmcnt(1)
	v_mov_b32_e32 v3, 0
	s_mov_b32 s2, exec_lo
	ds_bpermute_b32 v6, v3, v5 offset:124
	ds_bpermute_b32 v1, v3, v1 offset:124
	;; [unrolled: 1-line block ×3, first 2 shown]
	v_mbcnt_lo_u32_b32 v3, -1, 0
	s_delay_alu instid0(VALU_DEP_1)
	v_cmpx_eq_u32_e32 0, v3
	s_cbranch_execz .LBB442_196
; %bb.195:
	s_waitcnt lgkmcnt(3)
	v_lshrrev_b32_e32 v4, 1, v0
	s_delay_alu instid0(VALU_DEP_1)
	v_and_b32_e32 v4, 0x70, v4
	s_waitcnt lgkmcnt(2)
	ds_store_b8 v4, v6
	s_waitcnt lgkmcnt(1)
	ds_store_b64 v4, v[1:2] offset:8
.LBB442_196:
	s_or_b32 exec_lo, exec_lo, s2
	s_delay_alu instid0(SALU_CYCLE_1)
	s_mov_b32 s6, exec_lo
	s_waitcnt lgkmcnt(0)
	s_barrier
	buffer_gl0_inv
	v_cmpx_gt_u32_e32 32, v0
	s_cbranch_execz .LBB442_198
; %bb.197:
	v_and_b32_e32 v6, 7, v3
	s_delay_alu instid0(VALU_DEP_1)
	v_lshlrev_b32_e32 v1, 4, v6
	v_cmp_ne_u32_e32 vcc_lo, 7, v6
	ds_load_u8 v7, v1
	ds_load_b64 v[1:2], v1 offset:8
	v_add_co_ci_u32_e32 v4, vcc_lo, 0, v3, vcc_lo
	v_cmp_gt_u32_e32 vcc_lo, 6, v6
	s_delay_alu instid0(VALU_DEP_2)
	v_lshlrev_b32_e32 v5, 2, v4
	v_cndmask_b32_e64 v10, 0, 1, vcc_lo
	s_waitcnt lgkmcnt(1)
	v_and_b32_e32 v4, 0xff, v7
	v_and_b32_e32 v11, 1, v7
	ds_bpermute_b32 v8, v5, v4
	s_waitcnt lgkmcnt(1)
	ds_bpermute_b32 v4, v5, v1
	ds_bpermute_b32 v5, v5, v2
	v_cmp_eq_u32_e64 s3, 1, v11
	s_waitcnt lgkmcnt(2)
	v_and_b32_e32 v9, 1, v8
	s_waitcnt lgkmcnt(0)
	v_cmp_lt_i64_e64 s2, v[4:5], v[1:2]
	s_delay_alu instid0(VALU_DEP_2) | instskip(SKIP_2) | instid1(VALU_DEP_4)
	v_cmp_eq_u32_e32 vcc_lo, 1, v9
	v_lshlrev_b32_e32 v9, 1, v10
	v_cndmask_b32_e64 v7, v7, 1, vcc_lo
	s_and_b32 vcc_lo, vcc_lo, s2
	v_dual_cndmask_b32 v1, v1, v4 :: v_dual_cndmask_b32 v2, v2, v5
	s_delay_alu instid0(VALU_DEP_2) | instskip(SKIP_2) | instid1(VALU_DEP_4)
	v_cndmask_b32_e64 v7, v8, v7, s3
	v_add_lshl_u32 v8, v9, v3, 2
	v_cmp_gt_u32_e32 vcc_lo, 4, v6
	v_cndmask_b32_e64 v1, v4, v1, s3
	v_cndmask_b32_e64 v2, v5, v2, s3
	v_and_b32_e32 v9, 0xff, v7
	v_and_b32_e32 v10, 1, v7
	v_cndmask_b32_e64 v6, 0, 1, vcc_lo
	ds_bpermute_b32 v4, v8, v1
	ds_bpermute_b32 v5, v8, v2
	ds_bpermute_b32 v9, v8, v9
	v_cmp_eq_u32_e64 s3, 1, v10
	s_waitcnt lgkmcnt(1)
	v_cmp_lt_i64_e64 s2, v[4:5], v[1:2]
	s_waitcnt lgkmcnt(0)
	v_and_b32_e32 v8, 1, v9
	s_delay_alu instid0(VALU_DEP_1) | instskip(SKIP_1) | instid1(VALU_DEP_4)
	v_cmp_eq_u32_e32 vcc_lo, 1, v8
	v_cndmask_b32_e64 v7, v7, 1, vcc_lo
	s_and_b32 vcc_lo, vcc_lo, s2
	v_dual_cndmask_b32 v1, v1, v4 :: v_dual_cndmask_b32 v2, v2, v5
	s_delay_alu instid0(VALU_DEP_2) | instskip(NEXT) | instid1(VALU_DEP_2)
	v_cndmask_b32_e64 v7, v9, v7, s3
	v_cndmask_b32_e64 v1, v4, v1, s3
	v_lshlrev_b32_e32 v6, 2, v6
	s_delay_alu instid0(VALU_DEP_4) | instskip(NEXT) | instid1(VALU_DEP_2)
	v_cndmask_b32_e64 v2, v5, v2, s3
	v_add_lshl_u32 v6, v6, v3, 2
	v_and_b32_e32 v3, 0xff, v7
	ds_bpermute_b32 v4, v6, v2
	ds_bpermute_b32 v5, v6, v3
	;; [unrolled: 1-line block ×3, first 2 shown]
	s_waitcnt lgkmcnt(1)
	v_and_b32_e32 v6, 1, v5
	s_waitcnt lgkmcnt(0)
	v_cmp_lt_i64_e32 vcc_lo, v[3:4], v[1:2]
	s_delay_alu instid0(VALU_DEP_2) | instskip(SKIP_1) | instid1(VALU_DEP_2)
	v_cmp_eq_u32_e64 s2, 1, v6
	v_and_b32_e32 v6, 1, v7
	v_cndmask_b32_e64 v7, v7, 1, s2
	s_and_b32 vcc_lo, s2, vcc_lo
	s_delay_alu instid0(VALU_DEP_2) | instskip(SKIP_1) | instid1(VALU_DEP_2)
	v_cmp_eq_u32_e64 s2, 1, v6
	v_dual_cndmask_b32 v1, v1, v3 :: v_dual_cndmask_b32 v2, v2, v4
	v_cndmask_b32_e64 v5, v5, v7, s2
	s_delay_alu instid0(VALU_DEP_2) | instskip(NEXT) | instid1(VALU_DEP_3)
	v_cndmask_b32_e64 v1, v3, v1, s2
	v_cndmask_b32_e64 v2, v4, v2, s2
	s_delay_alu instid0(VALU_DEP_3)
	v_and_b32_e32 v6, 0xff, v5
.LBB442_198:
	s_or_b32 exec_lo, exec_lo, s6
	s_branch .LBB442_227
.LBB442_199:
                                        ; implicit-def: $vgpr3_vgpr4
                                        ; implicit-def: $vgpr5
                                        ; implicit-def: $sgpr10_sgpr11
.LBB442_200:
	s_and_saveexec_b32 s2, s24
	s_cbranch_execz .LBB442_202
.LBB442_201:
	s_load_b64 s[0:1], s[0:1], 0x38
	s_lshl_b64 s[2:3], s[10:11], 4
	v_mov_b32_e32 v0, 0
	s_waitcnt lgkmcnt(0)
	s_add_u32 s0, s0, s2
	s_addc_u32 s1, s1, s3
	s_clause 0x1
	global_store_b8 v0, v5, s[0:1]
	global_store_b64 v0, v[3:4], s[0:1] offset:8
.LBB442_202:
	s_nop 0
	s_sendmsg sendmsg(MSG_DEALLOC_VGPRS)
	s_endpgm
.LBB442_203:
                                        ; implicit-def: $vgpr1_vgpr2
                                        ; implicit-def: $vgpr6
	s_cbranch_execz .LBB442_227
; %bb.204:
	v_mov_b32_e32 v1, 0
	v_dual_mov_b32 v2, 0 :: v_dual_mov_b32 v7, 0
	s_sub_i32 s2, s14, s4
	s_mov_b32 s3, exec_lo
	v_cmpx_gt_u32_e64 s2, v0
	s_cbranch_execz .LBB442_206
; %bb.205:
	s_lshl_b64 s[6:7], s[4:5], 3
	v_lshlrev_b32_e32 v1, 3, v0
	s_add_u32 s8, s18, s6
	s_addc_u32 s9, s19, s7
	s_add_u32 s6, s16, s6
	s_addc_u32 s7, s17, s7
	s_add_u32 s4, s12, s4
	s_waitcnt lgkmcnt(0)
	s_clause 0x1
	global_load_b64 v[3:4], v1, s[6:7]
	global_load_b64 v[5:6], v1, s[8:9]
	s_addc_u32 s5, s13, 0
	v_add_co_u32 v1, s4, s4, v0
	s_delay_alu instid0(VALU_DEP_1)
	v_add_co_ci_u32_e64 v2, null, s5, 0, s4
	s_waitcnt vmcnt(0)
	v_cmp_neq_f64_e32 vcc_lo, v[3:4], v[5:6]
	v_cndmask_b32_e64 v7, 0, 1, vcc_lo
.LBB442_206:
	s_or_b32 exec_lo, exec_lo, s3
	s_waitcnt lgkmcnt(2)
	v_mbcnt_lo_u32_b32 v5, -1, 0
	s_delay_alu instid0(VALU_DEP_2)
	v_and_b32_e32 v6, 0xffff, v7
	v_and_b32_e32 v8, 0xe0, v0
	s_min_u32 s3, s2, 0x100
	s_mov_b32 s4, exec_lo
	v_cmp_ne_u32_e32 vcc_lo, 31, v5
	v_add_nc_u32_e32 v10, 1, v5
	v_sub_nc_u32_e64 v8, s3, v8 clamp
	s_waitcnt lgkmcnt(1)
	v_add_co_ci_u32_e32 v3, vcc_lo, 0, v5, vcc_lo
	s_waitcnt lgkmcnt(0)
	s_delay_alu instid0(VALU_DEP_1)
	v_lshlrev_b32_e32 v4, 2, v3
	ds_bpermute_b32 v9, v4, v6
	ds_bpermute_b32 v3, v4, v1
	ds_bpermute_b32 v4, v4, v2
	v_cmpx_lt_u32_e64 v10, v8
	s_cbranch_execz .LBB442_208
; %bb.207:
	s_waitcnt lgkmcnt(2)
	v_and_b32_e32 v6, 1, v9
	s_waitcnt lgkmcnt(0)
	v_cmp_lt_i64_e32 vcc_lo, v[3:4], v[1:2]
	s_delay_alu instid0(VALU_DEP_2) | instskip(SKIP_1) | instid1(VALU_DEP_2)
	v_cmp_eq_u32_e64 s2, 1, v6
	v_and_b32_e32 v6, 1, v7
	v_cndmask_b32_e64 v7, v7, 1, s2
	s_and_b32 vcc_lo, s2, vcc_lo
	s_delay_alu instid0(VALU_DEP_2) | instskip(SKIP_1) | instid1(VALU_DEP_2)
	v_cmp_eq_u32_e64 s2, 1, v6
	v_dual_cndmask_b32 v1, v1, v3 :: v_dual_cndmask_b32 v2, v2, v4
	v_cndmask_b32_e64 v7, v9, v7, s2
	s_delay_alu instid0(VALU_DEP_2) | instskip(NEXT) | instid1(VALU_DEP_3)
	v_cndmask_b32_e64 v1, v3, v1, s2
	v_cndmask_b32_e64 v2, v4, v2, s2
	s_delay_alu instid0(VALU_DEP_3)
	v_and_b32_e32 v6, 0xff, v7
.LBB442_208:
	s_or_b32 exec_lo, exec_lo, s4
	v_cmp_gt_u32_e32 vcc_lo, 30, v5
	v_add_nc_u32_e32 v10, 2, v5
	s_mov_b32 s4, exec_lo
	s_waitcnt lgkmcnt(1)
	v_cndmask_b32_e64 v3, 0, 1, vcc_lo
	s_delay_alu instid0(VALU_DEP_1) | instskip(SKIP_1) | instid1(VALU_DEP_1)
	v_lshlrev_b32_e32 v3, 1, v3
	s_waitcnt lgkmcnt(0)
	v_add_lshl_u32 v4, v3, v5, 2
	ds_bpermute_b32 v9, v4, v6
	ds_bpermute_b32 v3, v4, v1
	ds_bpermute_b32 v4, v4, v2
	v_cmpx_lt_u32_e64 v10, v8
	s_cbranch_execz .LBB442_210
; %bb.209:
	s_waitcnt lgkmcnt(2)
	v_and_b32_e32 v6, 1, v9
	s_waitcnt lgkmcnt(0)
	v_cmp_lt_i64_e32 vcc_lo, v[3:4], v[1:2]
	s_delay_alu instid0(VALU_DEP_2) | instskip(SKIP_1) | instid1(VALU_DEP_2)
	v_cmp_eq_u32_e64 s2, 1, v6
	v_and_b32_e32 v6, 1, v7
	v_cndmask_b32_e64 v7, v7, 1, s2
	s_and_b32 vcc_lo, s2, vcc_lo
	s_delay_alu instid0(VALU_DEP_2) | instskip(SKIP_1) | instid1(VALU_DEP_2)
	v_cmp_eq_u32_e64 s2, 1, v6
	v_dual_cndmask_b32 v1, v1, v3 :: v_dual_cndmask_b32 v2, v2, v4
	v_cndmask_b32_e64 v7, v9, v7, s2
	s_delay_alu instid0(VALU_DEP_2) | instskip(NEXT) | instid1(VALU_DEP_3)
	v_cndmask_b32_e64 v1, v3, v1, s2
	v_cndmask_b32_e64 v2, v4, v2, s2
	s_delay_alu instid0(VALU_DEP_3)
	v_and_b32_e32 v6, 0xff, v7
.LBB442_210:
	s_or_b32 exec_lo, exec_lo, s4
	v_cmp_gt_u32_e32 vcc_lo, 28, v5
	v_add_nc_u32_e32 v10, 4, v5
	s_mov_b32 s4, exec_lo
	s_waitcnt lgkmcnt(1)
	v_cndmask_b32_e64 v3, 0, 1, vcc_lo
	s_delay_alu instid0(VALU_DEP_1) | instskip(SKIP_1) | instid1(VALU_DEP_1)
	v_lshlrev_b32_e32 v3, 2, v3
	s_waitcnt lgkmcnt(0)
	v_add_lshl_u32 v4, v3, v5, 2
	;; [unrolled: 35-line block ×4, first 2 shown]
	ds_bpermute_b32 v9, v4, v6
	ds_bpermute_b32 v3, v4, v1
	;; [unrolled: 1-line block ×3, first 2 shown]
	v_cmpx_lt_u32_e64 v10, v8
	s_cbranch_execz .LBB442_216
; %bb.215:
	s_waitcnt lgkmcnt(2)
	v_and_b32_e32 v6, 1, v9
	s_waitcnt lgkmcnt(0)
	v_cmp_lt_i64_e32 vcc_lo, v[3:4], v[1:2]
	s_delay_alu instid0(VALU_DEP_2) | instskip(SKIP_1) | instid1(VALU_DEP_2)
	v_cmp_eq_u32_e64 s2, 1, v6
	v_and_b32_e32 v6, 1, v7
	v_cndmask_b32_e64 v7, v7, 1, s2
	s_and_b32 vcc_lo, s2, vcc_lo
	s_delay_alu instid0(VALU_DEP_2) | instskip(SKIP_1) | instid1(VALU_DEP_2)
	v_cmp_eq_u32_e64 s2, 1, v6
	v_dual_cndmask_b32 v1, v1, v3 :: v_dual_cndmask_b32 v2, v2, v4
	v_cndmask_b32_e64 v7, v9, v7, s2
	s_delay_alu instid0(VALU_DEP_2) | instskip(NEXT) | instid1(VALU_DEP_3)
	v_cndmask_b32_e64 v1, v3, v1, s2
	v_cndmask_b32_e64 v2, v4, v2, s2
	s_delay_alu instid0(VALU_DEP_3)
	v_and_b32_e32 v6, 0xff, v7
.LBB442_216:
	s_or_b32 exec_lo, exec_lo, s4
	s_delay_alu instid0(SALU_CYCLE_1)
	s_mov_b32 s2, exec_lo
	v_cmpx_eq_u32_e32 0, v5
	s_cbranch_execz .LBB442_218
; %bb.217:
	s_waitcnt lgkmcnt(1)
	v_lshrrev_b32_e32 v3, 1, v0
	s_delay_alu instid0(VALU_DEP_1)
	v_and_b32_e32 v3, 0x70, v3
	ds_store_b8 v3, v7 offset:512
	ds_store_b64 v3, v[1:2] offset:520
.LBB442_218:
	s_or_b32 exec_lo, exec_lo, s2
	s_delay_alu instid0(SALU_CYCLE_1)
	s_mov_b32 s4, exec_lo
	s_waitcnt lgkmcnt(0)
	s_barrier
	buffer_gl0_inv
	v_cmpx_gt_u32_e32 8, v0
	s_cbranch_execz .LBB442_226
; %bb.219:
	v_lshlrev_b32_e32 v1, 4, v5
	v_and_b32_e32 v8, 7, v5
	s_add_i32 s3, s3, 31
	s_mov_b32 s5, exec_lo
	s_lshr_b32 s3, s3, 5
	ds_load_u8 v7, v1 offset:512
	ds_load_b64 v[1:2], v1 offset:520
	v_cmp_ne_u32_e32 vcc_lo, 7, v8
	v_add_nc_u32_e32 v10, 1, v8
	v_add_co_ci_u32_e32 v3, vcc_lo, 0, v5, vcc_lo
	s_delay_alu instid0(VALU_DEP_1)
	v_lshlrev_b32_e32 v4, 2, v3
	s_waitcnt lgkmcnt(1)
	v_and_b32_e32 v6, 0xff, v7
	s_waitcnt lgkmcnt(0)
	ds_bpermute_b32 v3, v4, v1
	ds_bpermute_b32 v9, v4, v6
	;; [unrolled: 1-line block ×3, first 2 shown]
	v_cmpx_gt_u32_e64 s3, v10
	s_cbranch_execz .LBB442_221
; %bb.220:
	s_waitcnt lgkmcnt(1)
	v_and_b32_e32 v6, 1, v9
	s_waitcnt lgkmcnt(0)
	v_cmp_lt_i64_e32 vcc_lo, v[3:4], v[1:2]
	s_delay_alu instid0(VALU_DEP_2) | instskip(SKIP_1) | instid1(VALU_DEP_2)
	v_cmp_eq_u32_e64 s2, 1, v6
	v_and_b32_e32 v6, 1, v7
	v_cndmask_b32_e64 v7, v7, 1, s2
	s_and_b32 vcc_lo, s2, vcc_lo
	s_delay_alu instid0(VALU_DEP_2) | instskip(SKIP_1) | instid1(VALU_DEP_2)
	v_cmp_eq_u32_e64 s2, 1, v6
	v_dual_cndmask_b32 v1, v1, v3 :: v_dual_cndmask_b32 v2, v2, v4
	v_cndmask_b32_e64 v7, v9, v7, s2
	s_delay_alu instid0(VALU_DEP_2) | instskip(NEXT) | instid1(VALU_DEP_3)
	v_cndmask_b32_e64 v1, v3, v1, s2
	v_cndmask_b32_e64 v2, v4, v2, s2
	s_delay_alu instid0(VALU_DEP_3)
	v_and_b32_e32 v6, 0xff, v7
.LBB442_221:
	s_or_b32 exec_lo, exec_lo, s5
	v_cmp_gt_u32_e32 vcc_lo, 6, v8
	v_add_nc_u32_e32 v10, 2, v8
	s_mov_b32 s5, exec_lo
	s_waitcnt lgkmcnt(2)
	v_cndmask_b32_e64 v3, 0, 1, vcc_lo
	s_delay_alu instid0(VALU_DEP_1) | instskip(SKIP_1) | instid1(VALU_DEP_1)
	v_lshlrev_b32_e32 v3, 1, v3
	s_waitcnt lgkmcnt(0)
	v_add_lshl_u32 v4, v3, v5, 2
	ds_bpermute_b32 v9, v4, v6
	ds_bpermute_b32 v3, v4, v1
	;; [unrolled: 1-line block ×3, first 2 shown]
	v_cmpx_gt_u32_e64 s3, v10
	s_cbranch_execz .LBB442_223
; %bb.222:
	s_waitcnt lgkmcnt(2)
	v_and_b32_e32 v6, 1, v9
	s_waitcnt lgkmcnt(0)
	v_cmp_lt_i64_e32 vcc_lo, v[3:4], v[1:2]
	s_delay_alu instid0(VALU_DEP_2) | instskip(SKIP_1) | instid1(VALU_DEP_2)
	v_cmp_eq_u32_e64 s2, 1, v6
	v_and_b32_e32 v6, 1, v7
	v_cndmask_b32_e64 v7, v7, 1, s2
	s_and_b32 vcc_lo, s2, vcc_lo
	s_delay_alu instid0(VALU_DEP_2) | instskip(SKIP_1) | instid1(VALU_DEP_2)
	v_cmp_eq_u32_e64 s2, 1, v6
	v_dual_cndmask_b32 v1, v1, v3 :: v_dual_cndmask_b32 v2, v2, v4
	v_cndmask_b32_e64 v7, v9, v7, s2
	s_delay_alu instid0(VALU_DEP_2) | instskip(NEXT) | instid1(VALU_DEP_3)
	v_cndmask_b32_e64 v1, v3, v1, s2
	v_cndmask_b32_e64 v2, v4, v2, s2
	s_delay_alu instid0(VALU_DEP_3)
	v_and_b32_e32 v6, 0xff, v7
.LBB442_223:
	s_or_b32 exec_lo, exec_lo, s5
	v_cmp_gt_u32_e32 vcc_lo, 4, v8
	v_add_nc_u32_e32 v8, 4, v8
	s_waitcnt lgkmcnt(1)
	v_cndmask_b32_e64 v3, 0, 1, vcc_lo
	s_delay_alu instid0(VALU_DEP_2) | instskip(NEXT) | instid1(VALU_DEP_2)
	v_cmp_gt_u32_e32 vcc_lo, s3, v8
	v_lshlrev_b32_e32 v3, 2, v3
	s_waitcnt lgkmcnt(0)
	s_delay_alu instid0(VALU_DEP_1)
	v_add_lshl_u32 v4, v3, v5, 2
	ds_bpermute_b32 v5, v4, v6
	ds_bpermute_b32 v3, v4, v1
	;; [unrolled: 1-line block ×3, first 2 shown]
	s_and_saveexec_b32 s3, vcc_lo
	s_cbranch_execz .LBB442_225
; %bb.224:
	s_waitcnt lgkmcnt(2)
	v_and_b32_e32 v6, 1, v5
	s_waitcnt lgkmcnt(0)
	v_cmp_lt_i64_e32 vcc_lo, v[3:4], v[1:2]
	s_delay_alu instid0(VALU_DEP_2) | instskip(SKIP_1) | instid1(VALU_DEP_2)
	v_cmp_eq_u32_e64 s2, 1, v6
	v_and_b32_e32 v6, 1, v7
	v_cndmask_b32_e64 v7, v7, 1, s2
	s_and_b32 vcc_lo, s2, vcc_lo
	s_delay_alu instid0(VALU_DEP_2) | instskip(SKIP_1) | instid1(VALU_DEP_2)
	v_cmp_eq_u32_e64 s2, 1, v6
	v_dual_cndmask_b32 v1, v1, v3 :: v_dual_cndmask_b32 v2, v2, v4
	v_cndmask_b32_e64 v5, v5, v7, s2
	s_delay_alu instid0(VALU_DEP_2) | instskip(NEXT) | instid1(VALU_DEP_3)
	v_cndmask_b32_e64 v1, v3, v1, s2
	v_cndmask_b32_e64 v2, v4, v2, s2
	s_delay_alu instid0(VALU_DEP_3)
	v_and_b32_e32 v6, 0xff, v5
.LBB442_225:
	s_or_b32 exec_lo, exec_lo, s3
.LBB442_226:
	s_delay_alu instid0(SALU_CYCLE_1)
	s_or_b32 exec_lo, exec_lo, s4
.LBB442_227:
	s_delay_alu instid0(SALU_CYCLE_1)
	s_mov_b32 s4, exec_lo
                                        ; implicit-def: $vgpr3_vgpr4
                                        ; implicit-def: $vgpr5
	v_cmpx_eq_u32_e32 0, v0
	s_cbranch_execz .LBB442_231
; %bb.228:
	s_waitcnt lgkmcnt(0)
	v_dual_mov_b32 v3, s20 :: v_dual_mov_b32 v4, s21
	v_mov_b32_e32 v5, s28
	s_cmp_eq_u64 s[14:15], 0
	s_cbranch_scc1 .LBB442_230
; %bb.229:
	v_and_b32_e32 v0, 1, v6
	v_cmp_gt_i64_e32 vcc_lo, s[20:21], v[1:2]
	s_bitcmp1_b32 s28, 0
	s_cselect_b32 s3, -1, 0
	s_delay_alu instid0(VALU_DEP_2) | instskip(NEXT) | instid1(VALU_DEP_1)
	v_cmp_eq_u32_e64 s2, 1, v0
	s_and_b32 vcc_lo, s2, vcc_lo
	v_cndmask_b32_e64 v0, s28, 1, s2
	v_cndmask_b32_e32 v3, s20, v1, vcc_lo
	v_cndmask_b32_e32 v4, s21, v2, vcc_lo
	s_delay_alu instid0(VALU_DEP_3) | instskip(NEXT) | instid1(VALU_DEP_3)
	v_cndmask_b32_e64 v5, v6, v0, s3
	v_cndmask_b32_e64 v3, v1, v3, s3
	s_delay_alu instid0(VALU_DEP_3)
	v_cndmask_b32_e64 v4, v2, v4, s3
.LBB442_230:
	s_or_b32 s24, s24, exec_lo
.LBB442_231:
	s_or_b32 exec_lo, exec_lo, s4
	s_and_saveexec_b32 s2, s24
	s_cbranch_execnz .LBB442_201
	s_branch .LBB442_202
.LBB442_232:
	v_lshlrev_b32_e32 v3, 3, v25
	s_clause 0x1
	global_load_b64 v[26:27], v3, s[22:23]
	global_load_b64 v[28:29], v3, s[24:25]
	v_add_co_u32 v3, s8, s27, v25
	s_delay_alu instid0(VALU_DEP_1) | instskip(SKIP_2) | instid1(VALU_DEP_1)
	v_add_co_ci_u32_e64 v4, null, s30, 0, s8
	s_waitcnt vmcnt(0)
	v_cmp_neq_f64_e64 s8, v[26:27], v[28:29]
	v_cndmask_b32_e64 v18, 0, 1, s8
	s_or_b32 exec_lo, exec_lo, s31
	s_and_saveexec_b32 s22, s7
	s_cbranch_execz .LBB442_57
.LBB442_233:
	v_and_b32_e32 v25, 1, v21
	v_cmp_lt_i64_e64 s7, v[9:10], v[1:2]
	s_delay_alu instid0(VALU_DEP_2) | instskip(SKIP_1) | instid1(VALU_DEP_2)
	v_cmp_eq_u32_e64 s8, 1, v25
	v_and_b32_e32 v25, 1, v17
	s_and_b32 s7, s8, s7
	v_cndmask_b32_e64 v17, v17, 1, s8
	v_cndmask_b32_e64 v1, v1, v9, s7
	;; [unrolled: 1-line block ×3, first 2 shown]
	v_cmp_eq_u32_e64 s7, 1, v25
	s_delay_alu instid0(VALU_DEP_1) | instskip(NEXT) | instid1(VALU_DEP_3)
	v_cndmask_b32_e64 v17, v21, v17, s7
	v_cndmask_b32_e64 v2, v10, v2, s7
	v_cndmask_b32_e64 v1, v9, v1, s7
	s_or_b32 exec_lo, exec_lo, s22
	s_and_saveexec_b32 s8, s6
	s_cbranch_execz .LBB442_58
.LBB442_234:
	v_and_b32_e32 v9, 1, v24
	v_cmp_lt_i64_e64 s6, v[15:16], v[1:2]
	s_delay_alu instid0(VALU_DEP_2) | instskip(SKIP_1) | instid1(VALU_DEP_2)
	v_cmp_eq_u32_e64 s7, 1, v9
	v_and_b32_e32 v9, 1, v17
	s_and_b32 s6, s7, s6
	v_cndmask_b32_e64 v10, v17, 1, s7
	v_cndmask_b32_e64 v1, v1, v15, s6
	;; [unrolled: 1-line block ×3, first 2 shown]
	v_cmp_eq_u32_e64 s6, 1, v9
	s_delay_alu instid0(VALU_DEP_1) | instskip(NEXT) | instid1(VALU_DEP_3)
	v_cndmask_b32_e64 v17, v24, v10, s6
	v_cndmask_b32_e64 v2, v16, v2, s6
	;; [unrolled: 1-line block ×3, first 2 shown]
	s_or_b32 exec_lo, exec_lo, s8
	s_and_saveexec_b32 s7, s5
	s_cbranch_execz .LBB442_59
.LBB442_235:
	v_and_b32_e32 v9, 1, v20
	v_cmp_lt_i64_e64 s5, v[7:8], v[1:2]
	s_delay_alu instid0(VALU_DEP_2) | instskip(SKIP_1) | instid1(VALU_DEP_2)
	v_cmp_eq_u32_e64 s6, 1, v9
	v_and_b32_e32 v9, 1, v17
	s_and_b32 s5, s6, s5
	v_cndmask_b32_e64 v10, v17, 1, s6
	v_cndmask_b32_e64 v1, v1, v7, s5
	;; [unrolled: 1-line block ×3, first 2 shown]
	v_cmp_eq_u32_e64 s5, 1, v9
	s_delay_alu instid0(VALU_DEP_1) | instskip(NEXT) | instid1(VALU_DEP_3)
	v_cndmask_b32_e64 v17, v20, v10, s5
	v_cndmask_b32_e64 v2, v8, v2, s5
	;; [unrolled: 1-line block ×3, first 2 shown]
	s_or_b32 exec_lo, exec_lo, s7
	s_and_saveexec_b32 s6, s4
	s_cbranch_execz .LBB442_60
.LBB442_236:
	v_and_b32_e32 v7, 1, v23
	v_cmp_lt_i64_e64 s4, v[13:14], v[1:2]
	s_delay_alu instid0(VALU_DEP_2) | instskip(SKIP_1) | instid1(VALU_DEP_2)
	v_cmp_eq_u32_e64 s5, 1, v7
	v_and_b32_e32 v7, 1, v17
	s_and_b32 s4, s5, s4
	v_cndmask_b32_e64 v8, v17, 1, s5
	v_cndmask_b32_e64 v1, v1, v13, s4
	;; [unrolled: 1-line block ×3, first 2 shown]
	v_cmp_eq_u32_e64 s4, 1, v7
	s_delay_alu instid0(VALU_DEP_1) | instskip(NEXT) | instid1(VALU_DEP_3)
	v_cndmask_b32_e64 v17, v23, v8, s4
	v_cndmask_b32_e64 v2, v14, v2, s4
	;; [unrolled: 1-line block ×3, first 2 shown]
	s_or_b32 exec_lo, exec_lo, s6
	s_and_saveexec_b32 s5, s3
	s_cbranch_execz .LBB442_61
.LBB442_237:
	v_and_b32_e32 v7, 1, v19
	v_cmp_lt_i64_e64 s3, v[5:6], v[1:2]
	s_delay_alu instid0(VALU_DEP_2) | instskip(SKIP_1) | instid1(VALU_DEP_2)
	v_cmp_eq_u32_e64 s4, 1, v7
	v_and_b32_e32 v7, 1, v17
	s_and_b32 s3, s4, s3
	v_cndmask_b32_e64 v8, v17, 1, s4
	v_cndmask_b32_e64 v1, v1, v5, s3
	;; [unrolled: 1-line block ×3, first 2 shown]
	v_cmp_eq_u32_e64 s3, 1, v7
	s_delay_alu instid0(VALU_DEP_1) | instskip(NEXT) | instid1(VALU_DEP_3)
	v_cndmask_b32_e64 v17, v19, v8, s3
	v_cndmask_b32_e64 v2, v6, v2, s3
	;; [unrolled: 1-line block ×3, first 2 shown]
	s_or_b32 exec_lo, exec_lo, s5
	s_and_saveexec_b32 s4, s2
	s_cbranch_execz .LBB442_62
.LBB442_238:
	v_and_b32_e32 v5, 1, v22
	v_cmp_lt_i64_e64 s2, v[11:12], v[1:2]
	s_delay_alu instid0(VALU_DEP_2) | instskip(SKIP_1) | instid1(VALU_DEP_2)
	v_cmp_eq_u32_e64 s3, 1, v5
	v_and_b32_e32 v5, 1, v17
	s_and_b32 s2, s3, s2
	v_cndmask_b32_e64 v6, v17, 1, s3
	v_cndmask_b32_e64 v1, v1, v11, s2
	;; [unrolled: 1-line block ×3, first 2 shown]
	v_cmp_eq_u32_e64 s2, 1, v5
	s_delay_alu instid0(VALU_DEP_1) | instskip(NEXT) | instid1(VALU_DEP_3)
	v_cndmask_b32_e64 v17, v22, v6, s2
	v_cndmask_b32_e64 v2, v12, v2, s2
	;; [unrolled: 1-line block ×3, first 2 shown]
	s_or_b32 exec_lo, exec_lo, s4
	s_and_saveexec_b32 s3, vcc_lo
	s_cbranch_execnz .LBB442_63
	s_branch .LBB442_64
.LBB442_239:
	v_lshlrev_b32_e32 v3, 3, v13
	s_clause 0x1
	global_load_b64 v[14:15], v3, s[6:7]
	global_load_b64 v[16:17], v3, s[8:9]
	v_add_co_u32 v3, s4, s5, v13
	s_delay_alu instid0(VALU_DEP_1) | instskip(SKIP_2) | instid1(VALU_DEP_1)
	v_add_co_ci_u32_e64 v4, null, s23, 0, s4
	s_waitcnt vmcnt(0)
	v_cmp_neq_f64_e64 s4, v[14:15], v[16:17]
	v_cndmask_b32_e64 v10, 0, 1, s4
	s_or_b32 exec_lo, exec_lo, s25
	s_and_saveexec_b32 s5, s3
	s_cbranch_execz .LBB442_100
.LBB442_240:
	v_and_b32_e32 v13, 1, v11
	v_cmp_lt_i64_e64 s3, v[5:6], v[1:2]
	s_delay_alu instid0(VALU_DEP_2) | instskip(SKIP_1) | instid1(VALU_DEP_2)
	v_cmp_eq_u32_e64 s4, 1, v13
	v_and_b32_e32 v13, 1, v9
	s_and_b32 s3, s4, s3
	v_cndmask_b32_e64 v9, v9, 1, s4
	v_cndmask_b32_e64 v1, v1, v5, s3
	;; [unrolled: 1-line block ×3, first 2 shown]
	v_cmp_eq_u32_e64 s3, 1, v13
	s_delay_alu instid0(VALU_DEP_1) | instskip(NEXT) | instid1(VALU_DEP_3)
	v_cndmask_b32_e64 v9, v11, v9, s3
	v_cndmask_b32_e64 v2, v6, v2, s3
	;; [unrolled: 1-line block ×3, first 2 shown]
	s_or_b32 exec_lo, exec_lo, s5
	s_and_saveexec_b32 s4, s2
	s_cbranch_execz .LBB442_101
.LBB442_241:
	v_and_b32_e32 v5, 1, v12
	v_cmp_lt_i64_e64 s2, v[7:8], v[1:2]
	s_delay_alu instid0(VALU_DEP_2) | instskip(SKIP_1) | instid1(VALU_DEP_2)
	v_cmp_eq_u32_e64 s3, 1, v5
	v_and_b32_e32 v5, 1, v9
	s_and_b32 s2, s3, s2
	v_cndmask_b32_e64 v6, v9, 1, s3
	v_cndmask_b32_e64 v1, v1, v7, s2
	v_cndmask_b32_e64 v2, v2, v8, s2
	v_cmp_eq_u32_e64 s2, 1, v5
	s_delay_alu instid0(VALU_DEP_1) | instskip(NEXT) | instid1(VALU_DEP_3)
	v_cndmask_b32_e64 v9, v12, v6, s2
	v_cndmask_b32_e64 v2, v8, v2, s2
	;; [unrolled: 1-line block ×3, first 2 shown]
	s_or_b32 exec_lo, exec_lo, s4
	s_and_saveexec_b32 s3, vcc_lo
	s_cbranch_execnz .LBB442_102
	s_branch .LBB442_103
	.section	.rodata,"a",@progbits
	.p2align	6, 0x0
	.amdhsa_kernel _ZN7rocprim17ROCPRIM_400000_NS6detail17trampoline_kernelINS0_14default_configENS1_22reduce_config_selectorIN6thrust23THRUST_200600_302600_NS5tupleIblNS6_9null_typeES8_S8_S8_S8_S8_S8_S8_EEEEZNS1_11reduce_implILb1ES3_NS6_12zip_iteratorINS7_INS6_11hip_rocprim26transform_input_iterator_tIbNSD_35transform_pair_of_input_iterators_tIbNS6_6detail15normal_iteratorINS6_10device_ptrIKdEEEESL_NS6_8equal_toIdEEEENSG_9not_fun_tINSD_8identityEEEEENSD_19counting_iterator_tIlEES8_S8_S8_S8_S8_S8_S8_S8_EEEEPS9_S9_NSD_9__find_if7functorIS9_EEEE10hipError_tPvRmT1_T2_T3_mT4_P12ihipStream_tbEUlT_E1_NS1_11comp_targetILNS1_3genE9ELNS1_11target_archE1100ELNS1_3gpuE3ELNS1_3repE0EEENS1_30default_config_static_selectorELNS0_4arch9wavefront6targetE0EEEvS14_
		.amdhsa_group_segment_fixed_size 640
		.amdhsa_private_segment_fixed_size 0
		.amdhsa_kernarg_size 88
		.amdhsa_user_sgpr_count 15
		.amdhsa_user_sgpr_dispatch_ptr 0
		.amdhsa_user_sgpr_queue_ptr 0
		.amdhsa_user_sgpr_kernarg_segment_ptr 1
		.amdhsa_user_sgpr_dispatch_id 0
		.amdhsa_user_sgpr_private_segment_size 0
		.amdhsa_wavefront_size32 1
		.amdhsa_uses_dynamic_stack 0
		.amdhsa_enable_private_segment 0
		.amdhsa_system_sgpr_workgroup_id_x 1
		.amdhsa_system_sgpr_workgroup_id_y 0
		.amdhsa_system_sgpr_workgroup_id_z 0
		.amdhsa_system_sgpr_workgroup_info 0
		.amdhsa_system_vgpr_workitem_id 0
		.amdhsa_next_free_vgpr 34
		.amdhsa_next_free_sgpr 32
		.amdhsa_reserve_vcc 1
		.amdhsa_float_round_mode_32 0
		.amdhsa_float_round_mode_16_64 0
		.amdhsa_float_denorm_mode_32 3
		.amdhsa_float_denorm_mode_16_64 3
		.amdhsa_dx10_clamp 1
		.amdhsa_ieee_mode 1
		.amdhsa_fp16_overflow 0
		.amdhsa_workgroup_processor_mode 1
		.amdhsa_memory_ordered 1
		.amdhsa_forward_progress 0
		.amdhsa_shared_vgpr_count 0
		.amdhsa_exception_fp_ieee_invalid_op 0
		.amdhsa_exception_fp_denorm_src 0
		.amdhsa_exception_fp_ieee_div_zero 0
		.amdhsa_exception_fp_ieee_overflow 0
		.amdhsa_exception_fp_ieee_underflow 0
		.amdhsa_exception_fp_ieee_inexact 0
		.amdhsa_exception_int_div_zero 0
	.end_amdhsa_kernel
	.section	.text._ZN7rocprim17ROCPRIM_400000_NS6detail17trampoline_kernelINS0_14default_configENS1_22reduce_config_selectorIN6thrust23THRUST_200600_302600_NS5tupleIblNS6_9null_typeES8_S8_S8_S8_S8_S8_S8_EEEEZNS1_11reduce_implILb1ES3_NS6_12zip_iteratorINS7_INS6_11hip_rocprim26transform_input_iterator_tIbNSD_35transform_pair_of_input_iterators_tIbNS6_6detail15normal_iteratorINS6_10device_ptrIKdEEEESL_NS6_8equal_toIdEEEENSG_9not_fun_tINSD_8identityEEEEENSD_19counting_iterator_tIlEES8_S8_S8_S8_S8_S8_S8_S8_EEEEPS9_S9_NSD_9__find_if7functorIS9_EEEE10hipError_tPvRmT1_T2_T3_mT4_P12ihipStream_tbEUlT_E1_NS1_11comp_targetILNS1_3genE9ELNS1_11target_archE1100ELNS1_3gpuE3ELNS1_3repE0EEENS1_30default_config_static_selectorELNS0_4arch9wavefront6targetE0EEEvS14_,"axG",@progbits,_ZN7rocprim17ROCPRIM_400000_NS6detail17trampoline_kernelINS0_14default_configENS1_22reduce_config_selectorIN6thrust23THRUST_200600_302600_NS5tupleIblNS6_9null_typeES8_S8_S8_S8_S8_S8_S8_EEEEZNS1_11reduce_implILb1ES3_NS6_12zip_iteratorINS7_INS6_11hip_rocprim26transform_input_iterator_tIbNSD_35transform_pair_of_input_iterators_tIbNS6_6detail15normal_iteratorINS6_10device_ptrIKdEEEESL_NS6_8equal_toIdEEEENSG_9not_fun_tINSD_8identityEEEEENSD_19counting_iterator_tIlEES8_S8_S8_S8_S8_S8_S8_S8_EEEEPS9_S9_NSD_9__find_if7functorIS9_EEEE10hipError_tPvRmT1_T2_T3_mT4_P12ihipStream_tbEUlT_E1_NS1_11comp_targetILNS1_3genE9ELNS1_11target_archE1100ELNS1_3gpuE3ELNS1_3repE0EEENS1_30default_config_static_selectorELNS0_4arch9wavefront6targetE0EEEvS14_,comdat
.Lfunc_end442:
	.size	_ZN7rocprim17ROCPRIM_400000_NS6detail17trampoline_kernelINS0_14default_configENS1_22reduce_config_selectorIN6thrust23THRUST_200600_302600_NS5tupleIblNS6_9null_typeES8_S8_S8_S8_S8_S8_S8_EEEEZNS1_11reduce_implILb1ES3_NS6_12zip_iteratorINS7_INS6_11hip_rocprim26transform_input_iterator_tIbNSD_35transform_pair_of_input_iterators_tIbNS6_6detail15normal_iteratorINS6_10device_ptrIKdEEEESL_NS6_8equal_toIdEEEENSG_9not_fun_tINSD_8identityEEEEENSD_19counting_iterator_tIlEES8_S8_S8_S8_S8_S8_S8_S8_EEEEPS9_S9_NSD_9__find_if7functorIS9_EEEE10hipError_tPvRmT1_T2_T3_mT4_P12ihipStream_tbEUlT_E1_NS1_11comp_targetILNS1_3genE9ELNS1_11target_archE1100ELNS1_3gpuE3ELNS1_3repE0EEENS1_30default_config_static_selectorELNS0_4arch9wavefront6targetE0EEEvS14_, .Lfunc_end442-_ZN7rocprim17ROCPRIM_400000_NS6detail17trampoline_kernelINS0_14default_configENS1_22reduce_config_selectorIN6thrust23THRUST_200600_302600_NS5tupleIblNS6_9null_typeES8_S8_S8_S8_S8_S8_S8_EEEEZNS1_11reduce_implILb1ES3_NS6_12zip_iteratorINS7_INS6_11hip_rocprim26transform_input_iterator_tIbNSD_35transform_pair_of_input_iterators_tIbNS6_6detail15normal_iteratorINS6_10device_ptrIKdEEEESL_NS6_8equal_toIdEEEENSG_9not_fun_tINSD_8identityEEEEENSD_19counting_iterator_tIlEES8_S8_S8_S8_S8_S8_S8_S8_EEEEPS9_S9_NSD_9__find_if7functorIS9_EEEE10hipError_tPvRmT1_T2_T3_mT4_P12ihipStream_tbEUlT_E1_NS1_11comp_targetILNS1_3genE9ELNS1_11target_archE1100ELNS1_3gpuE3ELNS1_3repE0EEENS1_30default_config_static_selectorELNS0_4arch9wavefront6targetE0EEEvS14_
                                        ; -- End function
	.section	.AMDGPU.csdata,"",@progbits
; Kernel info:
; codeLenInByte = 16136
; NumSgprs: 34
; NumVgprs: 34
; ScratchSize: 0
; MemoryBound: 0
; FloatMode: 240
; IeeeMode: 1
; LDSByteSize: 640 bytes/workgroup (compile time only)
; SGPRBlocks: 4
; VGPRBlocks: 4
; NumSGPRsForWavesPerEU: 34
; NumVGPRsForWavesPerEU: 34
; Occupancy: 16
; WaveLimiterHint : 0
; COMPUTE_PGM_RSRC2:SCRATCH_EN: 0
; COMPUTE_PGM_RSRC2:USER_SGPR: 15
; COMPUTE_PGM_RSRC2:TRAP_HANDLER: 0
; COMPUTE_PGM_RSRC2:TGID_X_EN: 1
; COMPUTE_PGM_RSRC2:TGID_Y_EN: 0
; COMPUTE_PGM_RSRC2:TGID_Z_EN: 0
; COMPUTE_PGM_RSRC2:TIDIG_COMP_CNT: 0
	.section	.text._ZN7rocprim17ROCPRIM_400000_NS6detail17trampoline_kernelINS0_14default_configENS1_22reduce_config_selectorIN6thrust23THRUST_200600_302600_NS5tupleIblNS6_9null_typeES8_S8_S8_S8_S8_S8_S8_EEEEZNS1_11reduce_implILb1ES3_NS6_12zip_iteratorINS7_INS6_11hip_rocprim26transform_input_iterator_tIbNSD_35transform_pair_of_input_iterators_tIbNS6_6detail15normal_iteratorINS6_10device_ptrIKdEEEESL_NS6_8equal_toIdEEEENSG_9not_fun_tINSD_8identityEEEEENSD_19counting_iterator_tIlEES8_S8_S8_S8_S8_S8_S8_S8_EEEEPS9_S9_NSD_9__find_if7functorIS9_EEEE10hipError_tPvRmT1_T2_T3_mT4_P12ihipStream_tbEUlT_E1_NS1_11comp_targetILNS1_3genE8ELNS1_11target_archE1030ELNS1_3gpuE2ELNS1_3repE0EEENS1_30default_config_static_selectorELNS0_4arch9wavefront6targetE0EEEvS14_,"axG",@progbits,_ZN7rocprim17ROCPRIM_400000_NS6detail17trampoline_kernelINS0_14default_configENS1_22reduce_config_selectorIN6thrust23THRUST_200600_302600_NS5tupleIblNS6_9null_typeES8_S8_S8_S8_S8_S8_S8_EEEEZNS1_11reduce_implILb1ES3_NS6_12zip_iteratorINS7_INS6_11hip_rocprim26transform_input_iterator_tIbNSD_35transform_pair_of_input_iterators_tIbNS6_6detail15normal_iteratorINS6_10device_ptrIKdEEEESL_NS6_8equal_toIdEEEENSG_9not_fun_tINSD_8identityEEEEENSD_19counting_iterator_tIlEES8_S8_S8_S8_S8_S8_S8_S8_EEEEPS9_S9_NSD_9__find_if7functorIS9_EEEE10hipError_tPvRmT1_T2_T3_mT4_P12ihipStream_tbEUlT_E1_NS1_11comp_targetILNS1_3genE8ELNS1_11target_archE1030ELNS1_3gpuE2ELNS1_3repE0EEENS1_30default_config_static_selectorELNS0_4arch9wavefront6targetE0EEEvS14_,comdat
	.protected	_ZN7rocprim17ROCPRIM_400000_NS6detail17trampoline_kernelINS0_14default_configENS1_22reduce_config_selectorIN6thrust23THRUST_200600_302600_NS5tupleIblNS6_9null_typeES8_S8_S8_S8_S8_S8_S8_EEEEZNS1_11reduce_implILb1ES3_NS6_12zip_iteratorINS7_INS6_11hip_rocprim26transform_input_iterator_tIbNSD_35transform_pair_of_input_iterators_tIbNS6_6detail15normal_iteratorINS6_10device_ptrIKdEEEESL_NS6_8equal_toIdEEEENSG_9not_fun_tINSD_8identityEEEEENSD_19counting_iterator_tIlEES8_S8_S8_S8_S8_S8_S8_S8_EEEEPS9_S9_NSD_9__find_if7functorIS9_EEEE10hipError_tPvRmT1_T2_T3_mT4_P12ihipStream_tbEUlT_E1_NS1_11comp_targetILNS1_3genE8ELNS1_11target_archE1030ELNS1_3gpuE2ELNS1_3repE0EEENS1_30default_config_static_selectorELNS0_4arch9wavefront6targetE0EEEvS14_ ; -- Begin function _ZN7rocprim17ROCPRIM_400000_NS6detail17trampoline_kernelINS0_14default_configENS1_22reduce_config_selectorIN6thrust23THRUST_200600_302600_NS5tupleIblNS6_9null_typeES8_S8_S8_S8_S8_S8_S8_EEEEZNS1_11reduce_implILb1ES3_NS6_12zip_iteratorINS7_INS6_11hip_rocprim26transform_input_iterator_tIbNSD_35transform_pair_of_input_iterators_tIbNS6_6detail15normal_iteratorINS6_10device_ptrIKdEEEESL_NS6_8equal_toIdEEEENSG_9not_fun_tINSD_8identityEEEEENSD_19counting_iterator_tIlEES8_S8_S8_S8_S8_S8_S8_S8_EEEEPS9_S9_NSD_9__find_if7functorIS9_EEEE10hipError_tPvRmT1_T2_T3_mT4_P12ihipStream_tbEUlT_E1_NS1_11comp_targetILNS1_3genE8ELNS1_11target_archE1030ELNS1_3gpuE2ELNS1_3repE0EEENS1_30default_config_static_selectorELNS0_4arch9wavefront6targetE0EEEvS14_
	.globl	_ZN7rocprim17ROCPRIM_400000_NS6detail17trampoline_kernelINS0_14default_configENS1_22reduce_config_selectorIN6thrust23THRUST_200600_302600_NS5tupleIblNS6_9null_typeES8_S8_S8_S8_S8_S8_S8_EEEEZNS1_11reduce_implILb1ES3_NS6_12zip_iteratorINS7_INS6_11hip_rocprim26transform_input_iterator_tIbNSD_35transform_pair_of_input_iterators_tIbNS6_6detail15normal_iteratorINS6_10device_ptrIKdEEEESL_NS6_8equal_toIdEEEENSG_9not_fun_tINSD_8identityEEEEENSD_19counting_iterator_tIlEES8_S8_S8_S8_S8_S8_S8_S8_EEEEPS9_S9_NSD_9__find_if7functorIS9_EEEE10hipError_tPvRmT1_T2_T3_mT4_P12ihipStream_tbEUlT_E1_NS1_11comp_targetILNS1_3genE8ELNS1_11target_archE1030ELNS1_3gpuE2ELNS1_3repE0EEENS1_30default_config_static_selectorELNS0_4arch9wavefront6targetE0EEEvS14_
	.p2align	8
	.type	_ZN7rocprim17ROCPRIM_400000_NS6detail17trampoline_kernelINS0_14default_configENS1_22reduce_config_selectorIN6thrust23THRUST_200600_302600_NS5tupleIblNS6_9null_typeES8_S8_S8_S8_S8_S8_S8_EEEEZNS1_11reduce_implILb1ES3_NS6_12zip_iteratorINS7_INS6_11hip_rocprim26transform_input_iterator_tIbNSD_35transform_pair_of_input_iterators_tIbNS6_6detail15normal_iteratorINS6_10device_ptrIKdEEEESL_NS6_8equal_toIdEEEENSG_9not_fun_tINSD_8identityEEEEENSD_19counting_iterator_tIlEES8_S8_S8_S8_S8_S8_S8_S8_EEEEPS9_S9_NSD_9__find_if7functorIS9_EEEE10hipError_tPvRmT1_T2_T3_mT4_P12ihipStream_tbEUlT_E1_NS1_11comp_targetILNS1_3genE8ELNS1_11target_archE1030ELNS1_3gpuE2ELNS1_3repE0EEENS1_30default_config_static_selectorELNS0_4arch9wavefront6targetE0EEEvS14_,@function
_ZN7rocprim17ROCPRIM_400000_NS6detail17trampoline_kernelINS0_14default_configENS1_22reduce_config_selectorIN6thrust23THRUST_200600_302600_NS5tupleIblNS6_9null_typeES8_S8_S8_S8_S8_S8_S8_EEEEZNS1_11reduce_implILb1ES3_NS6_12zip_iteratorINS7_INS6_11hip_rocprim26transform_input_iterator_tIbNSD_35transform_pair_of_input_iterators_tIbNS6_6detail15normal_iteratorINS6_10device_ptrIKdEEEESL_NS6_8equal_toIdEEEENSG_9not_fun_tINSD_8identityEEEEENSD_19counting_iterator_tIlEES8_S8_S8_S8_S8_S8_S8_S8_EEEEPS9_S9_NSD_9__find_if7functorIS9_EEEE10hipError_tPvRmT1_T2_T3_mT4_P12ihipStream_tbEUlT_E1_NS1_11comp_targetILNS1_3genE8ELNS1_11target_archE1030ELNS1_3gpuE2ELNS1_3repE0EEENS1_30default_config_static_selectorELNS0_4arch9wavefront6targetE0EEEvS14_: ; @_ZN7rocprim17ROCPRIM_400000_NS6detail17trampoline_kernelINS0_14default_configENS1_22reduce_config_selectorIN6thrust23THRUST_200600_302600_NS5tupleIblNS6_9null_typeES8_S8_S8_S8_S8_S8_S8_EEEEZNS1_11reduce_implILb1ES3_NS6_12zip_iteratorINS7_INS6_11hip_rocprim26transform_input_iterator_tIbNSD_35transform_pair_of_input_iterators_tIbNS6_6detail15normal_iteratorINS6_10device_ptrIKdEEEESL_NS6_8equal_toIdEEEENSG_9not_fun_tINSD_8identityEEEEENSD_19counting_iterator_tIlEES8_S8_S8_S8_S8_S8_S8_S8_EEEEPS9_S9_NSD_9__find_if7functorIS9_EEEE10hipError_tPvRmT1_T2_T3_mT4_P12ihipStream_tbEUlT_E1_NS1_11comp_targetILNS1_3genE8ELNS1_11target_archE1030ELNS1_3gpuE2ELNS1_3repE0EEENS1_30default_config_static_selectorELNS0_4arch9wavefront6targetE0EEEvS14_
; %bb.0:
	.section	.rodata,"a",@progbits
	.p2align	6, 0x0
	.amdhsa_kernel _ZN7rocprim17ROCPRIM_400000_NS6detail17trampoline_kernelINS0_14default_configENS1_22reduce_config_selectorIN6thrust23THRUST_200600_302600_NS5tupleIblNS6_9null_typeES8_S8_S8_S8_S8_S8_S8_EEEEZNS1_11reduce_implILb1ES3_NS6_12zip_iteratorINS7_INS6_11hip_rocprim26transform_input_iterator_tIbNSD_35transform_pair_of_input_iterators_tIbNS6_6detail15normal_iteratorINS6_10device_ptrIKdEEEESL_NS6_8equal_toIdEEEENSG_9not_fun_tINSD_8identityEEEEENSD_19counting_iterator_tIlEES8_S8_S8_S8_S8_S8_S8_S8_EEEEPS9_S9_NSD_9__find_if7functorIS9_EEEE10hipError_tPvRmT1_T2_T3_mT4_P12ihipStream_tbEUlT_E1_NS1_11comp_targetILNS1_3genE8ELNS1_11target_archE1030ELNS1_3gpuE2ELNS1_3repE0EEENS1_30default_config_static_selectorELNS0_4arch9wavefront6targetE0EEEvS14_
		.amdhsa_group_segment_fixed_size 0
		.amdhsa_private_segment_fixed_size 0
		.amdhsa_kernarg_size 88
		.amdhsa_user_sgpr_count 15
		.amdhsa_user_sgpr_dispatch_ptr 0
		.amdhsa_user_sgpr_queue_ptr 0
		.amdhsa_user_sgpr_kernarg_segment_ptr 1
		.amdhsa_user_sgpr_dispatch_id 0
		.amdhsa_user_sgpr_private_segment_size 0
		.amdhsa_wavefront_size32 1
		.amdhsa_uses_dynamic_stack 0
		.amdhsa_enable_private_segment 0
		.amdhsa_system_sgpr_workgroup_id_x 1
		.amdhsa_system_sgpr_workgroup_id_y 0
		.amdhsa_system_sgpr_workgroup_id_z 0
		.amdhsa_system_sgpr_workgroup_info 0
		.amdhsa_system_vgpr_workitem_id 0
		.amdhsa_next_free_vgpr 1
		.amdhsa_next_free_sgpr 1
		.amdhsa_reserve_vcc 0
		.amdhsa_float_round_mode_32 0
		.amdhsa_float_round_mode_16_64 0
		.amdhsa_float_denorm_mode_32 3
		.amdhsa_float_denorm_mode_16_64 3
		.amdhsa_dx10_clamp 1
		.amdhsa_ieee_mode 1
		.amdhsa_fp16_overflow 0
		.amdhsa_workgroup_processor_mode 1
		.amdhsa_memory_ordered 1
		.amdhsa_forward_progress 0
		.amdhsa_shared_vgpr_count 0
		.amdhsa_exception_fp_ieee_invalid_op 0
		.amdhsa_exception_fp_denorm_src 0
		.amdhsa_exception_fp_ieee_div_zero 0
		.amdhsa_exception_fp_ieee_overflow 0
		.amdhsa_exception_fp_ieee_underflow 0
		.amdhsa_exception_fp_ieee_inexact 0
		.amdhsa_exception_int_div_zero 0
	.end_amdhsa_kernel
	.section	.text._ZN7rocprim17ROCPRIM_400000_NS6detail17trampoline_kernelINS0_14default_configENS1_22reduce_config_selectorIN6thrust23THRUST_200600_302600_NS5tupleIblNS6_9null_typeES8_S8_S8_S8_S8_S8_S8_EEEEZNS1_11reduce_implILb1ES3_NS6_12zip_iteratorINS7_INS6_11hip_rocprim26transform_input_iterator_tIbNSD_35transform_pair_of_input_iterators_tIbNS6_6detail15normal_iteratorINS6_10device_ptrIKdEEEESL_NS6_8equal_toIdEEEENSG_9not_fun_tINSD_8identityEEEEENSD_19counting_iterator_tIlEES8_S8_S8_S8_S8_S8_S8_S8_EEEEPS9_S9_NSD_9__find_if7functorIS9_EEEE10hipError_tPvRmT1_T2_T3_mT4_P12ihipStream_tbEUlT_E1_NS1_11comp_targetILNS1_3genE8ELNS1_11target_archE1030ELNS1_3gpuE2ELNS1_3repE0EEENS1_30default_config_static_selectorELNS0_4arch9wavefront6targetE0EEEvS14_,"axG",@progbits,_ZN7rocprim17ROCPRIM_400000_NS6detail17trampoline_kernelINS0_14default_configENS1_22reduce_config_selectorIN6thrust23THRUST_200600_302600_NS5tupleIblNS6_9null_typeES8_S8_S8_S8_S8_S8_S8_EEEEZNS1_11reduce_implILb1ES3_NS6_12zip_iteratorINS7_INS6_11hip_rocprim26transform_input_iterator_tIbNSD_35transform_pair_of_input_iterators_tIbNS6_6detail15normal_iteratorINS6_10device_ptrIKdEEEESL_NS6_8equal_toIdEEEENSG_9not_fun_tINSD_8identityEEEEENSD_19counting_iterator_tIlEES8_S8_S8_S8_S8_S8_S8_S8_EEEEPS9_S9_NSD_9__find_if7functorIS9_EEEE10hipError_tPvRmT1_T2_T3_mT4_P12ihipStream_tbEUlT_E1_NS1_11comp_targetILNS1_3genE8ELNS1_11target_archE1030ELNS1_3gpuE2ELNS1_3repE0EEENS1_30default_config_static_selectorELNS0_4arch9wavefront6targetE0EEEvS14_,comdat
.Lfunc_end443:
	.size	_ZN7rocprim17ROCPRIM_400000_NS6detail17trampoline_kernelINS0_14default_configENS1_22reduce_config_selectorIN6thrust23THRUST_200600_302600_NS5tupleIblNS6_9null_typeES8_S8_S8_S8_S8_S8_S8_EEEEZNS1_11reduce_implILb1ES3_NS6_12zip_iteratorINS7_INS6_11hip_rocprim26transform_input_iterator_tIbNSD_35transform_pair_of_input_iterators_tIbNS6_6detail15normal_iteratorINS6_10device_ptrIKdEEEESL_NS6_8equal_toIdEEEENSG_9not_fun_tINSD_8identityEEEEENSD_19counting_iterator_tIlEES8_S8_S8_S8_S8_S8_S8_S8_EEEEPS9_S9_NSD_9__find_if7functorIS9_EEEE10hipError_tPvRmT1_T2_T3_mT4_P12ihipStream_tbEUlT_E1_NS1_11comp_targetILNS1_3genE8ELNS1_11target_archE1030ELNS1_3gpuE2ELNS1_3repE0EEENS1_30default_config_static_selectorELNS0_4arch9wavefront6targetE0EEEvS14_, .Lfunc_end443-_ZN7rocprim17ROCPRIM_400000_NS6detail17trampoline_kernelINS0_14default_configENS1_22reduce_config_selectorIN6thrust23THRUST_200600_302600_NS5tupleIblNS6_9null_typeES8_S8_S8_S8_S8_S8_S8_EEEEZNS1_11reduce_implILb1ES3_NS6_12zip_iteratorINS7_INS6_11hip_rocprim26transform_input_iterator_tIbNSD_35transform_pair_of_input_iterators_tIbNS6_6detail15normal_iteratorINS6_10device_ptrIKdEEEESL_NS6_8equal_toIdEEEENSG_9not_fun_tINSD_8identityEEEEENSD_19counting_iterator_tIlEES8_S8_S8_S8_S8_S8_S8_S8_EEEEPS9_S9_NSD_9__find_if7functorIS9_EEEE10hipError_tPvRmT1_T2_T3_mT4_P12ihipStream_tbEUlT_E1_NS1_11comp_targetILNS1_3genE8ELNS1_11target_archE1030ELNS1_3gpuE2ELNS1_3repE0EEENS1_30default_config_static_selectorELNS0_4arch9wavefront6targetE0EEEvS14_
                                        ; -- End function
	.section	.AMDGPU.csdata,"",@progbits
; Kernel info:
; codeLenInByte = 0
; NumSgprs: 0
; NumVgprs: 0
; ScratchSize: 0
; MemoryBound: 0
; FloatMode: 240
; IeeeMode: 1
; LDSByteSize: 0 bytes/workgroup (compile time only)
; SGPRBlocks: 0
; VGPRBlocks: 0
; NumSGPRsForWavesPerEU: 1
; NumVGPRsForWavesPerEU: 1
; Occupancy: 16
; WaveLimiterHint : 0
; COMPUTE_PGM_RSRC2:SCRATCH_EN: 0
; COMPUTE_PGM_RSRC2:USER_SGPR: 15
; COMPUTE_PGM_RSRC2:TRAP_HANDLER: 0
; COMPUTE_PGM_RSRC2:TGID_X_EN: 1
; COMPUTE_PGM_RSRC2:TGID_Y_EN: 0
; COMPUTE_PGM_RSRC2:TGID_Z_EN: 0
; COMPUTE_PGM_RSRC2:TIDIG_COMP_CNT: 0
	.section	.text._ZN6thrust23THRUST_200600_302600_NS11hip_rocprim14__parallel_for6kernelILj256ENS1_10for_each_fINS0_7pointerINS0_5tupleIblNS0_9null_typeES7_S7_S7_S7_S7_S7_S7_EENS1_3tagENS0_11use_defaultESA_EENS0_6detail16wrapped_functionINSC_23allocator_traits_detail24construct1_via_allocatorINSC_18no_throw_allocatorINSC_19temporary_allocatorIS8_S9_EEEEEEvEEEEmLj1EEEvT0_T1_SO_,"axG",@progbits,_ZN6thrust23THRUST_200600_302600_NS11hip_rocprim14__parallel_for6kernelILj256ENS1_10for_each_fINS0_7pointerINS0_5tupleIblNS0_9null_typeES7_S7_S7_S7_S7_S7_S7_EENS1_3tagENS0_11use_defaultESA_EENS0_6detail16wrapped_functionINSC_23allocator_traits_detail24construct1_via_allocatorINSC_18no_throw_allocatorINSC_19temporary_allocatorIS8_S9_EEEEEEvEEEEmLj1EEEvT0_T1_SO_,comdat
	.protected	_ZN6thrust23THRUST_200600_302600_NS11hip_rocprim14__parallel_for6kernelILj256ENS1_10for_each_fINS0_7pointerINS0_5tupleIblNS0_9null_typeES7_S7_S7_S7_S7_S7_S7_EENS1_3tagENS0_11use_defaultESA_EENS0_6detail16wrapped_functionINSC_23allocator_traits_detail24construct1_via_allocatorINSC_18no_throw_allocatorINSC_19temporary_allocatorIS8_S9_EEEEEEvEEEEmLj1EEEvT0_T1_SO_ ; -- Begin function _ZN6thrust23THRUST_200600_302600_NS11hip_rocprim14__parallel_for6kernelILj256ENS1_10for_each_fINS0_7pointerINS0_5tupleIblNS0_9null_typeES7_S7_S7_S7_S7_S7_S7_EENS1_3tagENS0_11use_defaultESA_EENS0_6detail16wrapped_functionINSC_23allocator_traits_detail24construct1_via_allocatorINSC_18no_throw_allocatorINSC_19temporary_allocatorIS8_S9_EEEEEEvEEEEmLj1EEEvT0_T1_SO_
	.globl	_ZN6thrust23THRUST_200600_302600_NS11hip_rocprim14__parallel_for6kernelILj256ENS1_10for_each_fINS0_7pointerINS0_5tupleIblNS0_9null_typeES7_S7_S7_S7_S7_S7_S7_EENS1_3tagENS0_11use_defaultESA_EENS0_6detail16wrapped_functionINSC_23allocator_traits_detail24construct1_via_allocatorINSC_18no_throw_allocatorINSC_19temporary_allocatorIS8_S9_EEEEEEvEEEEmLj1EEEvT0_T1_SO_
	.p2align	8
	.type	_ZN6thrust23THRUST_200600_302600_NS11hip_rocprim14__parallel_for6kernelILj256ENS1_10for_each_fINS0_7pointerINS0_5tupleIblNS0_9null_typeES7_S7_S7_S7_S7_S7_S7_EENS1_3tagENS0_11use_defaultESA_EENS0_6detail16wrapped_functionINSC_23allocator_traits_detail24construct1_via_allocatorINSC_18no_throw_allocatorINSC_19temporary_allocatorIS8_S9_EEEEEEvEEEEmLj1EEEvT0_T1_SO_,@function
_ZN6thrust23THRUST_200600_302600_NS11hip_rocprim14__parallel_for6kernelILj256ENS1_10for_each_fINS0_7pointerINS0_5tupleIblNS0_9null_typeES7_S7_S7_S7_S7_S7_S7_EENS1_3tagENS0_11use_defaultESA_EENS0_6detail16wrapped_functionINSC_23allocator_traits_detail24construct1_via_allocatorINSC_18no_throw_allocatorINSC_19temporary_allocatorIS8_S9_EEEEEEvEEEEmLj1EEEvT0_T1_SO_: ; @_ZN6thrust23THRUST_200600_302600_NS11hip_rocprim14__parallel_for6kernelILj256ENS1_10for_each_fINS0_7pointerINS0_5tupleIblNS0_9null_typeES7_S7_S7_S7_S7_S7_S7_EENS1_3tagENS0_11use_defaultESA_EENS0_6detail16wrapped_functionINSC_23allocator_traits_detail24construct1_via_allocatorINSC_18no_throw_allocatorINSC_19temporary_allocatorIS8_S9_EEEEEEvEEEEmLj1EEEvT0_T1_SO_
; %bb.0:
	s_clause 0x1
	s_load_b128 s[4:7], s[0:1], 0x10
	s_load_b64 s[0:1], s[0:1], 0x0
	s_lshl_b32 s2, s15, 8
	s_waitcnt lgkmcnt(0)
	s_add_u32 s2, s2, s6
	s_addc_u32 s3, 0, s7
	s_sub_u32 s4, s4, s2
	s_subb_u32 s5, s5, s3
	s_delay_alu instid0(SALU_CYCLE_1) | instskip(NEXT) | instid1(VALU_DEP_1)
	v_cmp_gt_u64_e64 s5, 0x100, s[4:5]
	s_and_b32 vcc_lo, exec_lo, s5
	s_mov_b32 s5, 0
	s_cbranch_vccz .LBB444_4
; %bb.1:
	v_cmp_gt_u32_e32 vcc_lo, s4, v0
	s_mov_b32 s4, 0
                                        ; implicit-def: $vgpr1_vgpr2
	s_and_saveexec_b32 s6, vcc_lo
	s_delay_alu instid0(SALU_CYCLE_1)
	s_xor_b32 s6, exec_lo, s6
; %bb.2:
	v_lshlrev_b32_e32 v1, 4, v0
	s_lshl_b64 s[8:9], s[2:3], 4
	s_mov_b32 s5, exec_lo
	s_add_u32 s7, s0, s8
	s_addc_u32 s8, s1, s9
	v_add_co_u32 v1, s7, s7, v1
	s_delay_alu instid0(VALU_DEP_1)
	v_add_co_ci_u32_e64 v2, null, s8, 0, s7
; %bb.3:
	s_or_b32 exec_lo, exec_lo, s6
	s_delay_alu instid0(SALU_CYCLE_1)
	s_and_b32 vcc_lo, exec_lo, s4
	s_cbranch_vccnz .LBB444_5
	s_branch .LBB444_6
.LBB444_4:
                                        ; implicit-def: $vgpr1_vgpr2
	s_cbranch_execz .LBB444_6
.LBB444_5:
	v_lshlrev_b32_e32 v0, 4, v0
	s_lshl_b64 s[2:3], s[2:3], 4
	s_delay_alu instid0(SALU_CYCLE_1) | instskip(SKIP_1) | instid1(VALU_DEP_1)
	s_add_u32 s0, s0, s2
	s_addc_u32 s1, s1, s3
	v_add_co_u32 v1, s0, s0, v0
	s_delay_alu instid0(VALU_DEP_1)
	v_add_co_ci_u32_e64 v2, null, s1, 0, s0
	s_or_b32 s5, s5, exec_lo
.LBB444_6:
	s_delay_alu instid0(SALU_CYCLE_1)
	s_and_saveexec_b32 s0, s5
	s_cbranch_execnz .LBB444_8
; %bb.7:
	s_endpgm
.LBB444_8:
	v_mov_b32_e32 v3, 0
	s_delay_alu instid0(VALU_DEP_1)
	v_mov_b32_e32 v4, v3
	s_clause 0x1
	flat_store_b8 v[1:2], v3
	flat_store_b64 v[1:2], v[3:4] offset:8
	s_endpgm
	.section	.rodata,"a",@progbits
	.p2align	6, 0x0
	.amdhsa_kernel _ZN6thrust23THRUST_200600_302600_NS11hip_rocprim14__parallel_for6kernelILj256ENS1_10for_each_fINS0_7pointerINS0_5tupleIblNS0_9null_typeES7_S7_S7_S7_S7_S7_S7_EENS1_3tagENS0_11use_defaultESA_EENS0_6detail16wrapped_functionINSC_23allocator_traits_detail24construct1_via_allocatorINSC_18no_throw_allocatorINSC_19temporary_allocatorIS8_S9_EEEEEEvEEEEmLj1EEEvT0_T1_SO_
		.amdhsa_group_segment_fixed_size 0
		.amdhsa_private_segment_fixed_size 0
		.amdhsa_kernarg_size 32
		.amdhsa_user_sgpr_count 15
		.amdhsa_user_sgpr_dispatch_ptr 0
		.amdhsa_user_sgpr_queue_ptr 0
		.amdhsa_user_sgpr_kernarg_segment_ptr 1
		.amdhsa_user_sgpr_dispatch_id 0
		.amdhsa_user_sgpr_private_segment_size 0
		.amdhsa_wavefront_size32 1
		.amdhsa_uses_dynamic_stack 0
		.amdhsa_enable_private_segment 0
		.amdhsa_system_sgpr_workgroup_id_x 1
		.amdhsa_system_sgpr_workgroup_id_y 0
		.amdhsa_system_sgpr_workgroup_id_z 0
		.amdhsa_system_sgpr_workgroup_info 0
		.amdhsa_system_vgpr_workitem_id 0
		.amdhsa_next_free_vgpr 5
		.amdhsa_next_free_sgpr 16
		.amdhsa_reserve_vcc 1
		.amdhsa_float_round_mode_32 0
		.amdhsa_float_round_mode_16_64 0
		.amdhsa_float_denorm_mode_32 3
		.amdhsa_float_denorm_mode_16_64 3
		.amdhsa_dx10_clamp 1
		.amdhsa_ieee_mode 1
		.amdhsa_fp16_overflow 0
		.amdhsa_workgroup_processor_mode 1
		.amdhsa_memory_ordered 1
		.amdhsa_forward_progress 0
		.amdhsa_shared_vgpr_count 0
		.amdhsa_exception_fp_ieee_invalid_op 0
		.amdhsa_exception_fp_denorm_src 0
		.amdhsa_exception_fp_ieee_div_zero 0
		.amdhsa_exception_fp_ieee_overflow 0
		.amdhsa_exception_fp_ieee_underflow 0
		.amdhsa_exception_fp_ieee_inexact 0
		.amdhsa_exception_int_div_zero 0
	.end_amdhsa_kernel
	.section	.text._ZN6thrust23THRUST_200600_302600_NS11hip_rocprim14__parallel_for6kernelILj256ENS1_10for_each_fINS0_7pointerINS0_5tupleIblNS0_9null_typeES7_S7_S7_S7_S7_S7_S7_EENS1_3tagENS0_11use_defaultESA_EENS0_6detail16wrapped_functionINSC_23allocator_traits_detail24construct1_via_allocatorINSC_18no_throw_allocatorINSC_19temporary_allocatorIS8_S9_EEEEEEvEEEEmLj1EEEvT0_T1_SO_,"axG",@progbits,_ZN6thrust23THRUST_200600_302600_NS11hip_rocprim14__parallel_for6kernelILj256ENS1_10for_each_fINS0_7pointerINS0_5tupleIblNS0_9null_typeES7_S7_S7_S7_S7_S7_S7_EENS1_3tagENS0_11use_defaultESA_EENS0_6detail16wrapped_functionINSC_23allocator_traits_detail24construct1_via_allocatorINSC_18no_throw_allocatorINSC_19temporary_allocatorIS8_S9_EEEEEEvEEEEmLj1EEEvT0_T1_SO_,comdat
.Lfunc_end444:
	.size	_ZN6thrust23THRUST_200600_302600_NS11hip_rocprim14__parallel_for6kernelILj256ENS1_10for_each_fINS0_7pointerINS0_5tupleIblNS0_9null_typeES7_S7_S7_S7_S7_S7_S7_EENS1_3tagENS0_11use_defaultESA_EENS0_6detail16wrapped_functionINSC_23allocator_traits_detail24construct1_via_allocatorINSC_18no_throw_allocatorINSC_19temporary_allocatorIS8_S9_EEEEEEvEEEEmLj1EEEvT0_T1_SO_, .Lfunc_end444-_ZN6thrust23THRUST_200600_302600_NS11hip_rocprim14__parallel_for6kernelILj256ENS1_10for_each_fINS0_7pointerINS0_5tupleIblNS0_9null_typeES7_S7_S7_S7_S7_S7_S7_EENS1_3tagENS0_11use_defaultESA_EENS0_6detail16wrapped_functionINSC_23allocator_traits_detail24construct1_via_allocatorINSC_18no_throw_allocatorINSC_19temporary_allocatorIS8_S9_EEEEEEvEEEEmLj1EEEvT0_T1_SO_
                                        ; -- End function
	.section	.AMDGPU.csdata,"",@progbits
; Kernel info:
; codeLenInByte = 252
; NumSgprs: 18
; NumVgprs: 5
; ScratchSize: 0
; MemoryBound: 0
; FloatMode: 240
; IeeeMode: 1
; LDSByteSize: 0 bytes/workgroup (compile time only)
; SGPRBlocks: 2
; VGPRBlocks: 0
; NumSGPRsForWavesPerEU: 18
; NumVGPRsForWavesPerEU: 5
; Occupancy: 16
; WaveLimiterHint : 0
; COMPUTE_PGM_RSRC2:SCRATCH_EN: 0
; COMPUTE_PGM_RSRC2:USER_SGPR: 15
; COMPUTE_PGM_RSRC2:TRAP_HANDLER: 0
; COMPUTE_PGM_RSRC2:TGID_X_EN: 1
; COMPUTE_PGM_RSRC2:TGID_Y_EN: 0
; COMPUTE_PGM_RSRC2:TGID_Z_EN: 0
; COMPUTE_PGM_RSRC2:TIDIG_COMP_CNT: 0
	.section	.text._ZN6thrust23THRUST_200600_302600_NS11hip_rocprim14__parallel_for6kernelILj256ENS1_10for_each_fINS0_7pointerINS0_5tupleIblNS0_9null_typeES7_S7_S7_S7_S7_S7_S7_EENS1_3tagENS0_11use_defaultESA_EENS0_6detail16wrapped_functionINSC_23allocator_traits_detail5gozerEvEEEElLj1EEEvT0_T1_SJ_,"axG",@progbits,_ZN6thrust23THRUST_200600_302600_NS11hip_rocprim14__parallel_for6kernelILj256ENS1_10for_each_fINS0_7pointerINS0_5tupleIblNS0_9null_typeES7_S7_S7_S7_S7_S7_S7_EENS1_3tagENS0_11use_defaultESA_EENS0_6detail16wrapped_functionINSC_23allocator_traits_detail5gozerEvEEEElLj1EEEvT0_T1_SJ_,comdat
	.protected	_ZN6thrust23THRUST_200600_302600_NS11hip_rocprim14__parallel_for6kernelILj256ENS1_10for_each_fINS0_7pointerINS0_5tupleIblNS0_9null_typeES7_S7_S7_S7_S7_S7_S7_EENS1_3tagENS0_11use_defaultESA_EENS0_6detail16wrapped_functionINSC_23allocator_traits_detail5gozerEvEEEElLj1EEEvT0_T1_SJ_ ; -- Begin function _ZN6thrust23THRUST_200600_302600_NS11hip_rocprim14__parallel_for6kernelILj256ENS1_10for_each_fINS0_7pointerINS0_5tupleIblNS0_9null_typeES7_S7_S7_S7_S7_S7_S7_EENS1_3tagENS0_11use_defaultESA_EENS0_6detail16wrapped_functionINSC_23allocator_traits_detail5gozerEvEEEElLj1EEEvT0_T1_SJ_
	.globl	_ZN6thrust23THRUST_200600_302600_NS11hip_rocprim14__parallel_for6kernelILj256ENS1_10for_each_fINS0_7pointerINS0_5tupleIblNS0_9null_typeES7_S7_S7_S7_S7_S7_S7_EENS1_3tagENS0_11use_defaultESA_EENS0_6detail16wrapped_functionINSC_23allocator_traits_detail5gozerEvEEEElLj1EEEvT0_T1_SJ_
	.p2align	8
	.type	_ZN6thrust23THRUST_200600_302600_NS11hip_rocprim14__parallel_for6kernelILj256ENS1_10for_each_fINS0_7pointerINS0_5tupleIblNS0_9null_typeES7_S7_S7_S7_S7_S7_S7_EENS1_3tagENS0_11use_defaultESA_EENS0_6detail16wrapped_functionINSC_23allocator_traits_detail5gozerEvEEEElLj1EEEvT0_T1_SJ_,@function
_ZN6thrust23THRUST_200600_302600_NS11hip_rocprim14__parallel_for6kernelILj256ENS1_10for_each_fINS0_7pointerINS0_5tupleIblNS0_9null_typeES7_S7_S7_S7_S7_S7_S7_EENS1_3tagENS0_11use_defaultESA_EENS0_6detail16wrapped_functionINSC_23allocator_traits_detail5gozerEvEEEElLj1EEEvT0_T1_SJ_: ; @_ZN6thrust23THRUST_200600_302600_NS11hip_rocprim14__parallel_for6kernelILj256ENS1_10for_each_fINS0_7pointerINS0_5tupleIblNS0_9null_typeES7_S7_S7_S7_S7_S7_S7_EENS1_3tagENS0_11use_defaultESA_EENS0_6detail16wrapped_functionINSC_23allocator_traits_detail5gozerEvEEEElLj1EEEvT0_T1_SJ_
; %bb.0:
	s_endpgm
	.section	.rodata,"a",@progbits
	.p2align	6, 0x0
	.amdhsa_kernel _ZN6thrust23THRUST_200600_302600_NS11hip_rocprim14__parallel_for6kernelILj256ENS1_10for_each_fINS0_7pointerINS0_5tupleIblNS0_9null_typeES7_S7_S7_S7_S7_S7_S7_EENS1_3tagENS0_11use_defaultESA_EENS0_6detail16wrapped_functionINSC_23allocator_traits_detail5gozerEvEEEElLj1EEEvT0_T1_SJ_
		.amdhsa_group_segment_fixed_size 0
		.amdhsa_private_segment_fixed_size 0
		.amdhsa_kernarg_size 32
		.amdhsa_user_sgpr_count 15
		.amdhsa_user_sgpr_dispatch_ptr 0
		.amdhsa_user_sgpr_queue_ptr 0
		.amdhsa_user_sgpr_kernarg_segment_ptr 1
		.amdhsa_user_sgpr_dispatch_id 0
		.amdhsa_user_sgpr_private_segment_size 0
		.amdhsa_wavefront_size32 1
		.amdhsa_uses_dynamic_stack 0
		.amdhsa_enable_private_segment 0
		.amdhsa_system_sgpr_workgroup_id_x 1
		.amdhsa_system_sgpr_workgroup_id_y 0
		.amdhsa_system_sgpr_workgroup_id_z 0
		.amdhsa_system_sgpr_workgroup_info 0
		.amdhsa_system_vgpr_workitem_id 0
		.amdhsa_next_free_vgpr 1
		.amdhsa_next_free_sgpr 1
		.amdhsa_reserve_vcc 0
		.amdhsa_float_round_mode_32 0
		.amdhsa_float_round_mode_16_64 0
		.amdhsa_float_denorm_mode_32 3
		.amdhsa_float_denorm_mode_16_64 3
		.amdhsa_dx10_clamp 1
		.amdhsa_ieee_mode 1
		.amdhsa_fp16_overflow 0
		.amdhsa_workgroup_processor_mode 1
		.amdhsa_memory_ordered 1
		.amdhsa_forward_progress 0
		.amdhsa_shared_vgpr_count 0
		.amdhsa_exception_fp_ieee_invalid_op 0
		.amdhsa_exception_fp_denorm_src 0
		.amdhsa_exception_fp_ieee_div_zero 0
		.amdhsa_exception_fp_ieee_overflow 0
		.amdhsa_exception_fp_ieee_underflow 0
		.amdhsa_exception_fp_ieee_inexact 0
		.amdhsa_exception_int_div_zero 0
	.end_amdhsa_kernel
	.section	.text._ZN6thrust23THRUST_200600_302600_NS11hip_rocprim14__parallel_for6kernelILj256ENS1_10for_each_fINS0_7pointerINS0_5tupleIblNS0_9null_typeES7_S7_S7_S7_S7_S7_S7_EENS1_3tagENS0_11use_defaultESA_EENS0_6detail16wrapped_functionINSC_23allocator_traits_detail5gozerEvEEEElLj1EEEvT0_T1_SJ_,"axG",@progbits,_ZN6thrust23THRUST_200600_302600_NS11hip_rocprim14__parallel_for6kernelILj256ENS1_10for_each_fINS0_7pointerINS0_5tupleIblNS0_9null_typeES7_S7_S7_S7_S7_S7_S7_EENS1_3tagENS0_11use_defaultESA_EENS0_6detail16wrapped_functionINSC_23allocator_traits_detail5gozerEvEEEElLj1EEEvT0_T1_SJ_,comdat
.Lfunc_end445:
	.size	_ZN6thrust23THRUST_200600_302600_NS11hip_rocprim14__parallel_for6kernelILj256ENS1_10for_each_fINS0_7pointerINS0_5tupleIblNS0_9null_typeES7_S7_S7_S7_S7_S7_S7_EENS1_3tagENS0_11use_defaultESA_EENS0_6detail16wrapped_functionINSC_23allocator_traits_detail5gozerEvEEEElLj1EEEvT0_T1_SJ_, .Lfunc_end445-_ZN6thrust23THRUST_200600_302600_NS11hip_rocprim14__parallel_for6kernelILj256ENS1_10for_each_fINS0_7pointerINS0_5tupleIblNS0_9null_typeES7_S7_S7_S7_S7_S7_S7_EENS1_3tagENS0_11use_defaultESA_EENS0_6detail16wrapped_functionINSC_23allocator_traits_detail5gozerEvEEEElLj1EEEvT0_T1_SJ_
                                        ; -- End function
	.section	.AMDGPU.csdata,"",@progbits
; Kernel info:
; codeLenInByte = 4
; NumSgprs: 0
; NumVgprs: 0
; ScratchSize: 0
; MemoryBound: 0
; FloatMode: 240
; IeeeMode: 1
; LDSByteSize: 0 bytes/workgroup (compile time only)
; SGPRBlocks: 0
; VGPRBlocks: 0
; NumSGPRsForWavesPerEU: 1
; NumVGPRsForWavesPerEU: 1
; Occupancy: 16
; WaveLimiterHint : 0
; COMPUTE_PGM_RSRC2:SCRATCH_EN: 0
; COMPUTE_PGM_RSRC2:USER_SGPR: 15
; COMPUTE_PGM_RSRC2:TRAP_HANDLER: 0
; COMPUTE_PGM_RSRC2:TGID_X_EN: 1
; COMPUTE_PGM_RSRC2:TGID_Y_EN: 0
; COMPUTE_PGM_RSRC2:TGID_Z_EN: 0
; COMPUTE_PGM_RSRC2:TIDIG_COMP_CNT: 0
	.section	.text._ZN6thrust23THRUST_200600_302600_NS11hip_rocprim14__parallel_for6kernelILj256ENS1_20__uninitialized_copy7functorIPNS0_5tupleIblNS0_9null_typeES7_S7_S7_S7_S7_S7_S7_EENS0_7pointerIS8_NS1_3tagENS0_11use_defaultESC_EEEEmLj1EEEvT0_T1_SG_,"axG",@progbits,_ZN6thrust23THRUST_200600_302600_NS11hip_rocprim14__parallel_for6kernelILj256ENS1_20__uninitialized_copy7functorIPNS0_5tupleIblNS0_9null_typeES7_S7_S7_S7_S7_S7_S7_EENS0_7pointerIS8_NS1_3tagENS0_11use_defaultESC_EEEEmLj1EEEvT0_T1_SG_,comdat
	.protected	_ZN6thrust23THRUST_200600_302600_NS11hip_rocprim14__parallel_for6kernelILj256ENS1_20__uninitialized_copy7functorIPNS0_5tupleIblNS0_9null_typeES7_S7_S7_S7_S7_S7_S7_EENS0_7pointerIS8_NS1_3tagENS0_11use_defaultESC_EEEEmLj1EEEvT0_T1_SG_ ; -- Begin function _ZN6thrust23THRUST_200600_302600_NS11hip_rocprim14__parallel_for6kernelILj256ENS1_20__uninitialized_copy7functorIPNS0_5tupleIblNS0_9null_typeES7_S7_S7_S7_S7_S7_S7_EENS0_7pointerIS8_NS1_3tagENS0_11use_defaultESC_EEEEmLj1EEEvT0_T1_SG_
	.globl	_ZN6thrust23THRUST_200600_302600_NS11hip_rocprim14__parallel_for6kernelILj256ENS1_20__uninitialized_copy7functorIPNS0_5tupleIblNS0_9null_typeES7_S7_S7_S7_S7_S7_S7_EENS0_7pointerIS8_NS1_3tagENS0_11use_defaultESC_EEEEmLj1EEEvT0_T1_SG_
	.p2align	8
	.type	_ZN6thrust23THRUST_200600_302600_NS11hip_rocprim14__parallel_for6kernelILj256ENS1_20__uninitialized_copy7functorIPNS0_5tupleIblNS0_9null_typeES7_S7_S7_S7_S7_S7_S7_EENS0_7pointerIS8_NS1_3tagENS0_11use_defaultESC_EEEEmLj1EEEvT0_T1_SG_,@function
_ZN6thrust23THRUST_200600_302600_NS11hip_rocprim14__parallel_for6kernelILj256ENS1_20__uninitialized_copy7functorIPNS0_5tupleIblNS0_9null_typeES7_S7_S7_S7_S7_S7_S7_EENS0_7pointerIS8_NS1_3tagENS0_11use_defaultESC_EEEEmLj1EEEvT0_T1_SG_: ; @_ZN6thrust23THRUST_200600_302600_NS11hip_rocprim14__parallel_for6kernelILj256ENS1_20__uninitialized_copy7functorIPNS0_5tupleIblNS0_9null_typeES7_S7_S7_S7_S7_S7_S7_EENS0_7pointerIS8_NS1_3tagENS0_11use_defaultESC_EEEEmLj1EEEvT0_T1_SG_
; %bb.0:
	s_load_b256 s[0:7], s[0:1], 0x0
	s_lshl_b32 s8, s15, 8
	s_waitcnt lgkmcnt(0)
	s_add_u32 s6, s8, s6
	s_addc_u32 s7, 0, s7
	s_sub_u32 s4, s4, s6
	s_subb_u32 s5, s5, s7
	s_delay_alu instid0(SALU_CYCLE_1) | instskip(NEXT) | instid1(VALU_DEP_1)
	v_cmp_gt_u64_e64 s5, 0x100, s[4:5]
	s_and_b32 vcc_lo, exec_lo, s5
	s_mov_b32 s5, -1
	s_cbranch_vccnz .LBB446_3
; %bb.1:
	s_and_not1_b32 vcc_lo, exec_lo, s5
	s_cbranch_vccz .LBB446_6
.LBB446_2:
	s_endpgm
.LBB446_3:
	v_cmp_gt_u32_e32 vcc_lo, s4, v0
	s_and_saveexec_b32 s4, vcc_lo
	s_cbranch_execz .LBB446_5
; %bb.4:
	v_add_co_u32 v1, s5, s6, v0
	s_delay_alu instid0(VALU_DEP_1) | instskip(NEXT) | instid1(VALU_DEP_1)
	v_add_co_ci_u32_e64 v2, null, s7, 0, s5
	v_lshlrev_b64 v[5:6], 4, v[1:2]
	s_delay_alu instid0(VALU_DEP_1) | instskip(NEXT) | instid1(VALU_DEP_2)
	v_add_co_u32 v1, vcc_lo, s0, v5
	v_add_co_ci_u32_e32 v2, vcc_lo, s1, v6, vcc_lo
	v_add_co_u32 v5, vcc_lo, s2, v5
	v_add_co_ci_u32_e32 v6, vcc_lo, s3, v6, vcc_lo
	global_load_b128 v[1:4], v[1:2], off
	s_waitcnt vmcnt(0)
	flat_store_b128 v[5:6], v[1:4]
.LBB446_5:
	s_or_b32 exec_lo, exec_lo, s4
	s_cbranch_execnz .LBB446_2
.LBB446_6:
	v_add_co_u32 v0, s4, s6, v0
	s_delay_alu instid0(VALU_DEP_1) | instskip(NEXT) | instid1(VALU_DEP_1)
	v_add_co_ci_u32_e64 v1, null, s7, 0, s4
	v_lshlrev_b64 v[4:5], 4, v[0:1]
	s_delay_alu instid0(VALU_DEP_1) | instskip(NEXT) | instid1(VALU_DEP_2)
	v_add_co_u32 v0, vcc_lo, s0, v4
	v_add_co_ci_u32_e32 v1, vcc_lo, s1, v5, vcc_lo
	v_add_co_u32 v4, vcc_lo, s2, v4
	v_add_co_ci_u32_e32 v5, vcc_lo, s3, v5, vcc_lo
	global_load_b128 v[0:3], v[0:1], off
	s_waitcnt vmcnt(0)
	flat_store_b128 v[4:5], v[0:3]
	s_endpgm
	.section	.rodata,"a",@progbits
	.p2align	6, 0x0
	.amdhsa_kernel _ZN6thrust23THRUST_200600_302600_NS11hip_rocprim14__parallel_for6kernelILj256ENS1_20__uninitialized_copy7functorIPNS0_5tupleIblNS0_9null_typeES7_S7_S7_S7_S7_S7_S7_EENS0_7pointerIS8_NS1_3tagENS0_11use_defaultESC_EEEEmLj1EEEvT0_T1_SG_
		.amdhsa_group_segment_fixed_size 0
		.amdhsa_private_segment_fixed_size 0
		.amdhsa_kernarg_size 32
		.amdhsa_user_sgpr_count 15
		.amdhsa_user_sgpr_dispatch_ptr 0
		.amdhsa_user_sgpr_queue_ptr 0
		.amdhsa_user_sgpr_kernarg_segment_ptr 1
		.amdhsa_user_sgpr_dispatch_id 0
		.amdhsa_user_sgpr_private_segment_size 0
		.amdhsa_wavefront_size32 1
		.amdhsa_uses_dynamic_stack 0
		.amdhsa_enable_private_segment 0
		.amdhsa_system_sgpr_workgroup_id_x 1
		.amdhsa_system_sgpr_workgroup_id_y 0
		.amdhsa_system_sgpr_workgroup_id_z 0
		.amdhsa_system_sgpr_workgroup_info 0
		.amdhsa_system_vgpr_workitem_id 0
		.amdhsa_next_free_vgpr 7
		.amdhsa_next_free_sgpr 16
		.amdhsa_reserve_vcc 1
		.amdhsa_float_round_mode_32 0
		.amdhsa_float_round_mode_16_64 0
		.amdhsa_float_denorm_mode_32 3
		.amdhsa_float_denorm_mode_16_64 3
		.amdhsa_dx10_clamp 1
		.amdhsa_ieee_mode 1
		.amdhsa_fp16_overflow 0
		.amdhsa_workgroup_processor_mode 1
		.amdhsa_memory_ordered 1
		.amdhsa_forward_progress 0
		.amdhsa_shared_vgpr_count 0
		.amdhsa_exception_fp_ieee_invalid_op 0
		.amdhsa_exception_fp_denorm_src 0
		.amdhsa_exception_fp_ieee_div_zero 0
		.amdhsa_exception_fp_ieee_overflow 0
		.amdhsa_exception_fp_ieee_underflow 0
		.amdhsa_exception_fp_ieee_inexact 0
		.amdhsa_exception_int_div_zero 0
	.end_amdhsa_kernel
	.section	.text._ZN6thrust23THRUST_200600_302600_NS11hip_rocprim14__parallel_for6kernelILj256ENS1_20__uninitialized_copy7functorIPNS0_5tupleIblNS0_9null_typeES7_S7_S7_S7_S7_S7_S7_EENS0_7pointerIS8_NS1_3tagENS0_11use_defaultESC_EEEEmLj1EEEvT0_T1_SG_,"axG",@progbits,_ZN6thrust23THRUST_200600_302600_NS11hip_rocprim14__parallel_for6kernelILj256ENS1_20__uninitialized_copy7functorIPNS0_5tupleIblNS0_9null_typeES7_S7_S7_S7_S7_S7_S7_EENS0_7pointerIS8_NS1_3tagENS0_11use_defaultESC_EEEEmLj1EEEvT0_T1_SG_,comdat
.Lfunc_end446:
	.size	_ZN6thrust23THRUST_200600_302600_NS11hip_rocprim14__parallel_for6kernelILj256ENS1_20__uninitialized_copy7functorIPNS0_5tupleIblNS0_9null_typeES7_S7_S7_S7_S7_S7_S7_EENS0_7pointerIS8_NS1_3tagENS0_11use_defaultESC_EEEEmLj1EEEvT0_T1_SG_, .Lfunc_end446-_ZN6thrust23THRUST_200600_302600_NS11hip_rocprim14__parallel_for6kernelILj256ENS1_20__uninitialized_copy7functorIPNS0_5tupleIblNS0_9null_typeES7_S7_S7_S7_S7_S7_S7_EENS0_7pointerIS8_NS1_3tagENS0_11use_defaultESC_EEEEmLj1EEEvT0_T1_SG_
                                        ; -- End function
	.section	.AMDGPU.csdata,"",@progbits
; Kernel info:
; codeLenInByte = 248
; NumSgprs: 18
; NumVgprs: 7
; ScratchSize: 0
; MemoryBound: 0
; FloatMode: 240
; IeeeMode: 1
; LDSByteSize: 0 bytes/workgroup (compile time only)
; SGPRBlocks: 2
; VGPRBlocks: 0
; NumSGPRsForWavesPerEU: 18
; NumVGPRsForWavesPerEU: 7
; Occupancy: 16
; WaveLimiterHint : 0
; COMPUTE_PGM_RSRC2:SCRATCH_EN: 0
; COMPUTE_PGM_RSRC2:USER_SGPR: 15
; COMPUTE_PGM_RSRC2:TRAP_HANDLER: 0
; COMPUTE_PGM_RSRC2:TGID_X_EN: 1
; COMPUTE_PGM_RSRC2:TGID_Y_EN: 0
; COMPUTE_PGM_RSRC2:TGID_Z_EN: 0
; COMPUTE_PGM_RSRC2:TIDIG_COMP_CNT: 0
	.section	.text._ZN7rocprim17ROCPRIM_400000_NS6detail17trampoline_kernelINS0_14default_configENS1_22reduce_config_selectorIN6thrust23THRUST_200600_302600_NS5tupleIblNS6_9null_typeES8_S8_S8_S8_S8_S8_S8_EEEEZNS1_11reduce_implILb1ES3_NS6_12zip_iteratorINS7_INS6_11hip_rocprim26transform_input_iterator_tIbNSD_35transform_pair_of_input_iterators_tIbNS6_6detail15normal_iteratorINS6_10device_ptrIKfEEEESL_NS6_8equal_toIfEEEENSG_9not_fun_tINSD_8identityEEEEENSD_19counting_iterator_tIlEES8_S8_S8_S8_S8_S8_S8_S8_EEEEPS9_S9_NSD_9__find_if7functorIS9_EEEE10hipError_tPvRmT1_T2_T3_mT4_P12ihipStream_tbEUlT_E0_NS1_11comp_targetILNS1_3genE0ELNS1_11target_archE4294967295ELNS1_3gpuE0ELNS1_3repE0EEENS1_30default_config_static_selectorELNS0_4arch9wavefront6targetE0EEEvS14_,"axG",@progbits,_ZN7rocprim17ROCPRIM_400000_NS6detail17trampoline_kernelINS0_14default_configENS1_22reduce_config_selectorIN6thrust23THRUST_200600_302600_NS5tupleIblNS6_9null_typeES8_S8_S8_S8_S8_S8_S8_EEEEZNS1_11reduce_implILb1ES3_NS6_12zip_iteratorINS7_INS6_11hip_rocprim26transform_input_iterator_tIbNSD_35transform_pair_of_input_iterators_tIbNS6_6detail15normal_iteratorINS6_10device_ptrIKfEEEESL_NS6_8equal_toIfEEEENSG_9not_fun_tINSD_8identityEEEEENSD_19counting_iterator_tIlEES8_S8_S8_S8_S8_S8_S8_S8_EEEEPS9_S9_NSD_9__find_if7functorIS9_EEEE10hipError_tPvRmT1_T2_T3_mT4_P12ihipStream_tbEUlT_E0_NS1_11comp_targetILNS1_3genE0ELNS1_11target_archE4294967295ELNS1_3gpuE0ELNS1_3repE0EEENS1_30default_config_static_selectorELNS0_4arch9wavefront6targetE0EEEvS14_,comdat
	.protected	_ZN7rocprim17ROCPRIM_400000_NS6detail17trampoline_kernelINS0_14default_configENS1_22reduce_config_selectorIN6thrust23THRUST_200600_302600_NS5tupleIblNS6_9null_typeES8_S8_S8_S8_S8_S8_S8_EEEEZNS1_11reduce_implILb1ES3_NS6_12zip_iteratorINS7_INS6_11hip_rocprim26transform_input_iterator_tIbNSD_35transform_pair_of_input_iterators_tIbNS6_6detail15normal_iteratorINS6_10device_ptrIKfEEEESL_NS6_8equal_toIfEEEENSG_9not_fun_tINSD_8identityEEEEENSD_19counting_iterator_tIlEES8_S8_S8_S8_S8_S8_S8_S8_EEEEPS9_S9_NSD_9__find_if7functorIS9_EEEE10hipError_tPvRmT1_T2_T3_mT4_P12ihipStream_tbEUlT_E0_NS1_11comp_targetILNS1_3genE0ELNS1_11target_archE4294967295ELNS1_3gpuE0ELNS1_3repE0EEENS1_30default_config_static_selectorELNS0_4arch9wavefront6targetE0EEEvS14_ ; -- Begin function _ZN7rocprim17ROCPRIM_400000_NS6detail17trampoline_kernelINS0_14default_configENS1_22reduce_config_selectorIN6thrust23THRUST_200600_302600_NS5tupleIblNS6_9null_typeES8_S8_S8_S8_S8_S8_S8_EEEEZNS1_11reduce_implILb1ES3_NS6_12zip_iteratorINS7_INS6_11hip_rocprim26transform_input_iterator_tIbNSD_35transform_pair_of_input_iterators_tIbNS6_6detail15normal_iteratorINS6_10device_ptrIKfEEEESL_NS6_8equal_toIfEEEENSG_9not_fun_tINSD_8identityEEEEENSD_19counting_iterator_tIlEES8_S8_S8_S8_S8_S8_S8_S8_EEEEPS9_S9_NSD_9__find_if7functorIS9_EEEE10hipError_tPvRmT1_T2_T3_mT4_P12ihipStream_tbEUlT_E0_NS1_11comp_targetILNS1_3genE0ELNS1_11target_archE4294967295ELNS1_3gpuE0ELNS1_3repE0EEENS1_30default_config_static_selectorELNS0_4arch9wavefront6targetE0EEEvS14_
	.globl	_ZN7rocprim17ROCPRIM_400000_NS6detail17trampoline_kernelINS0_14default_configENS1_22reduce_config_selectorIN6thrust23THRUST_200600_302600_NS5tupleIblNS6_9null_typeES8_S8_S8_S8_S8_S8_S8_EEEEZNS1_11reduce_implILb1ES3_NS6_12zip_iteratorINS7_INS6_11hip_rocprim26transform_input_iterator_tIbNSD_35transform_pair_of_input_iterators_tIbNS6_6detail15normal_iteratorINS6_10device_ptrIKfEEEESL_NS6_8equal_toIfEEEENSG_9not_fun_tINSD_8identityEEEEENSD_19counting_iterator_tIlEES8_S8_S8_S8_S8_S8_S8_S8_EEEEPS9_S9_NSD_9__find_if7functorIS9_EEEE10hipError_tPvRmT1_T2_T3_mT4_P12ihipStream_tbEUlT_E0_NS1_11comp_targetILNS1_3genE0ELNS1_11target_archE4294967295ELNS1_3gpuE0ELNS1_3repE0EEENS1_30default_config_static_selectorELNS0_4arch9wavefront6targetE0EEEvS14_
	.p2align	8
	.type	_ZN7rocprim17ROCPRIM_400000_NS6detail17trampoline_kernelINS0_14default_configENS1_22reduce_config_selectorIN6thrust23THRUST_200600_302600_NS5tupleIblNS6_9null_typeES8_S8_S8_S8_S8_S8_S8_EEEEZNS1_11reduce_implILb1ES3_NS6_12zip_iteratorINS7_INS6_11hip_rocprim26transform_input_iterator_tIbNSD_35transform_pair_of_input_iterators_tIbNS6_6detail15normal_iteratorINS6_10device_ptrIKfEEEESL_NS6_8equal_toIfEEEENSG_9not_fun_tINSD_8identityEEEEENSD_19counting_iterator_tIlEES8_S8_S8_S8_S8_S8_S8_S8_EEEEPS9_S9_NSD_9__find_if7functorIS9_EEEE10hipError_tPvRmT1_T2_T3_mT4_P12ihipStream_tbEUlT_E0_NS1_11comp_targetILNS1_3genE0ELNS1_11target_archE4294967295ELNS1_3gpuE0ELNS1_3repE0EEENS1_30default_config_static_selectorELNS0_4arch9wavefront6targetE0EEEvS14_,@function
_ZN7rocprim17ROCPRIM_400000_NS6detail17trampoline_kernelINS0_14default_configENS1_22reduce_config_selectorIN6thrust23THRUST_200600_302600_NS5tupleIblNS6_9null_typeES8_S8_S8_S8_S8_S8_S8_EEEEZNS1_11reduce_implILb1ES3_NS6_12zip_iteratorINS7_INS6_11hip_rocprim26transform_input_iterator_tIbNSD_35transform_pair_of_input_iterators_tIbNS6_6detail15normal_iteratorINS6_10device_ptrIKfEEEESL_NS6_8equal_toIfEEEENSG_9not_fun_tINSD_8identityEEEEENSD_19counting_iterator_tIlEES8_S8_S8_S8_S8_S8_S8_S8_EEEEPS9_S9_NSD_9__find_if7functorIS9_EEEE10hipError_tPvRmT1_T2_T3_mT4_P12ihipStream_tbEUlT_E0_NS1_11comp_targetILNS1_3genE0ELNS1_11target_archE4294967295ELNS1_3gpuE0ELNS1_3repE0EEENS1_30default_config_static_selectorELNS0_4arch9wavefront6targetE0EEEvS14_: ; @_ZN7rocprim17ROCPRIM_400000_NS6detail17trampoline_kernelINS0_14default_configENS1_22reduce_config_selectorIN6thrust23THRUST_200600_302600_NS5tupleIblNS6_9null_typeES8_S8_S8_S8_S8_S8_S8_EEEEZNS1_11reduce_implILb1ES3_NS6_12zip_iteratorINS7_INS6_11hip_rocprim26transform_input_iterator_tIbNSD_35transform_pair_of_input_iterators_tIbNS6_6detail15normal_iteratorINS6_10device_ptrIKfEEEESL_NS6_8equal_toIfEEEENSG_9not_fun_tINSD_8identityEEEEENSD_19counting_iterator_tIlEES8_S8_S8_S8_S8_S8_S8_S8_EEEEPS9_S9_NSD_9__find_if7functorIS9_EEEE10hipError_tPvRmT1_T2_T3_mT4_P12ihipStream_tbEUlT_E0_NS1_11comp_targetILNS1_3genE0ELNS1_11target_archE4294967295ELNS1_3gpuE0ELNS1_3repE0EEENS1_30default_config_static_selectorELNS0_4arch9wavefront6targetE0EEEvS14_
; %bb.0:
	.section	.rodata,"a",@progbits
	.p2align	6, 0x0
	.amdhsa_kernel _ZN7rocprim17ROCPRIM_400000_NS6detail17trampoline_kernelINS0_14default_configENS1_22reduce_config_selectorIN6thrust23THRUST_200600_302600_NS5tupleIblNS6_9null_typeES8_S8_S8_S8_S8_S8_S8_EEEEZNS1_11reduce_implILb1ES3_NS6_12zip_iteratorINS7_INS6_11hip_rocprim26transform_input_iterator_tIbNSD_35transform_pair_of_input_iterators_tIbNS6_6detail15normal_iteratorINS6_10device_ptrIKfEEEESL_NS6_8equal_toIfEEEENSG_9not_fun_tINSD_8identityEEEEENSD_19counting_iterator_tIlEES8_S8_S8_S8_S8_S8_S8_S8_EEEEPS9_S9_NSD_9__find_if7functorIS9_EEEE10hipError_tPvRmT1_T2_T3_mT4_P12ihipStream_tbEUlT_E0_NS1_11comp_targetILNS1_3genE0ELNS1_11target_archE4294967295ELNS1_3gpuE0ELNS1_3repE0EEENS1_30default_config_static_selectorELNS0_4arch9wavefront6targetE0EEEvS14_
		.amdhsa_group_segment_fixed_size 0
		.amdhsa_private_segment_fixed_size 0
		.amdhsa_kernarg_size 104
		.amdhsa_user_sgpr_count 15
		.amdhsa_user_sgpr_dispatch_ptr 0
		.amdhsa_user_sgpr_queue_ptr 0
		.amdhsa_user_sgpr_kernarg_segment_ptr 1
		.amdhsa_user_sgpr_dispatch_id 0
		.amdhsa_user_sgpr_private_segment_size 0
		.amdhsa_wavefront_size32 1
		.amdhsa_uses_dynamic_stack 0
		.amdhsa_enable_private_segment 0
		.amdhsa_system_sgpr_workgroup_id_x 1
		.amdhsa_system_sgpr_workgroup_id_y 0
		.amdhsa_system_sgpr_workgroup_id_z 0
		.amdhsa_system_sgpr_workgroup_info 0
		.amdhsa_system_vgpr_workitem_id 0
		.amdhsa_next_free_vgpr 1
		.amdhsa_next_free_sgpr 1
		.amdhsa_reserve_vcc 0
		.amdhsa_float_round_mode_32 0
		.amdhsa_float_round_mode_16_64 0
		.amdhsa_float_denorm_mode_32 3
		.amdhsa_float_denorm_mode_16_64 3
		.amdhsa_dx10_clamp 1
		.amdhsa_ieee_mode 1
		.amdhsa_fp16_overflow 0
		.amdhsa_workgroup_processor_mode 1
		.amdhsa_memory_ordered 1
		.amdhsa_forward_progress 0
		.amdhsa_shared_vgpr_count 0
		.amdhsa_exception_fp_ieee_invalid_op 0
		.amdhsa_exception_fp_denorm_src 0
		.amdhsa_exception_fp_ieee_div_zero 0
		.amdhsa_exception_fp_ieee_overflow 0
		.amdhsa_exception_fp_ieee_underflow 0
		.amdhsa_exception_fp_ieee_inexact 0
		.amdhsa_exception_int_div_zero 0
	.end_amdhsa_kernel
	.section	.text._ZN7rocprim17ROCPRIM_400000_NS6detail17trampoline_kernelINS0_14default_configENS1_22reduce_config_selectorIN6thrust23THRUST_200600_302600_NS5tupleIblNS6_9null_typeES8_S8_S8_S8_S8_S8_S8_EEEEZNS1_11reduce_implILb1ES3_NS6_12zip_iteratorINS7_INS6_11hip_rocprim26transform_input_iterator_tIbNSD_35transform_pair_of_input_iterators_tIbNS6_6detail15normal_iteratorINS6_10device_ptrIKfEEEESL_NS6_8equal_toIfEEEENSG_9not_fun_tINSD_8identityEEEEENSD_19counting_iterator_tIlEES8_S8_S8_S8_S8_S8_S8_S8_EEEEPS9_S9_NSD_9__find_if7functorIS9_EEEE10hipError_tPvRmT1_T2_T3_mT4_P12ihipStream_tbEUlT_E0_NS1_11comp_targetILNS1_3genE0ELNS1_11target_archE4294967295ELNS1_3gpuE0ELNS1_3repE0EEENS1_30default_config_static_selectorELNS0_4arch9wavefront6targetE0EEEvS14_,"axG",@progbits,_ZN7rocprim17ROCPRIM_400000_NS6detail17trampoline_kernelINS0_14default_configENS1_22reduce_config_selectorIN6thrust23THRUST_200600_302600_NS5tupleIblNS6_9null_typeES8_S8_S8_S8_S8_S8_S8_EEEEZNS1_11reduce_implILb1ES3_NS6_12zip_iteratorINS7_INS6_11hip_rocprim26transform_input_iterator_tIbNSD_35transform_pair_of_input_iterators_tIbNS6_6detail15normal_iteratorINS6_10device_ptrIKfEEEESL_NS6_8equal_toIfEEEENSG_9not_fun_tINSD_8identityEEEEENSD_19counting_iterator_tIlEES8_S8_S8_S8_S8_S8_S8_S8_EEEEPS9_S9_NSD_9__find_if7functorIS9_EEEE10hipError_tPvRmT1_T2_T3_mT4_P12ihipStream_tbEUlT_E0_NS1_11comp_targetILNS1_3genE0ELNS1_11target_archE4294967295ELNS1_3gpuE0ELNS1_3repE0EEENS1_30default_config_static_selectorELNS0_4arch9wavefront6targetE0EEEvS14_,comdat
.Lfunc_end447:
	.size	_ZN7rocprim17ROCPRIM_400000_NS6detail17trampoline_kernelINS0_14default_configENS1_22reduce_config_selectorIN6thrust23THRUST_200600_302600_NS5tupleIblNS6_9null_typeES8_S8_S8_S8_S8_S8_S8_EEEEZNS1_11reduce_implILb1ES3_NS6_12zip_iteratorINS7_INS6_11hip_rocprim26transform_input_iterator_tIbNSD_35transform_pair_of_input_iterators_tIbNS6_6detail15normal_iteratorINS6_10device_ptrIKfEEEESL_NS6_8equal_toIfEEEENSG_9not_fun_tINSD_8identityEEEEENSD_19counting_iterator_tIlEES8_S8_S8_S8_S8_S8_S8_S8_EEEEPS9_S9_NSD_9__find_if7functorIS9_EEEE10hipError_tPvRmT1_T2_T3_mT4_P12ihipStream_tbEUlT_E0_NS1_11comp_targetILNS1_3genE0ELNS1_11target_archE4294967295ELNS1_3gpuE0ELNS1_3repE0EEENS1_30default_config_static_selectorELNS0_4arch9wavefront6targetE0EEEvS14_, .Lfunc_end447-_ZN7rocprim17ROCPRIM_400000_NS6detail17trampoline_kernelINS0_14default_configENS1_22reduce_config_selectorIN6thrust23THRUST_200600_302600_NS5tupleIblNS6_9null_typeES8_S8_S8_S8_S8_S8_S8_EEEEZNS1_11reduce_implILb1ES3_NS6_12zip_iteratorINS7_INS6_11hip_rocprim26transform_input_iterator_tIbNSD_35transform_pair_of_input_iterators_tIbNS6_6detail15normal_iteratorINS6_10device_ptrIKfEEEESL_NS6_8equal_toIfEEEENSG_9not_fun_tINSD_8identityEEEEENSD_19counting_iterator_tIlEES8_S8_S8_S8_S8_S8_S8_S8_EEEEPS9_S9_NSD_9__find_if7functorIS9_EEEE10hipError_tPvRmT1_T2_T3_mT4_P12ihipStream_tbEUlT_E0_NS1_11comp_targetILNS1_3genE0ELNS1_11target_archE4294967295ELNS1_3gpuE0ELNS1_3repE0EEENS1_30default_config_static_selectorELNS0_4arch9wavefront6targetE0EEEvS14_
                                        ; -- End function
	.section	.AMDGPU.csdata,"",@progbits
; Kernel info:
; codeLenInByte = 0
; NumSgprs: 0
; NumVgprs: 0
; ScratchSize: 0
; MemoryBound: 0
; FloatMode: 240
; IeeeMode: 1
; LDSByteSize: 0 bytes/workgroup (compile time only)
; SGPRBlocks: 0
; VGPRBlocks: 0
; NumSGPRsForWavesPerEU: 1
; NumVGPRsForWavesPerEU: 1
; Occupancy: 16
; WaveLimiterHint : 0
; COMPUTE_PGM_RSRC2:SCRATCH_EN: 0
; COMPUTE_PGM_RSRC2:USER_SGPR: 15
; COMPUTE_PGM_RSRC2:TRAP_HANDLER: 0
; COMPUTE_PGM_RSRC2:TGID_X_EN: 1
; COMPUTE_PGM_RSRC2:TGID_Y_EN: 0
; COMPUTE_PGM_RSRC2:TGID_Z_EN: 0
; COMPUTE_PGM_RSRC2:TIDIG_COMP_CNT: 0
	.section	.text._ZN7rocprim17ROCPRIM_400000_NS6detail17trampoline_kernelINS0_14default_configENS1_22reduce_config_selectorIN6thrust23THRUST_200600_302600_NS5tupleIblNS6_9null_typeES8_S8_S8_S8_S8_S8_S8_EEEEZNS1_11reduce_implILb1ES3_NS6_12zip_iteratorINS7_INS6_11hip_rocprim26transform_input_iterator_tIbNSD_35transform_pair_of_input_iterators_tIbNS6_6detail15normal_iteratorINS6_10device_ptrIKfEEEESL_NS6_8equal_toIfEEEENSG_9not_fun_tINSD_8identityEEEEENSD_19counting_iterator_tIlEES8_S8_S8_S8_S8_S8_S8_S8_EEEEPS9_S9_NSD_9__find_if7functorIS9_EEEE10hipError_tPvRmT1_T2_T3_mT4_P12ihipStream_tbEUlT_E0_NS1_11comp_targetILNS1_3genE5ELNS1_11target_archE942ELNS1_3gpuE9ELNS1_3repE0EEENS1_30default_config_static_selectorELNS0_4arch9wavefront6targetE0EEEvS14_,"axG",@progbits,_ZN7rocprim17ROCPRIM_400000_NS6detail17trampoline_kernelINS0_14default_configENS1_22reduce_config_selectorIN6thrust23THRUST_200600_302600_NS5tupleIblNS6_9null_typeES8_S8_S8_S8_S8_S8_S8_EEEEZNS1_11reduce_implILb1ES3_NS6_12zip_iteratorINS7_INS6_11hip_rocprim26transform_input_iterator_tIbNSD_35transform_pair_of_input_iterators_tIbNS6_6detail15normal_iteratorINS6_10device_ptrIKfEEEESL_NS6_8equal_toIfEEEENSG_9not_fun_tINSD_8identityEEEEENSD_19counting_iterator_tIlEES8_S8_S8_S8_S8_S8_S8_S8_EEEEPS9_S9_NSD_9__find_if7functorIS9_EEEE10hipError_tPvRmT1_T2_T3_mT4_P12ihipStream_tbEUlT_E0_NS1_11comp_targetILNS1_3genE5ELNS1_11target_archE942ELNS1_3gpuE9ELNS1_3repE0EEENS1_30default_config_static_selectorELNS0_4arch9wavefront6targetE0EEEvS14_,comdat
	.protected	_ZN7rocprim17ROCPRIM_400000_NS6detail17trampoline_kernelINS0_14default_configENS1_22reduce_config_selectorIN6thrust23THRUST_200600_302600_NS5tupleIblNS6_9null_typeES8_S8_S8_S8_S8_S8_S8_EEEEZNS1_11reduce_implILb1ES3_NS6_12zip_iteratorINS7_INS6_11hip_rocprim26transform_input_iterator_tIbNSD_35transform_pair_of_input_iterators_tIbNS6_6detail15normal_iteratorINS6_10device_ptrIKfEEEESL_NS6_8equal_toIfEEEENSG_9not_fun_tINSD_8identityEEEEENSD_19counting_iterator_tIlEES8_S8_S8_S8_S8_S8_S8_S8_EEEEPS9_S9_NSD_9__find_if7functorIS9_EEEE10hipError_tPvRmT1_T2_T3_mT4_P12ihipStream_tbEUlT_E0_NS1_11comp_targetILNS1_3genE5ELNS1_11target_archE942ELNS1_3gpuE9ELNS1_3repE0EEENS1_30default_config_static_selectorELNS0_4arch9wavefront6targetE0EEEvS14_ ; -- Begin function _ZN7rocprim17ROCPRIM_400000_NS6detail17trampoline_kernelINS0_14default_configENS1_22reduce_config_selectorIN6thrust23THRUST_200600_302600_NS5tupleIblNS6_9null_typeES8_S8_S8_S8_S8_S8_S8_EEEEZNS1_11reduce_implILb1ES3_NS6_12zip_iteratorINS7_INS6_11hip_rocprim26transform_input_iterator_tIbNSD_35transform_pair_of_input_iterators_tIbNS6_6detail15normal_iteratorINS6_10device_ptrIKfEEEESL_NS6_8equal_toIfEEEENSG_9not_fun_tINSD_8identityEEEEENSD_19counting_iterator_tIlEES8_S8_S8_S8_S8_S8_S8_S8_EEEEPS9_S9_NSD_9__find_if7functorIS9_EEEE10hipError_tPvRmT1_T2_T3_mT4_P12ihipStream_tbEUlT_E0_NS1_11comp_targetILNS1_3genE5ELNS1_11target_archE942ELNS1_3gpuE9ELNS1_3repE0EEENS1_30default_config_static_selectorELNS0_4arch9wavefront6targetE0EEEvS14_
	.globl	_ZN7rocprim17ROCPRIM_400000_NS6detail17trampoline_kernelINS0_14default_configENS1_22reduce_config_selectorIN6thrust23THRUST_200600_302600_NS5tupleIblNS6_9null_typeES8_S8_S8_S8_S8_S8_S8_EEEEZNS1_11reduce_implILb1ES3_NS6_12zip_iteratorINS7_INS6_11hip_rocprim26transform_input_iterator_tIbNSD_35transform_pair_of_input_iterators_tIbNS6_6detail15normal_iteratorINS6_10device_ptrIKfEEEESL_NS6_8equal_toIfEEEENSG_9not_fun_tINSD_8identityEEEEENSD_19counting_iterator_tIlEES8_S8_S8_S8_S8_S8_S8_S8_EEEEPS9_S9_NSD_9__find_if7functorIS9_EEEE10hipError_tPvRmT1_T2_T3_mT4_P12ihipStream_tbEUlT_E0_NS1_11comp_targetILNS1_3genE5ELNS1_11target_archE942ELNS1_3gpuE9ELNS1_3repE0EEENS1_30default_config_static_selectorELNS0_4arch9wavefront6targetE0EEEvS14_
	.p2align	8
	.type	_ZN7rocprim17ROCPRIM_400000_NS6detail17trampoline_kernelINS0_14default_configENS1_22reduce_config_selectorIN6thrust23THRUST_200600_302600_NS5tupleIblNS6_9null_typeES8_S8_S8_S8_S8_S8_S8_EEEEZNS1_11reduce_implILb1ES3_NS6_12zip_iteratorINS7_INS6_11hip_rocprim26transform_input_iterator_tIbNSD_35transform_pair_of_input_iterators_tIbNS6_6detail15normal_iteratorINS6_10device_ptrIKfEEEESL_NS6_8equal_toIfEEEENSG_9not_fun_tINSD_8identityEEEEENSD_19counting_iterator_tIlEES8_S8_S8_S8_S8_S8_S8_S8_EEEEPS9_S9_NSD_9__find_if7functorIS9_EEEE10hipError_tPvRmT1_T2_T3_mT4_P12ihipStream_tbEUlT_E0_NS1_11comp_targetILNS1_3genE5ELNS1_11target_archE942ELNS1_3gpuE9ELNS1_3repE0EEENS1_30default_config_static_selectorELNS0_4arch9wavefront6targetE0EEEvS14_,@function
_ZN7rocprim17ROCPRIM_400000_NS6detail17trampoline_kernelINS0_14default_configENS1_22reduce_config_selectorIN6thrust23THRUST_200600_302600_NS5tupleIblNS6_9null_typeES8_S8_S8_S8_S8_S8_S8_EEEEZNS1_11reduce_implILb1ES3_NS6_12zip_iteratorINS7_INS6_11hip_rocprim26transform_input_iterator_tIbNSD_35transform_pair_of_input_iterators_tIbNS6_6detail15normal_iteratorINS6_10device_ptrIKfEEEESL_NS6_8equal_toIfEEEENSG_9not_fun_tINSD_8identityEEEEENSD_19counting_iterator_tIlEES8_S8_S8_S8_S8_S8_S8_S8_EEEEPS9_S9_NSD_9__find_if7functorIS9_EEEE10hipError_tPvRmT1_T2_T3_mT4_P12ihipStream_tbEUlT_E0_NS1_11comp_targetILNS1_3genE5ELNS1_11target_archE942ELNS1_3gpuE9ELNS1_3repE0EEENS1_30default_config_static_selectorELNS0_4arch9wavefront6targetE0EEEvS14_: ; @_ZN7rocprim17ROCPRIM_400000_NS6detail17trampoline_kernelINS0_14default_configENS1_22reduce_config_selectorIN6thrust23THRUST_200600_302600_NS5tupleIblNS6_9null_typeES8_S8_S8_S8_S8_S8_S8_EEEEZNS1_11reduce_implILb1ES3_NS6_12zip_iteratorINS7_INS6_11hip_rocprim26transform_input_iterator_tIbNSD_35transform_pair_of_input_iterators_tIbNS6_6detail15normal_iteratorINS6_10device_ptrIKfEEEESL_NS6_8equal_toIfEEEENSG_9not_fun_tINSD_8identityEEEEENSD_19counting_iterator_tIlEES8_S8_S8_S8_S8_S8_S8_S8_EEEEPS9_S9_NSD_9__find_if7functorIS9_EEEE10hipError_tPvRmT1_T2_T3_mT4_P12ihipStream_tbEUlT_E0_NS1_11comp_targetILNS1_3genE5ELNS1_11target_archE942ELNS1_3gpuE9ELNS1_3repE0EEENS1_30default_config_static_selectorELNS0_4arch9wavefront6targetE0EEEvS14_
; %bb.0:
	.section	.rodata,"a",@progbits
	.p2align	6, 0x0
	.amdhsa_kernel _ZN7rocprim17ROCPRIM_400000_NS6detail17trampoline_kernelINS0_14default_configENS1_22reduce_config_selectorIN6thrust23THRUST_200600_302600_NS5tupleIblNS6_9null_typeES8_S8_S8_S8_S8_S8_S8_EEEEZNS1_11reduce_implILb1ES3_NS6_12zip_iteratorINS7_INS6_11hip_rocprim26transform_input_iterator_tIbNSD_35transform_pair_of_input_iterators_tIbNS6_6detail15normal_iteratorINS6_10device_ptrIKfEEEESL_NS6_8equal_toIfEEEENSG_9not_fun_tINSD_8identityEEEEENSD_19counting_iterator_tIlEES8_S8_S8_S8_S8_S8_S8_S8_EEEEPS9_S9_NSD_9__find_if7functorIS9_EEEE10hipError_tPvRmT1_T2_T3_mT4_P12ihipStream_tbEUlT_E0_NS1_11comp_targetILNS1_3genE5ELNS1_11target_archE942ELNS1_3gpuE9ELNS1_3repE0EEENS1_30default_config_static_selectorELNS0_4arch9wavefront6targetE0EEEvS14_
		.amdhsa_group_segment_fixed_size 0
		.amdhsa_private_segment_fixed_size 0
		.amdhsa_kernarg_size 104
		.amdhsa_user_sgpr_count 15
		.amdhsa_user_sgpr_dispatch_ptr 0
		.amdhsa_user_sgpr_queue_ptr 0
		.amdhsa_user_sgpr_kernarg_segment_ptr 1
		.amdhsa_user_sgpr_dispatch_id 0
		.amdhsa_user_sgpr_private_segment_size 0
		.amdhsa_wavefront_size32 1
		.amdhsa_uses_dynamic_stack 0
		.amdhsa_enable_private_segment 0
		.amdhsa_system_sgpr_workgroup_id_x 1
		.amdhsa_system_sgpr_workgroup_id_y 0
		.amdhsa_system_sgpr_workgroup_id_z 0
		.amdhsa_system_sgpr_workgroup_info 0
		.amdhsa_system_vgpr_workitem_id 0
		.amdhsa_next_free_vgpr 1
		.amdhsa_next_free_sgpr 1
		.amdhsa_reserve_vcc 0
		.amdhsa_float_round_mode_32 0
		.amdhsa_float_round_mode_16_64 0
		.amdhsa_float_denorm_mode_32 3
		.amdhsa_float_denorm_mode_16_64 3
		.amdhsa_dx10_clamp 1
		.amdhsa_ieee_mode 1
		.amdhsa_fp16_overflow 0
		.amdhsa_workgroup_processor_mode 1
		.amdhsa_memory_ordered 1
		.amdhsa_forward_progress 0
		.amdhsa_shared_vgpr_count 0
		.amdhsa_exception_fp_ieee_invalid_op 0
		.amdhsa_exception_fp_denorm_src 0
		.amdhsa_exception_fp_ieee_div_zero 0
		.amdhsa_exception_fp_ieee_overflow 0
		.amdhsa_exception_fp_ieee_underflow 0
		.amdhsa_exception_fp_ieee_inexact 0
		.amdhsa_exception_int_div_zero 0
	.end_amdhsa_kernel
	.section	.text._ZN7rocprim17ROCPRIM_400000_NS6detail17trampoline_kernelINS0_14default_configENS1_22reduce_config_selectorIN6thrust23THRUST_200600_302600_NS5tupleIblNS6_9null_typeES8_S8_S8_S8_S8_S8_S8_EEEEZNS1_11reduce_implILb1ES3_NS6_12zip_iteratorINS7_INS6_11hip_rocprim26transform_input_iterator_tIbNSD_35transform_pair_of_input_iterators_tIbNS6_6detail15normal_iteratorINS6_10device_ptrIKfEEEESL_NS6_8equal_toIfEEEENSG_9not_fun_tINSD_8identityEEEEENSD_19counting_iterator_tIlEES8_S8_S8_S8_S8_S8_S8_S8_EEEEPS9_S9_NSD_9__find_if7functorIS9_EEEE10hipError_tPvRmT1_T2_T3_mT4_P12ihipStream_tbEUlT_E0_NS1_11comp_targetILNS1_3genE5ELNS1_11target_archE942ELNS1_3gpuE9ELNS1_3repE0EEENS1_30default_config_static_selectorELNS0_4arch9wavefront6targetE0EEEvS14_,"axG",@progbits,_ZN7rocprim17ROCPRIM_400000_NS6detail17trampoline_kernelINS0_14default_configENS1_22reduce_config_selectorIN6thrust23THRUST_200600_302600_NS5tupleIblNS6_9null_typeES8_S8_S8_S8_S8_S8_S8_EEEEZNS1_11reduce_implILb1ES3_NS6_12zip_iteratorINS7_INS6_11hip_rocprim26transform_input_iterator_tIbNSD_35transform_pair_of_input_iterators_tIbNS6_6detail15normal_iteratorINS6_10device_ptrIKfEEEESL_NS6_8equal_toIfEEEENSG_9not_fun_tINSD_8identityEEEEENSD_19counting_iterator_tIlEES8_S8_S8_S8_S8_S8_S8_S8_EEEEPS9_S9_NSD_9__find_if7functorIS9_EEEE10hipError_tPvRmT1_T2_T3_mT4_P12ihipStream_tbEUlT_E0_NS1_11comp_targetILNS1_3genE5ELNS1_11target_archE942ELNS1_3gpuE9ELNS1_3repE0EEENS1_30default_config_static_selectorELNS0_4arch9wavefront6targetE0EEEvS14_,comdat
.Lfunc_end448:
	.size	_ZN7rocprim17ROCPRIM_400000_NS6detail17trampoline_kernelINS0_14default_configENS1_22reduce_config_selectorIN6thrust23THRUST_200600_302600_NS5tupleIblNS6_9null_typeES8_S8_S8_S8_S8_S8_S8_EEEEZNS1_11reduce_implILb1ES3_NS6_12zip_iteratorINS7_INS6_11hip_rocprim26transform_input_iterator_tIbNSD_35transform_pair_of_input_iterators_tIbNS6_6detail15normal_iteratorINS6_10device_ptrIKfEEEESL_NS6_8equal_toIfEEEENSG_9not_fun_tINSD_8identityEEEEENSD_19counting_iterator_tIlEES8_S8_S8_S8_S8_S8_S8_S8_EEEEPS9_S9_NSD_9__find_if7functorIS9_EEEE10hipError_tPvRmT1_T2_T3_mT4_P12ihipStream_tbEUlT_E0_NS1_11comp_targetILNS1_3genE5ELNS1_11target_archE942ELNS1_3gpuE9ELNS1_3repE0EEENS1_30default_config_static_selectorELNS0_4arch9wavefront6targetE0EEEvS14_, .Lfunc_end448-_ZN7rocprim17ROCPRIM_400000_NS6detail17trampoline_kernelINS0_14default_configENS1_22reduce_config_selectorIN6thrust23THRUST_200600_302600_NS5tupleIblNS6_9null_typeES8_S8_S8_S8_S8_S8_S8_EEEEZNS1_11reduce_implILb1ES3_NS6_12zip_iteratorINS7_INS6_11hip_rocprim26transform_input_iterator_tIbNSD_35transform_pair_of_input_iterators_tIbNS6_6detail15normal_iteratorINS6_10device_ptrIKfEEEESL_NS6_8equal_toIfEEEENSG_9not_fun_tINSD_8identityEEEEENSD_19counting_iterator_tIlEES8_S8_S8_S8_S8_S8_S8_S8_EEEEPS9_S9_NSD_9__find_if7functorIS9_EEEE10hipError_tPvRmT1_T2_T3_mT4_P12ihipStream_tbEUlT_E0_NS1_11comp_targetILNS1_3genE5ELNS1_11target_archE942ELNS1_3gpuE9ELNS1_3repE0EEENS1_30default_config_static_selectorELNS0_4arch9wavefront6targetE0EEEvS14_
                                        ; -- End function
	.section	.AMDGPU.csdata,"",@progbits
; Kernel info:
; codeLenInByte = 0
; NumSgprs: 0
; NumVgprs: 0
; ScratchSize: 0
; MemoryBound: 0
; FloatMode: 240
; IeeeMode: 1
; LDSByteSize: 0 bytes/workgroup (compile time only)
; SGPRBlocks: 0
; VGPRBlocks: 0
; NumSGPRsForWavesPerEU: 1
; NumVGPRsForWavesPerEU: 1
; Occupancy: 16
; WaveLimiterHint : 0
; COMPUTE_PGM_RSRC2:SCRATCH_EN: 0
; COMPUTE_PGM_RSRC2:USER_SGPR: 15
; COMPUTE_PGM_RSRC2:TRAP_HANDLER: 0
; COMPUTE_PGM_RSRC2:TGID_X_EN: 1
; COMPUTE_PGM_RSRC2:TGID_Y_EN: 0
; COMPUTE_PGM_RSRC2:TGID_Z_EN: 0
; COMPUTE_PGM_RSRC2:TIDIG_COMP_CNT: 0
	.section	.text._ZN7rocprim17ROCPRIM_400000_NS6detail17trampoline_kernelINS0_14default_configENS1_22reduce_config_selectorIN6thrust23THRUST_200600_302600_NS5tupleIblNS6_9null_typeES8_S8_S8_S8_S8_S8_S8_EEEEZNS1_11reduce_implILb1ES3_NS6_12zip_iteratorINS7_INS6_11hip_rocprim26transform_input_iterator_tIbNSD_35transform_pair_of_input_iterators_tIbNS6_6detail15normal_iteratorINS6_10device_ptrIKfEEEESL_NS6_8equal_toIfEEEENSG_9not_fun_tINSD_8identityEEEEENSD_19counting_iterator_tIlEES8_S8_S8_S8_S8_S8_S8_S8_EEEEPS9_S9_NSD_9__find_if7functorIS9_EEEE10hipError_tPvRmT1_T2_T3_mT4_P12ihipStream_tbEUlT_E0_NS1_11comp_targetILNS1_3genE4ELNS1_11target_archE910ELNS1_3gpuE8ELNS1_3repE0EEENS1_30default_config_static_selectorELNS0_4arch9wavefront6targetE0EEEvS14_,"axG",@progbits,_ZN7rocprim17ROCPRIM_400000_NS6detail17trampoline_kernelINS0_14default_configENS1_22reduce_config_selectorIN6thrust23THRUST_200600_302600_NS5tupleIblNS6_9null_typeES8_S8_S8_S8_S8_S8_S8_EEEEZNS1_11reduce_implILb1ES3_NS6_12zip_iteratorINS7_INS6_11hip_rocprim26transform_input_iterator_tIbNSD_35transform_pair_of_input_iterators_tIbNS6_6detail15normal_iteratorINS6_10device_ptrIKfEEEESL_NS6_8equal_toIfEEEENSG_9not_fun_tINSD_8identityEEEEENSD_19counting_iterator_tIlEES8_S8_S8_S8_S8_S8_S8_S8_EEEEPS9_S9_NSD_9__find_if7functorIS9_EEEE10hipError_tPvRmT1_T2_T3_mT4_P12ihipStream_tbEUlT_E0_NS1_11comp_targetILNS1_3genE4ELNS1_11target_archE910ELNS1_3gpuE8ELNS1_3repE0EEENS1_30default_config_static_selectorELNS0_4arch9wavefront6targetE0EEEvS14_,comdat
	.protected	_ZN7rocprim17ROCPRIM_400000_NS6detail17trampoline_kernelINS0_14default_configENS1_22reduce_config_selectorIN6thrust23THRUST_200600_302600_NS5tupleIblNS6_9null_typeES8_S8_S8_S8_S8_S8_S8_EEEEZNS1_11reduce_implILb1ES3_NS6_12zip_iteratorINS7_INS6_11hip_rocprim26transform_input_iterator_tIbNSD_35transform_pair_of_input_iterators_tIbNS6_6detail15normal_iteratorINS6_10device_ptrIKfEEEESL_NS6_8equal_toIfEEEENSG_9not_fun_tINSD_8identityEEEEENSD_19counting_iterator_tIlEES8_S8_S8_S8_S8_S8_S8_S8_EEEEPS9_S9_NSD_9__find_if7functorIS9_EEEE10hipError_tPvRmT1_T2_T3_mT4_P12ihipStream_tbEUlT_E0_NS1_11comp_targetILNS1_3genE4ELNS1_11target_archE910ELNS1_3gpuE8ELNS1_3repE0EEENS1_30default_config_static_selectorELNS0_4arch9wavefront6targetE0EEEvS14_ ; -- Begin function _ZN7rocprim17ROCPRIM_400000_NS6detail17trampoline_kernelINS0_14default_configENS1_22reduce_config_selectorIN6thrust23THRUST_200600_302600_NS5tupleIblNS6_9null_typeES8_S8_S8_S8_S8_S8_S8_EEEEZNS1_11reduce_implILb1ES3_NS6_12zip_iteratorINS7_INS6_11hip_rocprim26transform_input_iterator_tIbNSD_35transform_pair_of_input_iterators_tIbNS6_6detail15normal_iteratorINS6_10device_ptrIKfEEEESL_NS6_8equal_toIfEEEENSG_9not_fun_tINSD_8identityEEEEENSD_19counting_iterator_tIlEES8_S8_S8_S8_S8_S8_S8_S8_EEEEPS9_S9_NSD_9__find_if7functorIS9_EEEE10hipError_tPvRmT1_T2_T3_mT4_P12ihipStream_tbEUlT_E0_NS1_11comp_targetILNS1_3genE4ELNS1_11target_archE910ELNS1_3gpuE8ELNS1_3repE0EEENS1_30default_config_static_selectorELNS0_4arch9wavefront6targetE0EEEvS14_
	.globl	_ZN7rocprim17ROCPRIM_400000_NS6detail17trampoline_kernelINS0_14default_configENS1_22reduce_config_selectorIN6thrust23THRUST_200600_302600_NS5tupleIblNS6_9null_typeES8_S8_S8_S8_S8_S8_S8_EEEEZNS1_11reduce_implILb1ES3_NS6_12zip_iteratorINS7_INS6_11hip_rocprim26transform_input_iterator_tIbNSD_35transform_pair_of_input_iterators_tIbNS6_6detail15normal_iteratorINS6_10device_ptrIKfEEEESL_NS6_8equal_toIfEEEENSG_9not_fun_tINSD_8identityEEEEENSD_19counting_iterator_tIlEES8_S8_S8_S8_S8_S8_S8_S8_EEEEPS9_S9_NSD_9__find_if7functorIS9_EEEE10hipError_tPvRmT1_T2_T3_mT4_P12ihipStream_tbEUlT_E0_NS1_11comp_targetILNS1_3genE4ELNS1_11target_archE910ELNS1_3gpuE8ELNS1_3repE0EEENS1_30default_config_static_selectorELNS0_4arch9wavefront6targetE0EEEvS14_
	.p2align	8
	.type	_ZN7rocprim17ROCPRIM_400000_NS6detail17trampoline_kernelINS0_14default_configENS1_22reduce_config_selectorIN6thrust23THRUST_200600_302600_NS5tupleIblNS6_9null_typeES8_S8_S8_S8_S8_S8_S8_EEEEZNS1_11reduce_implILb1ES3_NS6_12zip_iteratorINS7_INS6_11hip_rocprim26transform_input_iterator_tIbNSD_35transform_pair_of_input_iterators_tIbNS6_6detail15normal_iteratorINS6_10device_ptrIKfEEEESL_NS6_8equal_toIfEEEENSG_9not_fun_tINSD_8identityEEEEENSD_19counting_iterator_tIlEES8_S8_S8_S8_S8_S8_S8_S8_EEEEPS9_S9_NSD_9__find_if7functorIS9_EEEE10hipError_tPvRmT1_T2_T3_mT4_P12ihipStream_tbEUlT_E0_NS1_11comp_targetILNS1_3genE4ELNS1_11target_archE910ELNS1_3gpuE8ELNS1_3repE0EEENS1_30default_config_static_selectorELNS0_4arch9wavefront6targetE0EEEvS14_,@function
_ZN7rocprim17ROCPRIM_400000_NS6detail17trampoline_kernelINS0_14default_configENS1_22reduce_config_selectorIN6thrust23THRUST_200600_302600_NS5tupleIblNS6_9null_typeES8_S8_S8_S8_S8_S8_S8_EEEEZNS1_11reduce_implILb1ES3_NS6_12zip_iteratorINS7_INS6_11hip_rocprim26transform_input_iterator_tIbNSD_35transform_pair_of_input_iterators_tIbNS6_6detail15normal_iteratorINS6_10device_ptrIKfEEEESL_NS6_8equal_toIfEEEENSG_9not_fun_tINSD_8identityEEEEENSD_19counting_iterator_tIlEES8_S8_S8_S8_S8_S8_S8_S8_EEEEPS9_S9_NSD_9__find_if7functorIS9_EEEE10hipError_tPvRmT1_T2_T3_mT4_P12ihipStream_tbEUlT_E0_NS1_11comp_targetILNS1_3genE4ELNS1_11target_archE910ELNS1_3gpuE8ELNS1_3repE0EEENS1_30default_config_static_selectorELNS0_4arch9wavefront6targetE0EEEvS14_: ; @_ZN7rocprim17ROCPRIM_400000_NS6detail17trampoline_kernelINS0_14default_configENS1_22reduce_config_selectorIN6thrust23THRUST_200600_302600_NS5tupleIblNS6_9null_typeES8_S8_S8_S8_S8_S8_S8_EEEEZNS1_11reduce_implILb1ES3_NS6_12zip_iteratorINS7_INS6_11hip_rocprim26transform_input_iterator_tIbNSD_35transform_pair_of_input_iterators_tIbNS6_6detail15normal_iteratorINS6_10device_ptrIKfEEEESL_NS6_8equal_toIfEEEENSG_9not_fun_tINSD_8identityEEEEENSD_19counting_iterator_tIlEES8_S8_S8_S8_S8_S8_S8_S8_EEEEPS9_S9_NSD_9__find_if7functorIS9_EEEE10hipError_tPvRmT1_T2_T3_mT4_P12ihipStream_tbEUlT_E0_NS1_11comp_targetILNS1_3genE4ELNS1_11target_archE910ELNS1_3gpuE8ELNS1_3repE0EEENS1_30default_config_static_selectorELNS0_4arch9wavefront6targetE0EEEvS14_
; %bb.0:
	.section	.rodata,"a",@progbits
	.p2align	6, 0x0
	.amdhsa_kernel _ZN7rocprim17ROCPRIM_400000_NS6detail17trampoline_kernelINS0_14default_configENS1_22reduce_config_selectorIN6thrust23THRUST_200600_302600_NS5tupleIblNS6_9null_typeES8_S8_S8_S8_S8_S8_S8_EEEEZNS1_11reduce_implILb1ES3_NS6_12zip_iteratorINS7_INS6_11hip_rocprim26transform_input_iterator_tIbNSD_35transform_pair_of_input_iterators_tIbNS6_6detail15normal_iteratorINS6_10device_ptrIKfEEEESL_NS6_8equal_toIfEEEENSG_9not_fun_tINSD_8identityEEEEENSD_19counting_iterator_tIlEES8_S8_S8_S8_S8_S8_S8_S8_EEEEPS9_S9_NSD_9__find_if7functorIS9_EEEE10hipError_tPvRmT1_T2_T3_mT4_P12ihipStream_tbEUlT_E0_NS1_11comp_targetILNS1_3genE4ELNS1_11target_archE910ELNS1_3gpuE8ELNS1_3repE0EEENS1_30default_config_static_selectorELNS0_4arch9wavefront6targetE0EEEvS14_
		.amdhsa_group_segment_fixed_size 0
		.amdhsa_private_segment_fixed_size 0
		.amdhsa_kernarg_size 104
		.amdhsa_user_sgpr_count 15
		.amdhsa_user_sgpr_dispatch_ptr 0
		.amdhsa_user_sgpr_queue_ptr 0
		.amdhsa_user_sgpr_kernarg_segment_ptr 1
		.amdhsa_user_sgpr_dispatch_id 0
		.amdhsa_user_sgpr_private_segment_size 0
		.amdhsa_wavefront_size32 1
		.amdhsa_uses_dynamic_stack 0
		.amdhsa_enable_private_segment 0
		.amdhsa_system_sgpr_workgroup_id_x 1
		.amdhsa_system_sgpr_workgroup_id_y 0
		.amdhsa_system_sgpr_workgroup_id_z 0
		.amdhsa_system_sgpr_workgroup_info 0
		.amdhsa_system_vgpr_workitem_id 0
		.amdhsa_next_free_vgpr 1
		.amdhsa_next_free_sgpr 1
		.amdhsa_reserve_vcc 0
		.amdhsa_float_round_mode_32 0
		.amdhsa_float_round_mode_16_64 0
		.amdhsa_float_denorm_mode_32 3
		.amdhsa_float_denorm_mode_16_64 3
		.amdhsa_dx10_clamp 1
		.amdhsa_ieee_mode 1
		.amdhsa_fp16_overflow 0
		.amdhsa_workgroup_processor_mode 1
		.amdhsa_memory_ordered 1
		.amdhsa_forward_progress 0
		.amdhsa_shared_vgpr_count 0
		.amdhsa_exception_fp_ieee_invalid_op 0
		.amdhsa_exception_fp_denorm_src 0
		.amdhsa_exception_fp_ieee_div_zero 0
		.amdhsa_exception_fp_ieee_overflow 0
		.amdhsa_exception_fp_ieee_underflow 0
		.amdhsa_exception_fp_ieee_inexact 0
		.amdhsa_exception_int_div_zero 0
	.end_amdhsa_kernel
	.section	.text._ZN7rocprim17ROCPRIM_400000_NS6detail17trampoline_kernelINS0_14default_configENS1_22reduce_config_selectorIN6thrust23THRUST_200600_302600_NS5tupleIblNS6_9null_typeES8_S8_S8_S8_S8_S8_S8_EEEEZNS1_11reduce_implILb1ES3_NS6_12zip_iteratorINS7_INS6_11hip_rocprim26transform_input_iterator_tIbNSD_35transform_pair_of_input_iterators_tIbNS6_6detail15normal_iteratorINS6_10device_ptrIKfEEEESL_NS6_8equal_toIfEEEENSG_9not_fun_tINSD_8identityEEEEENSD_19counting_iterator_tIlEES8_S8_S8_S8_S8_S8_S8_S8_EEEEPS9_S9_NSD_9__find_if7functorIS9_EEEE10hipError_tPvRmT1_T2_T3_mT4_P12ihipStream_tbEUlT_E0_NS1_11comp_targetILNS1_3genE4ELNS1_11target_archE910ELNS1_3gpuE8ELNS1_3repE0EEENS1_30default_config_static_selectorELNS0_4arch9wavefront6targetE0EEEvS14_,"axG",@progbits,_ZN7rocprim17ROCPRIM_400000_NS6detail17trampoline_kernelINS0_14default_configENS1_22reduce_config_selectorIN6thrust23THRUST_200600_302600_NS5tupleIblNS6_9null_typeES8_S8_S8_S8_S8_S8_S8_EEEEZNS1_11reduce_implILb1ES3_NS6_12zip_iteratorINS7_INS6_11hip_rocprim26transform_input_iterator_tIbNSD_35transform_pair_of_input_iterators_tIbNS6_6detail15normal_iteratorINS6_10device_ptrIKfEEEESL_NS6_8equal_toIfEEEENSG_9not_fun_tINSD_8identityEEEEENSD_19counting_iterator_tIlEES8_S8_S8_S8_S8_S8_S8_S8_EEEEPS9_S9_NSD_9__find_if7functorIS9_EEEE10hipError_tPvRmT1_T2_T3_mT4_P12ihipStream_tbEUlT_E0_NS1_11comp_targetILNS1_3genE4ELNS1_11target_archE910ELNS1_3gpuE8ELNS1_3repE0EEENS1_30default_config_static_selectorELNS0_4arch9wavefront6targetE0EEEvS14_,comdat
.Lfunc_end449:
	.size	_ZN7rocprim17ROCPRIM_400000_NS6detail17trampoline_kernelINS0_14default_configENS1_22reduce_config_selectorIN6thrust23THRUST_200600_302600_NS5tupleIblNS6_9null_typeES8_S8_S8_S8_S8_S8_S8_EEEEZNS1_11reduce_implILb1ES3_NS6_12zip_iteratorINS7_INS6_11hip_rocprim26transform_input_iterator_tIbNSD_35transform_pair_of_input_iterators_tIbNS6_6detail15normal_iteratorINS6_10device_ptrIKfEEEESL_NS6_8equal_toIfEEEENSG_9not_fun_tINSD_8identityEEEEENSD_19counting_iterator_tIlEES8_S8_S8_S8_S8_S8_S8_S8_EEEEPS9_S9_NSD_9__find_if7functorIS9_EEEE10hipError_tPvRmT1_T2_T3_mT4_P12ihipStream_tbEUlT_E0_NS1_11comp_targetILNS1_3genE4ELNS1_11target_archE910ELNS1_3gpuE8ELNS1_3repE0EEENS1_30default_config_static_selectorELNS0_4arch9wavefront6targetE0EEEvS14_, .Lfunc_end449-_ZN7rocprim17ROCPRIM_400000_NS6detail17trampoline_kernelINS0_14default_configENS1_22reduce_config_selectorIN6thrust23THRUST_200600_302600_NS5tupleIblNS6_9null_typeES8_S8_S8_S8_S8_S8_S8_EEEEZNS1_11reduce_implILb1ES3_NS6_12zip_iteratorINS7_INS6_11hip_rocprim26transform_input_iterator_tIbNSD_35transform_pair_of_input_iterators_tIbNS6_6detail15normal_iteratorINS6_10device_ptrIKfEEEESL_NS6_8equal_toIfEEEENSG_9not_fun_tINSD_8identityEEEEENSD_19counting_iterator_tIlEES8_S8_S8_S8_S8_S8_S8_S8_EEEEPS9_S9_NSD_9__find_if7functorIS9_EEEE10hipError_tPvRmT1_T2_T3_mT4_P12ihipStream_tbEUlT_E0_NS1_11comp_targetILNS1_3genE4ELNS1_11target_archE910ELNS1_3gpuE8ELNS1_3repE0EEENS1_30default_config_static_selectorELNS0_4arch9wavefront6targetE0EEEvS14_
                                        ; -- End function
	.section	.AMDGPU.csdata,"",@progbits
; Kernel info:
; codeLenInByte = 0
; NumSgprs: 0
; NumVgprs: 0
; ScratchSize: 0
; MemoryBound: 0
; FloatMode: 240
; IeeeMode: 1
; LDSByteSize: 0 bytes/workgroup (compile time only)
; SGPRBlocks: 0
; VGPRBlocks: 0
; NumSGPRsForWavesPerEU: 1
; NumVGPRsForWavesPerEU: 1
; Occupancy: 16
; WaveLimiterHint : 0
; COMPUTE_PGM_RSRC2:SCRATCH_EN: 0
; COMPUTE_PGM_RSRC2:USER_SGPR: 15
; COMPUTE_PGM_RSRC2:TRAP_HANDLER: 0
; COMPUTE_PGM_RSRC2:TGID_X_EN: 1
; COMPUTE_PGM_RSRC2:TGID_Y_EN: 0
; COMPUTE_PGM_RSRC2:TGID_Z_EN: 0
; COMPUTE_PGM_RSRC2:TIDIG_COMP_CNT: 0
	.section	.text._ZN7rocprim17ROCPRIM_400000_NS6detail17trampoline_kernelINS0_14default_configENS1_22reduce_config_selectorIN6thrust23THRUST_200600_302600_NS5tupleIblNS6_9null_typeES8_S8_S8_S8_S8_S8_S8_EEEEZNS1_11reduce_implILb1ES3_NS6_12zip_iteratorINS7_INS6_11hip_rocprim26transform_input_iterator_tIbNSD_35transform_pair_of_input_iterators_tIbNS6_6detail15normal_iteratorINS6_10device_ptrIKfEEEESL_NS6_8equal_toIfEEEENSG_9not_fun_tINSD_8identityEEEEENSD_19counting_iterator_tIlEES8_S8_S8_S8_S8_S8_S8_S8_EEEEPS9_S9_NSD_9__find_if7functorIS9_EEEE10hipError_tPvRmT1_T2_T3_mT4_P12ihipStream_tbEUlT_E0_NS1_11comp_targetILNS1_3genE3ELNS1_11target_archE908ELNS1_3gpuE7ELNS1_3repE0EEENS1_30default_config_static_selectorELNS0_4arch9wavefront6targetE0EEEvS14_,"axG",@progbits,_ZN7rocprim17ROCPRIM_400000_NS6detail17trampoline_kernelINS0_14default_configENS1_22reduce_config_selectorIN6thrust23THRUST_200600_302600_NS5tupleIblNS6_9null_typeES8_S8_S8_S8_S8_S8_S8_EEEEZNS1_11reduce_implILb1ES3_NS6_12zip_iteratorINS7_INS6_11hip_rocprim26transform_input_iterator_tIbNSD_35transform_pair_of_input_iterators_tIbNS6_6detail15normal_iteratorINS6_10device_ptrIKfEEEESL_NS6_8equal_toIfEEEENSG_9not_fun_tINSD_8identityEEEEENSD_19counting_iterator_tIlEES8_S8_S8_S8_S8_S8_S8_S8_EEEEPS9_S9_NSD_9__find_if7functorIS9_EEEE10hipError_tPvRmT1_T2_T3_mT4_P12ihipStream_tbEUlT_E0_NS1_11comp_targetILNS1_3genE3ELNS1_11target_archE908ELNS1_3gpuE7ELNS1_3repE0EEENS1_30default_config_static_selectorELNS0_4arch9wavefront6targetE0EEEvS14_,comdat
	.protected	_ZN7rocprim17ROCPRIM_400000_NS6detail17trampoline_kernelINS0_14default_configENS1_22reduce_config_selectorIN6thrust23THRUST_200600_302600_NS5tupleIblNS6_9null_typeES8_S8_S8_S8_S8_S8_S8_EEEEZNS1_11reduce_implILb1ES3_NS6_12zip_iteratorINS7_INS6_11hip_rocprim26transform_input_iterator_tIbNSD_35transform_pair_of_input_iterators_tIbNS6_6detail15normal_iteratorINS6_10device_ptrIKfEEEESL_NS6_8equal_toIfEEEENSG_9not_fun_tINSD_8identityEEEEENSD_19counting_iterator_tIlEES8_S8_S8_S8_S8_S8_S8_S8_EEEEPS9_S9_NSD_9__find_if7functorIS9_EEEE10hipError_tPvRmT1_T2_T3_mT4_P12ihipStream_tbEUlT_E0_NS1_11comp_targetILNS1_3genE3ELNS1_11target_archE908ELNS1_3gpuE7ELNS1_3repE0EEENS1_30default_config_static_selectorELNS0_4arch9wavefront6targetE0EEEvS14_ ; -- Begin function _ZN7rocprim17ROCPRIM_400000_NS6detail17trampoline_kernelINS0_14default_configENS1_22reduce_config_selectorIN6thrust23THRUST_200600_302600_NS5tupleIblNS6_9null_typeES8_S8_S8_S8_S8_S8_S8_EEEEZNS1_11reduce_implILb1ES3_NS6_12zip_iteratorINS7_INS6_11hip_rocprim26transform_input_iterator_tIbNSD_35transform_pair_of_input_iterators_tIbNS6_6detail15normal_iteratorINS6_10device_ptrIKfEEEESL_NS6_8equal_toIfEEEENSG_9not_fun_tINSD_8identityEEEEENSD_19counting_iterator_tIlEES8_S8_S8_S8_S8_S8_S8_S8_EEEEPS9_S9_NSD_9__find_if7functorIS9_EEEE10hipError_tPvRmT1_T2_T3_mT4_P12ihipStream_tbEUlT_E0_NS1_11comp_targetILNS1_3genE3ELNS1_11target_archE908ELNS1_3gpuE7ELNS1_3repE0EEENS1_30default_config_static_selectorELNS0_4arch9wavefront6targetE0EEEvS14_
	.globl	_ZN7rocprim17ROCPRIM_400000_NS6detail17trampoline_kernelINS0_14default_configENS1_22reduce_config_selectorIN6thrust23THRUST_200600_302600_NS5tupleIblNS6_9null_typeES8_S8_S8_S8_S8_S8_S8_EEEEZNS1_11reduce_implILb1ES3_NS6_12zip_iteratorINS7_INS6_11hip_rocprim26transform_input_iterator_tIbNSD_35transform_pair_of_input_iterators_tIbNS6_6detail15normal_iteratorINS6_10device_ptrIKfEEEESL_NS6_8equal_toIfEEEENSG_9not_fun_tINSD_8identityEEEEENSD_19counting_iterator_tIlEES8_S8_S8_S8_S8_S8_S8_S8_EEEEPS9_S9_NSD_9__find_if7functorIS9_EEEE10hipError_tPvRmT1_T2_T3_mT4_P12ihipStream_tbEUlT_E0_NS1_11comp_targetILNS1_3genE3ELNS1_11target_archE908ELNS1_3gpuE7ELNS1_3repE0EEENS1_30default_config_static_selectorELNS0_4arch9wavefront6targetE0EEEvS14_
	.p2align	8
	.type	_ZN7rocprim17ROCPRIM_400000_NS6detail17trampoline_kernelINS0_14default_configENS1_22reduce_config_selectorIN6thrust23THRUST_200600_302600_NS5tupleIblNS6_9null_typeES8_S8_S8_S8_S8_S8_S8_EEEEZNS1_11reduce_implILb1ES3_NS6_12zip_iteratorINS7_INS6_11hip_rocprim26transform_input_iterator_tIbNSD_35transform_pair_of_input_iterators_tIbNS6_6detail15normal_iteratorINS6_10device_ptrIKfEEEESL_NS6_8equal_toIfEEEENSG_9not_fun_tINSD_8identityEEEEENSD_19counting_iterator_tIlEES8_S8_S8_S8_S8_S8_S8_S8_EEEEPS9_S9_NSD_9__find_if7functorIS9_EEEE10hipError_tPvRmT1_T2_T3_mT4_P12ihipStream_tbEUlT_E0_NS1_11comp_targetILNS1_3genE3ELNS1_11target_archE908ELNS1_3gpuE7ELNS1_3repE0EEENS1_30default_config_static_selectorELNS0_4arch9wavefront6targetE0EEEvS14_,@function
_ZN7rocprim17ROCPRIM_400000_NS6detail17trampoline_kernelINS0_14default_configENS1_22reduce_config_selectorIN6thrust23THRUST_200600_302600_NS5tupleIblNS6_9null_typeES8_S8_S8_S8_S8_S8_S8_EEEEZNS1_11reduce_implILb1ES3_NS6_12zip_iteratorINS7_INS6_11hip_rocprim26transform_input_iterator_tIbNSD_35transform_pair_of_input_iterators_tIbNS6_6detail15normal_iteratorINS6_10device_ptrIKfEEEESL_NS6_8equal_toIfEEEENSG_9not_fun_tINSD_8identityEEEEENSD_19counting_iterator_tIlEES8_S8_S8_S8_S8_S8_S8_S8_EEEEPS9_S9_NSD_9__find_if7functorIS9_EEEE10hipError_tPvRmT1_T2_T3_mT4_P12ihipStream_tbEUlT_E0_NS1_11comp_targetILNS1_3genE3ELNS1_11target_archE908ELNS1_3gpuE7ELNS1_3repE0EEENS1_30default_config_static_selectorELNS0_4arch9wavefront6targetE0EEEvS14_: ; @_ZN7rocprim17ROCPRIM_400000_NS6detail17trampoline_kernelINS0_14default_configENS1_22reduce_config_selectorIN6thrust23THRUST_200600_302600_NS5tupleIblNS6_9null_typeES8_S8_S8_S8_S8_S8_S8_EEEEZNS1_11reduce_implILb1ES3_NS6_12zip_iteratorINS7_INS6_11hip_rocprim26transform_input_iterator_tIbNSD_35transform_pair_of_input_iterators_tIbNS6_6detail15normal_iteratorINS6_10device_ptrIKfEEEESL_NS6_8equal_toIfEEEENSG_9not_fun_tINSD_8identityEEEEENSD_19counting_iterator_tIlEES8_S8_S8_S8_S8_S8_S8_S8_EEEEPS9_S9_NSD_9__find_if7functorIS9_EEEE10hipError_tPvRmT1_T2_T3_mT4_P12ihipStream_tbEUlT_E0_NS1_11comp_targetILNS1_3genE3ELNS1_11target_archE908ELNS1_3gpuE7ELNS1_3repE0EEENS1_30default_config_static_selectorELNS0_4arch9wavefront6targetE0EEEvS14_
; %bb.0:
	.section	.rodata,"a",@progbits
	.p2align	6, 0x0
	.amdhsa_kernel _ZN7rocprim17ROCPRIM_400000_NS6detail17trampoline_kernelINS0_14default_configENS1_22reduce_config_selectorIN6thrust23THRUST_200600_302600_NS5tupleIblNS6_9null_typeES8_S8_S8_S8_S8_S8_S8_EEEEZNS1_11reduce_implILb1ES3_NS6_12zip_iteratorINS7_INS6_11hip_rocprim26transform_input_iterator_tIbNSD_35transform_pair_of_input_iterators_tIbNS6_6detail15normal_iteratorINS6_10device_ptrIKfEEEESL_NS6_8equal_toIfEEEENSG_9not_fun_tINSD_8identityEEEEENSD_19counting_iterator_tIlEES8_S8_S8_S8_S8_S8_S8_S8_EEEEPS9_S9_NSD_9__find_if7functorIS9_EEEE10hipError_tPvRmT1_T2_T3_mT4_P12ihipStream_tbEUlT_E0_NS1_11comp_targetILNS1_3genE3ELNS1_11target_archE908ELNS1_3gpuE7ELNS1_3repE0EEENS1_30default_config_static_selectorELNS0_4arch9wavefront6targetE0EEEvS14_
		.amdhsa_group_segment_fixed_size 0
		.amdhsa_private_segment_fixed_size 0
		.amdhsa_kernarg_size 104
		.amdhsa_user_sgpr_count 15
		.amdhsa_user_sgpr_dispatch_ptr 0
		.amdhsa_user_sgpr_queue_ptr 0
		.amdhsa_user_sgpr_kernarg_segment_ptr 1
		.amdhsa_user_sgpr_dispatch_id 0
		.amdhsa_user_sgpr_private_segment_size 0
		.amdhsa_wavefront_size32 1
		.amdhsa_uses_dynamic_stack 0
		.amdhsa_enable_private_segment 0
		.amdhsa_system_sgpr_workgroup_id_x 1
		.amdhsa_system_sgpr_workgroup_id_y 0
		.amdhsa_system_sgpr_workgroup_id_z 0
		.amdhsa_system_sgpr_workgroup_info 0
		.amdhsa_system_vgpr_workitem_id 0
		.amdhsa_next_free_vgpr 1
		.amdhsa_next_free_sgpr 1
		.amdhsa_reserve_vcc 0
		.amdhsa_float_round_mode_32 0
		.amdhsa_float_round_mode_16_64 0
		.amdhsa_float_denorm_mode_32 3
		.amdhsa_float_denorm_mode_16_64 3
		.amdhsa_dx10_clamp 1
		.amdhsa_ieee_mode 1
		.amdhsa_fp16_overflow 0
		.amdhsa_workgroup_processor_mode 1
		.amdhsa_memory_ordered 1
		.amdhsa_forward_progress 0
		.amdhsa_shared_vgpr_count 0
		.amdhsa_exception_fp_ieee_invalid_op 0
		.amdhsa_exception_fp_denorm_src 0
		.amdhsa_exception_fp_ieee_div_zero 0
		.amdhsa_exception_fp_ieee_overflow 0
		.amdhsa_exception_fp_ieee_underflow 0
		.amdhsa_exception_fp_ieee_inexact 0
		.amdhsa_exception_int_div_zero 0
	.end_amdhsa_kernel
	.section	.text._ZN7rocprim17ROCPRIM_400000_NS6detail17trampoline_kernelINS0_14default_configENS1_22reduce_config_selectorIN6thrust23THRUST_200600_302600_NS5tupleIblNS6_9null_typeES8_S8_S8_S8_S8_S8_S8_EEEEZNS1_11reduce_implILb1ES3_NS6_12zip_iteratorINS7_INS6_11hip_rocprim26transform_input_iterator_tIbNSD_35transform_pair_of_input_iterators_tIbNS6_6detail15normal_iteratorINS6_10device_ptrIKfEEEESL_NS6_8equal_toIfEEEENSG_9not_fun_tINSD_8identityEEEEENSD_19counting_iterator_tIlEES8_S8_S8_S8_S8_S8_S8_S8_EEEEPS9_S9_NSD_9__find_if7functorIS9_EEEE10hipError_tPvRmT1_T2_T3_mT4_P12ihipStream_tbEUlT_E0_NS1_11comp_targetILNS1_3genE3ELNS1_11target_archE908ELNS1_3gpuE7ELNS1_3repE0EEENS1_30default_config_static_selectorELNS0_4arch9wavefront6targetE0EEEvS14_,"axG",@progbits,_ZN7rocprim17ROCPRIM_400000_NS6detail17trampoline_kernelINS0_14default_configENS1_22reduce_config_selectorIN6thrust23THRUST_200600_302600_NS5tupleIblNS6_9null_typeES8_S8_S8_S8_S8_S8_S8_EEEEZNS1_11reduce_implILb1ES3_NS6_12zip_iteratorINS7_INS6_11hip_rocprim26transform_input_iterator_tIbNSD_35transform_pair_of_input_iterators_tIbNS6_6detail15normal_iteratorINS6_10device_ptrIKfEEEESL_NS6_8equal_toIfEEEENSG_9not_fun_tINSD_8identityEEEEENSD_19counting_iterator_tIlEES8_S8_S8_S8_S8_S8_S8_S8_EEEEPS9_S9_NSD_9__find_if7functorIS9_EEEE10hipError_tPvRmT1_T2_T3_mT4_P12ihipStream_tbEUlT_E0_NS1_11comp_targetILNS1_3genE3ELNS1_11target_archE908ELNS1_3gpuE7ELNS1_3repE0EEENS1_30default_config_static_selectorELNS0_4arch9wavefront6targetE0EEEvS14_,comdat
.Lfunc_end450:
	.size	_ZN7rocprim17ROCPRIM_400000_NS6detail17trampoline_kernelINS0_14default_configENS1_22reduce_config_selectorIN6thrust23THRUST_200600_302600_NS5tupleIblNS6_9null_typeES8_S8_S8_S8_S8_S8_S8_EEEEZNS1_11reduce_implILb1ES3_NS6_12zip_iteratorINS7_INS6_11hip_rocprim26transform_input_iterator_tIbNSD_35transform_pair_of_input_iterators_tIbNS6_6detail15normal_iteratorINS6_10device_ptrIKfEEEESL_NS6_8equal_toIfEEEENSG_9not_fun_tINSD_8identityEEEEENSD_19counting_iterator_tIlEES8_S8_S8_S8_S8_S8_S8_S8_EEEEPS9_S9_NSD_9__find_if7functorIS9_EEEE10hipError_tPvRmT1_T2_T3_mT4_P12ihipStream_tbEUlT_E0_NS1_11comp_targetILNS1_3genE3ELNS1_11target_archE908ELNS1_3gpuE7ELNS1_3repE0EEENS1_30default_config_static_selectorELNS0_4arch9wavefront6targetE0EEEvS14_, .Lfunc_end450-_ZN7rocprim17ROCPRIM_400000_NS6detail17trampoline_kernelINS0_14default_configENS1_22reduce_config_selectorIN6thrust23THRUST_200600_302600_NS5tupleIblNS6_9null_typeES8_S8_S8_S8_S8_S8_S8_EEEEZNS1_11reduce_implILb1ES3_NS6_12zip_iteratorINS7_INS6_11hip_rocprim26transform_input_iterator_tIbNSD_35transform_pair_of_input_iterators_tIbNS6_6detail15normal_iteratorINS6_10device_ptrIKfEEEESL_NS6_8equal_toIfEEEENSG_9not_fun_tINSD_8identityEEEEENSD_19counting_iterator_tIlEES8_S8_S8_S8_S8_S8_S8_S8_EEEEPS9_S9_NSD_9__find_if7functorIS9_EEEE10hipError_tPvRmT1_T2_T3_mT4_P12ihipStream_tbEUlT_E0_NS1_11comp_targetILNS1_3genE3ELNS1_11target_archE908ELNS1_3gpuE7ELNS1_3repE0EEENS1_30default_config_static_selectorELNS0_4arch9wavefront6targetE0EEEvS14_
                                        ; -- End function
	.section	.AMDGPU.csdata,"",@progbits
; Kernel info:
; codeLenInByte = 0
; NumSgprs: 0
; NumVgprs: 0
; ScratchSize: 0
; MemoryBound: 0
; FloatMode: 240
; IeeeMode: 1
; LDSByteSize: 0 bytes/workgroup (compile time only)
; SGPRBlocks: 0
; VGPRBlocks: 0
; NumSGPRsForWavesPerEU: 1
; NumVGPRsForWavesPerEU: 1
; Occupancy: 16
; WaveLimiterHint : 0
; COMPUTE_PGM_RSRC2:SCRATCH_EN: 0
; COMPUTE_PGM_RSRC2:USER_SGPR: 15
; COMPUTE_PGM_RSRC2:TRAP_HANDLER: 0
; COMPUTE_PGM_RSRC2:TGID_X_EN: 1
; COMPUTE_PGM_RSRC2:TGID_Y_EN: 0
; COMPUTE_PGM_RSRC2:TGID_Z_EN: 0
; COMPUTE_PGM_RSRC2:TIDIG_COMP_CNT: 0
	.section	.text._ZN7rocprim17ROCPRIM_400000_NS6detail17trampoline_kernelINS0_14default_configENS1_22reduce_config_selectorIN6thrust23THRUST_200600_302600_NS5tupleIblNS6_9null_typeES8_S8_S8_S8_S8_S8_S8_EEEEZNS1_11reduce_implILb1ES3_NS6_12zip_iteratorINS7_INS6_11hip_rocprim26transform_input_iterator_tIbNSD_35transform_pair_of_input_iterators_tIbNS6_6detail15normal_iteratorINS6_10device_ptrIKfEEEESL_NS6_8equal_toIfEEEENSG_9not_fun_tINSD_8identityEEEEENSD_19counting_iterator_tIlEES8_S8_S8_S8_S8_S8_S8_S8_EEEEPS9_S9_NSD_9__find_if7functorIS9_EEEE10hipError_tPvRmT1_T2_T3_mT4_P12ihipStream_tbEUlT_E0_NS1_11comp_targetILNS1_3genE2ELNS1_11target_archE906ELNS1_3gpuE6ELNS1_3repE0EEENS1_30default_config_static_selectorELNS0_4arch9wavefront6targetE0EEEvS14_,"axG",@progbits,_ZN7rocprim17ROCPRIM_400000_NS6detail17trampoline_kernelINS0_14default_configENS1_22reduce_config_selectorIN6thrust23THRUST_200600_302600_NS5tupleIblNS6_9null_typeES8_S8_S8_S8_S8_S8_S8_EEEEZNS1_11reduce_implILb1ES3_NS6_12zip_iteratorINS7_INS6_11hip_rocprim26transform_input_iterator_tIbNSD_35transform_pair_of_input_iterators_tIbNS6_6detail15normal_iteratorINS6_10device_ptrIKfEEEESL_NS6_8equal_toIfEEEENSG_9not_fun_tINSD_8identityEEEEENSD_19counting_iterator_tIlEES8_S8_S8_S8_S8_S8_S8_S8_EEEEPS9_S9_NSD_9__find_if7functorIS9_EEEE10hipError_tPvRmT1_T2_T3_mT4_P12ihipStream_tbEUlT_E0_NS1_11comp_targetILNS1_3genE2ELNS1_11target_archE906ELNS1_3gpuE6ELNS1_3repE0EEENS1_30default_config_static_selectorELNS0_4arch9wavefront6targetE0EEEvS14_,comdat
	.protected	_ZN7rocprim17ROCPRIM_400000_NS6detail17trampoline_kernelINS0_14default_configENS1_22reduce_config_selectorIN6thrust23THRUST_200600_302600_NS5tupleIblNS6_9null_typeES8_S8_S8_S8_S8_S8_S8_EEEEZNS1_11reduce_implILb1ES3_NS6_12zip_iteratorINS7_INS6_11hip_rocprim26transform_input_iterator_tIbNSD_35transform_pair_of_input_iterators_tIbNS6_6detail15normal_iteratorINS6_10device_ptrIKfEEEESL_NS6_8equal_toIfEEEENSG_9not_fun_tINSD_8identityEEEEENSD_19counting_iterator_tIlEES8_S8_S8_S8_S8_S8_S8_S8_EEEEPS9_S9_NSD_9__find_if7functorIS9_EEEE10hipError_tPvRmT1_T2_T3_mT4_P12ihipStream_tbEUlT_E0_NS1_11comp_targetILNS1_3genE2ELNS1_11target_archE906ELNS1_3gpuE6ELNS1_3repE0EEENS1_30default_config_static_selectorELNS0_4arch9wavefront6targetE0EEEvS14_ ; -- Begin function _ZN7rocprim17ROCPRIM_400000_NS6detail17trampoline_kernelINS0_14default_configENS1_22reduce_config_selectorIN6thrust23THRUST_200600_302600_NS5tupleIblNS6_9null_typeES8_S8_S8_S8_S8_S8_S8_EEEEZNS1_11reduce_implILb1ES3_NS6_12zip_iteratorINS7_INS6_11hip_rocprim26transform_input_iterator_tIbNSD_35transform_pair_of_input_iterators_tIbNS6_6detail15normal_iteratorINS6_10device_ptrIKfEEEESL_NS6_8equal_toIfEEEENSG_9not_fun_tINSD_8identityEEEEENSD_19counting_iterator_tIlEES8_S8_S8_S8_S8_S8_S8_S8_EEEEPS9_S9_NSD_9__find_if7functorIS9_EEEE10hipError_tPvRmT1_T2_T3_mT4_P12ihipStream_tbEUlT_E0_NS1_11comp_targetILNS1_3genE2ELNS1_11target_archE906ELNS1_3gpuE6ELNS1_3repE0EEENS1_30default_config_static_selectorELNS0_4arch9wavefront6targetE0EEEvS14_
	.globl	_ZN7rocprim17ROCPRIM_400000_NS6detail17trampoline_kernelINS0_14default_configENS1_22reduce_config_selectorIN6thrust23THRUST_200600_302600_NS5tupleIblNS6_9null_typeES8_S8_S8_S8_S8_S8_S8_EEEEZNS1_11reduce_implILb1ES3_NS6_12zip_iteratorINS7_INS6_11hip_rocprim26transform_input_iterator_tIbNSD_35transform_pair_of_input_iterators_tIbNS6_6detail15normal_iteratorINS6_10device_ptrIKfEEEESL_NS6_8equal_toIfEEEENSG_9not_fun_tINSD_8identityEEEEENSD_19counting_iterator_tIlEES8_S8_S8_S8_S8_S8_S8_S8_EEEEPS9_S9_NSD_9__find_if7functorIS9_EEEE10hipError_tPvRmT1_T2_T3_mT4_P12ihipStream_tbEUlT_E0_NS1_11comp_targetILNS1_3genE2ELNS1_11target_archE906ELNS1_3gpuE6ELNS1_3repE0EEENS1_30default_config_static_selectorELNS0_4arch9wavefront6targetE0EEEvS14_
	.p2align	8
	.type	_ZN7rocprim17ROCPRIM_400000_NS6detail17trampoline_kernelINS0_14default_configENS1_22reduce_config_selectorIN6thrust23THRUST_200600_302600_NS5tupleIblNS6_9null_typeES8_S8_S8_S8_S8_S8_S8_EEEEZNS1_11reduce_implILb1ES3_NS6_12zip_iteratorINS7_INS6_11hip_rocprim26transform_input_iterator_tIbNSD_35transform_pair_of_input_iterators_tIbNS6_6detail15normal_iteratorINS6_10device_ptrIKfEEEESL_NS6_8equal_toIfEEEENSG_9not_fun_tINSD_8identityEEEEENSD_19counting_iterator_tIlEES8_S8_S8_S8_S8_S8_S8_S8_EEEEPS9_S9_NSD_9__find_if7functorIS9_EEEE10hipError_tPvRmT1_T2_T3_mT4_P12ihipStream_tbEUlT_E0_NS1_11comp_targetILNS1_3genE2ELNS1_11target_archE906ELNS1_3gpuE6ELNS1_3repE0EEENS1_30default_config_static_selectorELNS0_4arch9wavefront6targetE0EEEvS14_,@function
_ZN7rocprim17ROCPRIM_400000_NS6detail17trampoline_kernelINS0_14default_configENS1_22reduce_config_selectorIN6thrust23THRUST_200600_302600_NS5tupleIblNS6_9null_typeES8_S8_S8_S8_S8_S8_S8_EEEEZNS1_11reduce_implILb1ES3_NS6_12zip_iteratorINS7_INS6_11hip_rocprim26transform_input_iterator_tIbNSD_35transform_pair_of_input_iterators_tIbNS6_6detail15normal_iteratorINS6_10device_ptrIKfEEEESL_NS6_8equal_toIfEEEENSG_9not_fun_tINSD_8identityEEEEENSD_19counting_iterator_tIlEES8_S8_S8_S8_S8_S8_S8_S8_EEEEPS9_S9_NSD_9__find_if7functorIS9_EEEE10hipError_tPvRmT1_T2_T3_mT4_P12ihipStream_tbEUlT_E0_NS1_11comp_targetILNS1_3genE2ELNS1_11target_archE906ELNS1_3gpuE6ELNS1_3repE0EEENS1_30default_config_static_selectorELNS0_4arch9wavefront6targetE0EEEvS14_: ; @_ZN7rocprim17ROCPRIM_400000_NS6detail17trampoline_kernelINS0_14default_configENS1_22reduce_config_selectorIN6thrust23THRUST_200600_302600_NS5tupleIblNS6_9null_typeES8_S8_S8_S8_S8_S8_S8_EEEEZNS1_11reduce_implILb1ES3_NS6_12zip_iteratorINS7_INS6_11hip_rocprim26transform_input_iterator_tIbNSD_35transform_pair_of_input_iterators_tIbNS6_6detail15normal_iteratorINS6_10device_ptrIKfEEEESL_NS6_8equal_toIfEEEENSG_9not_fun_tINSD_8identityEEEEENSD_19counting_iterator_tIlEES8_S8_S8_S8_S8_S8_S8_S8_EEEEPS9_S9_NSD_9__find_if7functorIS9_EEEE10hipError_tPvRmT1_T2_T3_mT4_P12ihipStream_tbEUlT_E0_NS1_11comp_targetILNS1_3genE2ELNS1_11target_archE906ELNS1_3gpuE6ELNS1_3repE0EEENS1_30default_config_static_selectorELNS0_4arch9wavefront6targetE0EEEvS14_
; %bb.0:
	.section	.rodata,"a",@progbits
	.p2align	6, 0x0
	.amdhsa_kernel _ZN7rocprim17ROCPRIM_400000_NS6detail17trampoline_kernelINS0_14default_configENS1_22reduce_config_selectorIN6thrust23THRUST_200600_302600_NS5tupleIblNS6_9null_typeES8_S8_S8_S8_S8_S8_S8_EEEEZNS1_11reduce_implILb1ES3_NS6_12zip_iteratorINS7_INS6_11hip_rocprim26transform_input_iterator_tIbNSD_35transform_pair_of_input_iterators_tIbNS6_6detail15normal_iteratorINS6_10device_ptrIKfEEEESL_NS6_8equal_toIfEEEENSG_9not_fun_tINSD_8identityEEEEENSD_19counting_iterator_tIlEES8_S8_S8_S8_S8_S8_S8_S8_EEEEPS9_S9_NSD_9__find_if7functorIS9_EEEE10hipError_tPvRmT1_T2_T3_mT4_P12ihipStream_tbEUlT_E0_NS1_11comp_targetILNS1_3genE2ELNS1_11target_archE906ELNS1_3gpuE6ELNS1_3repE0EEENS1_30default_config_static_selectorELNS0_4arch9wavefront6targetE0EEEvS14_
		.amdhsa_group_segment_fixed_size 0
		.amdhsa_private_segment_fixed_size 0
		.amdhsa_kernarg_size 104
		.amdhsa_user_sgpr_count 15
		.amdhsa_user_sgpr_dispatch_ptr 0
		.amdhsa_user_sgpr_queue_ptr 0
		.amdhsa_user_sgpr_kernarg_segment_ptr 1
		.amdhsa_user_sgpr_dispatch_id 0
		.amdhsa_user_sgpr_private_segment_size 0
		.amdhsa_wavefront_size32 1
		.amdhsa_uses_dynamic_stack 0
		.amdhsa_enable_private_segment 0
		.amdhsa_system_sgpr_workgroup_id_x 1
		.amdhsa_system_sgpr_workgroup_id_y 0
		.amdhsa_system_sgpr_workgroup_id_z 0
		.amdhsa_system_sgpr_workgroup_info 0
		.amdhsa_system_vgpr_workitem_id 0
		.amdhsa_next_free_vgpr 1
		.amdhsa_next_free_sgpr 1
		.amdhsa_reserve_vcc 0
		.amdhsa_float_round_mode_32 0
		.amdhsa_float_round_mode_16_64 0
		.amdhsa_float_denorm_mode_32 3
		.amdhsa_float_denorm_mode_16_64 3
		.amdhsa_dx10_clamp 1
		.amdhsa_ieee_mode 1
		.amdhsa_fp16_overflow 0
		.amdhsa_workgroup_processor_mode 1
		.amdhsa_memory_ordered 1
		.amdhsa_forward_progress 0
		.amdhsa_shared_vgpr_count 0
		.amdhsa_exception_fp_ieee_invalid_op 0
		.amdhsa_exception_fp_denorm_src 0
		.amdhsa_exception_fp_ieee_div_zero 0
		.amdhsa_exception_fp_ieee_overflow 0
		.amdhsa_exception_fp_ieee_underflow 0
		.amdhsa_exception_fp_ieee_inexact 0
		.amdhsa_exception_int_div_zero 0
	.end_amdhsa_kernel
	.section	.text._ZN7rocprim17ROCPRIM_400000_NS6detail17trampoline_kernelINS0_14default_configENS1_22reduce_config_selectorIN6thrust23THRUST_200600_302600_NS5tupleIblNS6_9null_typeES8_S8_S8_S8_S8_S8_S8_EEEEZNS1_11reduce_implILb1ES3_NS6_12zip_iteratorINS7_INS6_11hip_rocprim26transform_input_iterator_tIbNSD_35transform_pair_of_input_iterators_tIbNS6_6detail15normal_iteratorINS6_10device_ptrIKfEEEESL_NS6_8equal_toIfEEEENSG_9not_fun_tINSD_8identityEEEEENSD_19counting_iterator_tIlEES8_S8_S8_S8_S8_S8_S8_S8_EEEEPS9_S9_NSD_9__find_if7functorIS9_EEEE10hipError_tPvRmT1_T2_T3_mT4_P12ihipStream_tbEUlT_E0_NS1_11comp_targetILNS1_3genE2ELNS1_11target_archE906ELNS1_3gpuE6ELNS1_3repE0EEENS1_30default_config_static_selectorELNS0_4arch9wavefront6targetE0EEEvS14_,"axG",@progbits,_ZN7rocprim17ROCPRIM_400000_NS6detail17trampoline_kernelINS0_14default_configENS1_22reduce_config_selectorIN6thrust23THRUST_200600_302600_NS5tupleIblNS6_9null_typeES8_S8_S8_S8_S8_S8_S8_EEEEZNS1_11reduce_implILb1ES3_NS6_12zip_iteratorINS7_INS6_11hip_rocprim26transform_input_iterator_tIbNSD_35transform_pair_of_input_iterators_tIbNS6_6detail15normal_iteratorINS6_10device_ptrIKfEEEESL_NS6_8equal_toIfEEEENSG_9not_fun_tINSD_8identityEEEEENSD_19counting_iterator_tIlEES8_S8_S8_S8_S8_S8_S8_S8_EEEEPS9_S9_NSD_9__find_if7functorIS9_EEEE10hipError_tPvRmT1_T2_T3_mT4_P12ihipStream_tbEUlT_E0_NS1_11comp_targetILNS1_3genE2ELNS1_11target_archE906ELNS1_3gpuE6ELNS1_3repE0EEENS1_30default_config_static_selectorELNS0_4arch9wavefront6targetE0EEEvS14_,comdat
.Lfunc_end451:
	.size	_ZN7rocprim17ROCPRIM_400000_NS6detail17trampoline_kernelINS0_14default_configENS1_22reduce_config_selectorIN6thrust23THRUST_200600_302600_NS5tupleIblNS6_9null_typeES8_S8_S8_S8_S8_S8_S8_EEEEZNS1_11reduce_implILb1ES3_NS6_12zip_iteratorINS7_INS6_11hip_rocprim26transform_input_iterator_tIbNSD_35transform_pair_of_input_iterators_tIbNS6_6detail15normal_iteratorINS6_10device_ptrIKfEEEESL_NS6_8equal_toIfEEEENSG_9not_fun_tINSD_8identityEEEEENSD_19counting_iterator_tIlEES8_S8_S8_S8_S8_S8_S8_S8_EEEEPS9_S9_NSD_9__find_if7functorIS9_EEEE10hipError_tPvRmT1_T2_T3_mT4_P12ihipStream_tbEUlT_E0_NS1_11comp_targetILNS1_3genE2ELNS1_11target_archE906ELNS1_3gpuE6ELNS1_3repE0EEENS1_30default_config_static_selectorELNS0_4arch9wavefront6targetE0EEEvS14_, .Lfunc_end451-_ZN7rocprim17ROCPRIM_400000_NS6detail17trampoline_kernelINS0_14default_configENS1_22reduce_config_selectorIN6thrust23THRUST_200600_302600_NS5tupleIblNS6_9null_typeES8_S8_S8_S8_S8_S8_S8_EEEEZNS1_11reduce_implILb1ES3_NS6_12zip_iteratorINS7_INS6_11hip_rocprim26transform_input_iterator_tIbNSD_35transform_pair_of_input_iterators_tIbNS6_6detail15normal_iteratorINS6_10device_ptrIKfEEEESL_NS6_8equal_toIfEEEENSG_9not_fun_tINSD_8identityEEEEENSD_19counting_iterator_tIlEES8_S8_S8_S8_S8_S8_S8_S8_EEEEPS9_S9_NSD_9__find_if7functorIS9_EEEE10hipError_tPvRmT1_T2_T3_mT4_P12ihipStream_tbEUlT_E0_NS1_11comp_targetILNS1_3genE2ELNS1_11target_archE906ELNS1_3gpuE6ELNS1_3repE0EEENS1_30default_config_static_selectorELNS0_4arch9wavefront6targetE0EEEvS14_
                                        ; -- End function
	.section	.AMDGPU.csdata,"",@progbits
; Kernel info:
; codeLenInByte = 0
; NumSgprs: 0
; NumVgprs: 0
; ScratchSize: 0
; MemoryBound: 0
; FloatMode: 240
; IeeeMode: 1
; LDSByteSize: 0 bytes/workgroup (compile time only)
; SGPRBlocks: 0
; VGPRBlocks: 0
; NumSGPRsForWavesPerEU: 1
; NumVGPRsForWavesPerEU: 1
; Occupancy: 16
; WaveLimiterHint : 0
; COMPUTE_PGM_RSRC2:SCRATCH_EN: 0
; COMPUTE_PGM_RSRC2:USER_SGPR: 15
; COMPUTE_PGM_RSRC2:TRAP_HANDLER: 0
; COMPUTE_PGM_RSRC2:TGID_X_EN: 1
; COMPUTE_PGM_RSRC2:TGID_Y_EN: 0
; COMPUTE_PGM_RSRC2:TGID_Z_EN: 0
; COMPUTE_PGM_RSRC2:TIDIG_COMP_CNT: 0
	.section	.text._ZN7rocprim17ROCPRIM_400000_NS6detail17trampoline_kernelINS0_14default_configENS1_22reduce_config_selectorIN6thrust23THRUST_200600_302600_NS5tupleIblNS6_9null_typeES8_S8_S8_S8_S8_S8_S8_EEEEZNS1_11reduce_implILb1ES3_NS6_12zip_iteratorINS7_INS6_11hip_rocprim26transform_input_iterator_tIbNSD_35transform_pair_of_input_iterators_tIbNS6_6detail15normal_iteratorINS6_10device_ptrIKfEEEESL_NS6_8equal_toIfEEEENSG_9not_fun_tINSD_8identityEEEEENSD_19counting_iterator_tIlEES8_S8_S8_S8_S8_S8_S8_S8_EEEEPS9_S9_NSD_9__find_if7functorIS9_EEEE10hipError_tPvRmT1_T2_T3_mT4_P12ihipStream_tbEUlT_E0_NS1_11comp_targetILNS1_3genE10ELNS1_11target_archE1201ELNS1_3gpuE5ELNS1_3repE0EEENS1_30default_config_static_selectorELNS0_4arch9wavefront6targetE0EEEvS14_,"axG",@progbits,_ZN7rocprim17ROCPRIM_400000_NS6detail17trampoline_kernelINS0_14default_configENS1_22reduce_config_selectorIN6thrust23THRUST_200600_302600_NS5tupleIblNS6_9null_typeES8_S8_S8_S8_S8_S8_S8_EEEEZNS1_11reduce_implILb1ES3_NS6_12zip_iteratorINS7_INS6_11hip_rocprim26transform_input_iterator_tIbNSD_35transform_pair_of_input_iterators_tIbNS6_6detail15normal_iteratorINS6_10device_ptrIKfEEEESL_NS6_8equal_toIfEEEENSG_9not_fun_tINSD_8identityEEEEENSD_19counting_iterator_tIlEES8_S8_S8_S8_S8_S8_S8_S8_EEEEPS9_S9_NSD_9__find_if7functorIS9_EEEE10hipError_tPvRmT1_T2_T3_mT4_P12ihipStream_tbEUlT_E0_NS1_11comp_targetILNS1_3genE10ELNS1_11target_archE1201ELNS1_3gpuE5ELNS1_3repE0EEENS1_30default_config_static_selectorELNS0_4arch9wavefront6targetE0EEEvS14_,comdat
	.protected	_ZN7rocprim17ROCPRIM_400000_NS6detail17trampoline_kernelINS0_14default_configENS1_22reduce_config_selectorIN6thrust23THRUST_200600_302600_NS5tupleIblNS6_9null_typeES8_S8_S8_S8_S8_S8_S8_EEEEZNS1_11reduce_implILb1ES3_NS6_12zip_iteratorINS7_INS6_11hip_rocprim26transform_input_iterator_tIbNSD_35transform_pair_of_input_iterators_tIbNS6_6detail15normal_iteratorINS6_10device_ptrIKfEEEESL_NS6_8equal_toIfEEEENSG_9not_fun_tINSD_8identityEEEEENSD_19counting_iterator_tIlEES8_S8_S8_S8_S8_S8_S8_S8_EEEEPS9_S9_NSD_9__find_if7functorIS9_EEEE10hipError_tPvRmT1_T2_T3_mT4_P12ihipStream_tbEUlT_E0_NS1_11comp_targetILNS1_3genE10ELNS1_11target_archE1201ELNS1_3gpuE5ELNS1_3repE0EEENS1_30default_config_static_selectorELNS0_4arch9wavefront6targetE0EEEvS14_ ; -- Begin function _ZN7rocprim17ROCPRIM_400000_NS6detail17trampoline_kernelINS0_14default_configENS1_22reduce_config_selectorIN6thrust23THRUST_200600_302600_NS5tupleIblNS6_9null_typeES8_S8_S8_S8_S8_S8_S8_EEEEZNS1_11reduce_implILb1ES3_NS6_12zip_iteratorINS7_INS6_11hip_rocprim26transform_input_iterator_tIbNSD_35transform_pair_of_input_iterators_tIbNS6_6detail15normal_iteratorINS6_10device_ptrIKfEEEESL_NS6_8equal_toIfEEEENSG_9not_fun_tINSD_8identityEEEEENSD_19counting_iterator_tIlEES8_S8_S8_S8_S8_S8_S8_S8_EEEEPS9_S9_NSD_9__find_if7functorIS9_EEEE10hipError_tPvRmT1_T2_T3_mT4_P12ihipStream_tbEUlT_E0_NS1_11comp_targetILNS1_3genE10ELNS1_11target_archE1201ELNS1_3gpuE5ELNS1_3repE0EEENS1_30default_config_static_selectorELNS0_4arch9wavefront6targetE0EEEvS14_
	.globl	_ZN7rocprim17ROCPRIM_400000_NS6detail17trampoline_kernelINS0_14default_configENS1_22reduce_config_selectorIN6thrust23THRUST_200600_302600_NS5tupleIblNS6_9null_typeES8_S8_S8_S8_S8_S8_S8_EEEEZNS1_11reduce_implILb1ES3_NS6_12zip_iteratorINS7_INS6_11hip_rocprim26transform_input_iterator_tIbNSD_35transform_pair_of_input_iterators_tIbNS6_6detail15normal_iteratorINS6_10device_ptrIKfEEEESL_NS6_8equal_toIfEEEENSG_9not_fun_tINSD_8identityEEEEENSD_19counting_iterator_tIlEES8_S8_S8_S8_S8_S8_S8_S8_EEEEPS9_S9_NSD_9__find_if7functorIS9_EEEE10hipError_tPvRmT1_T2_T3_mT4_P12ihipStream_tbEUlT_E0_NS1_11comp_targetILNS1_3genE10ELNS1_11target_archE1201ELNS1_3gpuE5ELNS1_3repE0EEENS1_30default_config_static_selectorELNS0_4arch9wavefront6targetE0EEEvS14_
	.p2align	8
	.type	_ZN7rocprim17ROCPRIM_400000_NS6detail17trampoline_kernelINS0_14default_configENS1_22reduce_config_selectorIN6thrust23THRUST_200600_302600_NS5tupleIblNS6_9null_typeES8_S8_S8_S8_S8_S8_S8_EEEEZNS1_11reduce_implILb1ES3_NS6_12zip_iteratorINS7_INS6_11hip_rocprim26transform_input_iterator_tIbNSD_35transform_pair_of_input_iterators_tIbNS6_6detail15normal_iteratorINS6_10device_ptrIKfEEEESL_NS6_8equal_toIfEEEENSG_9not_fun_tINSD_8identityEEEEENSD_19counting_iterator_tIlEES8_S8_S8_S8_S8_S8_S8_S8_EEEEPS9_S9_NSD_9__find_if7functorIS9_EEEE10hipError_tPvRmT1_T2_T3_mT4_P12ihipStream_tbEUlT_E0_NS1_11comp_targetILNS1_3genE10ELNS1_11target_archE1201ELNS1_3gpuE5ELNS1_3repE0EEENS1_30default_config_static_selectorELNS0_4arch9wavefront6targetE0EEEvS14_,@function
_ZN7rocprim17ROCPRIM_400000_NS6detail17trampoline_kernelINS0_14default_configENS1_22reduce_config_selectorIN6thrust23THRUST_200600_302600_NS5tupleIblNS6_9null_typeES8_S8_S8_S8_S8_S8_S8_EEEEZNS1_11reduce_implILb1ES3_NS6_12zip_iteratorINS7_INS6_11hip_rocprim26transform_input_iterator_tIbNSD_35transform_pair_of_input_iterators_tIbNS6_6detail15normal_iteratorINS6_10device_ptrIKfEEEESL_NS6_8equal_toIfEEEENSG_9not_fun_tINSD_8identityEEEEENSD_19counting_iterator_tIlEES8_S8_S8_S8_S8_S8_S8_S8_EEEEPS9_S9_NSD_9__find_if7functorIS9_EEEE10hipError_tPvRmT1_T2_T3_mT4_P12ihipStream_tbEUlT_E0_NS1_11comp_targetILNS1_3genE10ELNS1_11target_archE1201ELNS1_3gpuE5ELNS1_3repE0EEENS1_30default_config_static_selectorELNS0_4arch9wavefront6targetE0EEEvS14_: ; @_ZN7rocprim17ROCPRIM_400000_NS6detail17trampoline_kernelINS0_14default_configENS1_22reduce_config_selectorIN6thrust23THRUST_200600_302600_NS5tupleIblNS6_9null_typeES8_S8_S8_S8_S8_S8_S8_EEEEZNS1_11reduce_implILb1ES3_NS6_12zip_iteratorINS7_INS6_11hip_rocprim26transform_input_iterator_tIbNSD_35transform_pair_of_input_iterators_tIbNS6_6detail15normal_iteratorINS6_10device_ptrIKfEEEESL_NS6_8equal_toIfEEEENSG_9not_fun_tINSD_8identityEEEEENSD_19counting_iterator_tIlEES8_S8_S8_S8_S8_S8_S8_S8_EEEEPS9_S9_NSD_9__find_if7functorIS9_EEEE10hipError_tPvRmT1_T2_T3_mT4_P12ihipStream_tbEUlT_E0_NS1_11comp_targetILNS1_3genE10ELNS1_11target_archE1201ELNS1_3gpuE5ELNS1_3repE0EEENS1_30default_config_static_selectorELNS0_4arch9wavefront6targetE0EEEvS14_
; %bb.0:
	.section	.rodata,"a",@progbits
	.p2align	6, 0x0
	.amdhsa_kernel _ZN7rocprim17ROCPRIM_400000_NS6detail17trampoline_kernelINS0_14default_configENS1_22reduce_config_selectorIN6thrust23THRUST_200600_302600_NS5tupleIblNS6_9null_typeES8_S8_S8_S8_S8_S8_S8_EEEEZNS1_11reduce_implILb1ES3_NS6_12zip_iteratorINS7_INS6_11hip_rocprim26transform_input_iterator_tIbNSD_35transform_pair_of_input_iterators_tIbNS6_6detail15normal_iteratorINS6_10device_ptrIKfEEEESL_NS6_8equal_toIfEEEENSG_9not_fun_tINSD_8identityEEEEENSD_19counting_iterator_tIlEES8_S8_S8_S8_S8_S8_S8_S8_EEEEPS9_S9_NSD_9__find_if7functorIS9_EEEE10hipError_tPvRmT1_T2_T3_mT4_P12ihipStream_tbEUlT_E0_NS1_11comp_targetILNS1_3genE10ELNS1_11target_archE1201ELNS1_3gpuE5ELNS1_3repE0EEENS1_30default_config_static_selectorELNS0_4arch9wavefront6targetE0EEEvS14_
		.amdhsa_group_segment_fixed_size 0
		.amdhsa_private_segment_fixed_size 0
		.amdhsa_kernarg_size 104
		.amdhsa_user_sgpr_count 15
		.amdhsa_user_sgpr_dispatch_ptr 0
		.amdhsa_user_sgpr_queue_ptr 0
		.amdhsa_user_sgpr_kernarg_segment_ptr 1
		.amdhsa_user_sgpr_dispatch_id 0
		.amdhsa_user_sgpr_private_segment_size 0
		.amdhsa_wavefront_size32 1
		.amdhsa_uses_dynamic_stack 0
		.amdhsa_enable_private_segment 0
		.amdhsa_system_sgpr_workgroup_id_x 1
		.amdhsa_system_sgpr_workgroup_id_y 0
		.amdhsa_system_sgpr_workgroup_id_z 0
		.amdhsa_system_sgpr_workgroup_info 0
		.amdhsa_system_vgpr_workitem_id 0
		.amdhsa_next_free_vgpr 1
		.amdhsa_next_free_sgpr 1
		.amdhsa_reserve_vcc 0
		.amdhsa_float_round_mode_32 0
		.amdhsa_float_round_mode_16_64 0
		.amdhsa_float_denorm_mode_32 3
		.amdhsa_float_denorm_mode_16_64 3
		.amdhsa_dx10_clamp 1
		.amdhsa_ieee_mode 1
		.amdhsa_fp16_overflow 0
		.amdhsa_workgroup_processor_mode 1
		.amdhsa_memory_ordered 1
		.amdhsa_forward_progress 0
		.amdhsa_shared_vgpr_count 0
		.amdhsa_exception_fp_ieee_invalid_op 0
		.amdhsa_exception_fp_denorm_src 0
		.amdhsa_exception_fp_ieee_div_zero 0
		.amdhsa_exception_fp_ieee_overflow 0
		.amdhsa_exception_fp_ieee_underflow 0
		.amdhsa_exception_fp_ieee_inexact 0
		.amdhsa_exception_int_div_zero 0
	.end_amdhsa_kernel
	.section	.text._ZN7rocprim17ROCPRIM_400000_NS6detail17trampoline_kernelINS0_14default_configENS1_22reduce_config_selectorIN6thrust23THRUST_200600_302600_NS5tupleIblNS6_9null_typeES8_S8_S8_S8_S8_S8_S8_EEEEZNS1_11reduce_implILb1ES3_NS6_12zip_iteratorINS7_INS6_11hip_rocprim26transform_input_iterator_tIbNSD_35transform_pair_of_input_iterators_tIbNS6_6detail15normal_iteratorINS6_10device_ptrIKfEEEESL_NS6_8equal_toIfEEEENSG_9not_fun_tINSD_8identityEEEEENSD_19counting_iterator_tIlEES8_S8_S8_S8_S8_S8_S8_S8_EEEEPS9_S9_NSD_9__find_if7functorIS9_EEEE10hipError_tPvRmT1_T2_T3_mT4_P12ihipStream_tbEUlT_E0_NS1_11comp_targetILNS1_3genE10ELNS1_11target_archE1201ELNS1_3gpuE5ELNS1_3repE0EEENS1_30default_config_static_selectorELNS0_4arch9wavefront6targetE0EEEvS14_,"axG",@progbits,_ZN7rocprim17ROCPRIM_400000_NS6detail17trampoline_kernelINS0_14default_configENS1_22reduce_config_selectorIN6thrust23THRUST_200600_302600_NS5tupleIblNS6_9null_typeES8_S8_S8_S8_S8_S8_S8_EEEEZNS1_11reduce_implILb1ES3_NS6_12zip_iteratorINS7_INS6_11hip_rocprim26transform_input_iterator_tIbNSD_35transform_pair_of_input_iterators_tIbNS6_6detail15normal_iteratorINS6_10device_ptrIKfEEEESL_NS6_8equal_toIfEEEENSG_9not_fun_tINSD_8identityEEEEENSD_19counting_iterator_tIlEES8_S8_S8_S8_S8_S8_S8_S8_EEEEPS9_S9_NSD_9__find_if7functorIS9_EEEE10hipError_tPvRmT1_T2_T3_mT4_P12ihipStream_tbEUlT_E0_NS1_11comp_targetILNS1_3genE10ELNS1_11target_archE1201ELNS1_3gpuE5ELNS1_3repE0EEENS1_30default_config_static_selectorELNS0_4arch9wavefront6targetE0EEEvS14_,comdat
.Lfunc_end452:
	.size	_ZN7rocprim17ROCPRIM_400000_NS6detail17trampoline_kernelINS0_14default_configENS1_22reduce_config_selectorIN6thrust23THRUST_200600_302600_NS5tupleIblNS6_9null_typeES8_S8_S8_S8_S8_S8_S8_EEEEZNS1_11reduce_implILb1ES3_NS6_12zip_iteratorINS7_INS6_11hip_rocprim26transform_input_iterator_tIbNSD_35transform_pair_of_input_iterators_tIbNS6_6detail15normal_iteratorINS6_10device_ptrIKfEEEESL_NS6_8equal_toIfEEEENSG_9not_fun_tINSD_8identityEEEEENSD_19counting_iterator_tIlEES8_S8_S8_S8_S8_S8_S8_S8_EEEEPS9_S9_NSD_9__find_if7functorIS9_EEEE10hipError_tPvRmT1_T2_T3_mT4_P12ihipStream_tbEUlT_E0_NS1_11comp_targetILNS1_3genE10ELNS1_11target_archE1201ELNS1_3gpuE5ELNS1_3repE0EEENS1_30default_config_static_selectorELNS0_4arch9wavefront6targetE0EEEvS14_, .Lfunc_end452-_ZN7rocprim17ROCPRIM_400000_NS6detail17trampoline_kernelINS0_14default_configENS1_22reduce_config_selectorIN6thrust23THRUST_200600_302600_NS5tupleIblNS6_9null_typeES8_S8_S8_S8_S8_S8_S8_EEEEZNS1_11reduce_implILb1ES3_NS6_12zip_iteratorINS7_INS6_11hip_rocprim26transform_input_iterator_tIbNSD_35transform_pair_of_input_iterators_tIbNS6_6detail15normal_iteratorINS6_10device_ptrIKfEEEESL_NS6_8equal_toIfEEEENSG_9not_fun_tINSD_8identityEEEEENSD_19counting_iterator_tIlEES8_S8_S8_S8_S8_S8_S8_S8_EEEEPS9_S9_NSD_9__find_if7functorIS9_EEEE10hipError_tPvRmT1_T2_T3_mT4_P12ihipStream_tbEUlT_E0_NS1_11comp_targetILNS1_3genE10ELNS1_11target_archE1201ELNS1_3gpuE5ELNS1_3repE0EEENS1_30default_config_static_selectorELNS0_4arch9wavefront6targetE0EEEvS14_
                                        ; -- End function
	.section	.AMDGPU.csdata,"",@progbits
; Kernel info:
; codeLenInByte = 0
; NumSgprs: 0
; NumVgprs: 0
; ScratchSize: 0
; MemoryBound: 0
; FloatMode: 240
; IeeeMode: 1
; LDSByteSize: 0 bytes/workgroup (compile time only)
; SGPRBlocks: 0
; VGPRBlocks: 0
; NumSGPRsForWavesPerEU: 1
; NumVGPRsForWavesPerEU: 1
; Occupancy: 16
; WaveLimiterHint : 0
; COMPUTE_PGM_RSRC2:SCRATCH_EN: 0
; COMPUTE_PGM_RSRC2:USER_SGPR: 15
; COMPUTE_PGM_RSRC2:TRAP_HANDLER: 0
; COMPUTE_PGM_RSRC2:TGID_X_EN: 1
; COMPUTE_PGM_RSRC2:TGID_Y_EN: 0
; COMPUTE_PGM_RSRC2:TGID_Z_EN: 0
; COMPUTE_PGM_RSRC2:TIDIG_COMP_CNT: 0
	.section	.text._ZN7rocprim17ROCPRIM_400000_NS6detail17trampoline_kernelINS0_14default_configENS1_22reduce_config_selectorIN6thrust23THRUST_200600_302600_NS5tupleIblNS6_9null_typeES8_S8_S8_S8_S8_S8_S8_EEEEZNS1_11reduce_implILb1ES3_NS6_12zip_iteratorINS7_INS6_11hip_rocprim26transform_input_iterator_tIbNSD_35transform_pair_of_input_iterators_tIbNS6_6detail15normal_iteratorINS6_10device_ptrIKfEEEESL_NS6_8equal_toIfEEEENSG_9not_fun_tINSD_8identityEEEEENSD_19counting_iterator_tIlEES8_S8_S8_S8_S8_S8_S8_S8_EEEEPS9_S9_NSD_9__find_if7functorIS9_EEEE10hipError_tPvRmT1_T2_T3_mT4_P12ihipStream_tbEUlT_E0_NS1_11comp_targetILNS1_3genE10ELNS1_11target_archE1200ELNS1_3gpuE4ELNS1_3repE0EEENS1_30default_config_static_selectorELNS0_4arch9wavefront6targetE0EEEvS14_,"axG",@progbits,_ZN7rocprim17ROCPRIM_400000_NS6detail17trampoline_kernelINS0_14default_configENS1_22reduce_config_selectorIN6thrust23THRUST_200600_302600_NS5tupleIblNS6_9null_typeES8_S8_S8_S8_S8_S8_S8_EEEEZNS1_11reduce_implILb1ES3_NS6_12zip_iteratorINS7_INS6_11hip_rocprim26transform_input_iterator_tIbNSD_35transform_pair_of_input_iterators_tIbNS6_6detail15normal_iteratorINS6_10device_ptrIKfEEEESL_NS6_8equal_toIfEEEENSG_9not_fun_tINSD_8identityEEEEENSD_19counting_iterator_tIlEES8_S8_S8_S8_S8_S8_S8_S8_EEEEPS9_S9_NSD_9__find_if7functorIS9_EEEE10hipError_tPvRmT1_T2_T3_mT4_P12ihipStream_tbEUlT_E0_NS1_11comp_targetILNS1_3genE10ELNS1_11target_archE1200ELNS1_3gpuE4ELNS1_3repE0EEENS1_30default_config_static_selectorELNS0_4arch9wavefront6targetE0EEEvS14_,comdat
	.protected	_ZN7rocprim17ROCPRIM_400000_NS6detail17trampoline_kernelINS0_14default_configENS1_22reduce_config_selectorIN6thrust23THRUST_200600_302600_NS5tupleIblNS6_9null_typeES8_S8_S8_S8_S8_S8_S8_EEEEZNS1_11reduce_implILb1ES3_NS6_12zip_iteratorINS7_INS6_11hip_rocprim26transform_input_iterator_tIbNSD_35transform_pair_of_input_iterators_tIbNS6_6detail15normal_iteratorINS6_10device_ptrIKfEEEESL_NS6_8equal_toIfEEEENSG_9not_fun_tINSD_8identityEEEEENSD_19counting_iterator_tIlEES8_S8_S8_S8_S8_S8_S8_S8_EEEEPS9_S9_NSD_9__find_if7functorIS9_EEEE10hipError_tPvRmT1_T2_T3_mT4_P12ihipStream_tbEUlT_E0_NS1_11comp_targetILNS1_3genE10ELNS1_11target_archE1200ELNS1_3gpuE4ELNS1_3repE0EEENS1_30default_config_static_selectorELNS0_4arch9wavefront6targetE0EEEvS14_ ; -- Begin function _ZN7rocprim17ROCPRIM_400000_NS6detail17trampoline_kernelINS0_14default_configENS1_22reduce_config_selectorIN6thrust23THRUST_200600_302600_NS5tupleIblNS6_9null_typeES8_S8_S8_S8_S8_S8_S8_EEEEZNS1_11reduce_implILb1ES3_NS6_12zip_iteratorINS7_INS6_11hip_rocprim26transform_input_iterator_tIbNSD_35transform_pair_of_input_iterators_tIbNS6_6detail15normal_iteratorINS6_10device_ptrIKfEEEESL_NS6_8equal_toIfEEEENSG_9not_fun_tINSD_8identityEEEEENSD_19counting_iterator_tIlEES8_S8_S8_S8_S8_S8_S8_S8_EEEEPS9_S9_NSD_9__find_if7functorIS9_EEEE10hipError_tPvRmT1_T2_T3_mT4_P12ihipStream_tbEUlT_E0_NS1_11comp_targetILNS1_3genE10ELNS1_11target_archE1200ELNS1_3gpuE4ELNS1_3repE0EEENS1_30default_config_static_selectorELNS0_4arch9wavefront6targetE0EEEvS14_
	.globl	_ZN7rocprim17ROCPRIM_400000_NS6detail17trampoline_kernelINS0_14default_configENS1_22reduce_config_selectorIN6thrust23THRUST_200600_302600_NS5tupleIblNS6_9null_typeES8_S8_S8_S8_S8_S8_S8_EEEEZNS1_11reduce_implILb1ES3_NS6_12zip_iteratorINS7_INS6_11hip_rocprim26transform_input_iterator_tIbNSD_35transform_pair_of_input_iterators_tIbNS6_6detail15normal_iteratorINS6_10device_ptrIKfEEEESL_NS6_8equal_toIfEEEENSG_9not_fun_tINSD_8identityEEEEENSD_19counting_iterator_tIlEES8_S8_S8_S8_S8_S8_S8_S8_EEEEPS9_S9_NSD_9__find_if7functorIS9_EEEE10hipError_tPvRmT1_T2_T3_mT4_P12ihipStream_tbEUlT_E0_NS1_11comp_targetILNS1_3genE10ELNS1_11target_archE1200ELNS1_3gpuE4ELNS1_3repE0EEENS1_30default_config_static_selectorELNS0_4arch9wavefront6targetE0EEEvS14_
	.p2align	8
	.type	_ZN7rocprim17ROCPRIM_400000_NS6detail17trampoline_kernelINS0_14default_configENS1_22reduce_config_selectorIN6thrust23THRUST_200600_302600_NS5tupleIblNS6_9null_typeES8_S8_S8_S8_S8_S8_S8_EEEEZNS1_11reduce_implILb1ES3_NS6_12zip_iteratorINS7_INS6_11hip_rocprim26transform_input_iterator_tIbNSD_35transform_pair_of_input_iterators_tIbNS6_6detail15normal_iteratorINS6_10device_ptrIKfEEEESL_NS6_8equal_toIfEEEENSG_9not_fun_tINSD_8identityEEEEENSD_19counting_iterator_tIlEES8_S8_S8_S8_S8_S8_S8_S8_EEEEPS9_S9_NSD_9__find_if7functorIS9_EEEE10hipError_tPvRmT1_T2_T3_mT4_P12ihipStream_tbEUlT_E0_NS1_11comp_targetILNS1_3genE10ELNS1_11target_archE1200ELNS1_3gpuE4ELNS1_3repE0EEENS1_30default_config_static_selectorELNS0_4arch9wavefront6targetE0EEEvS14_,@function
_ZN7rocprim17ROCPRIM_400000_NS6detail17trampoline_kernelINS0_14default_configENS1_22reduce_config_selectorIN6thrust23THRUST_200600_302600_NS5tupleIblNS6_9null_typeES8_S8_S8_S8_S8_S8_S8_EEEEZNS1_11reduce_implILb1ES3_NS6_12zip_iteratorINS7_INS6_11hip_rocprim26transform_input_iterator_tIbNSD_35transform_pair_of_input_iterators_tIbNS6_6detail15normal_iteratorINS6_10device_ptrIKfEEEESL_NS6_8equal_toIfEEEENSG_9not_fun_tINSD_8identityEEEEENSD_19counting_iterator_tIlEES8_S8_S8_S8_S8_S8_S8_S8_EEEEPS9_S9_NSD_9__find_if7functorIS9_EEEE10hipError_tPvRmT1_T2_T3_mT4_P12ihipStream_tbEUlT_E0_NS1_11comp_targetILNS1_3genE10ELNS1_11target_archE1200ELNS1_3gpuE4ELNS1_3repE0EEENS1_30default_config_static_selectorELNS0_4arch9wavefront6targetE0EEEvS14_: ; @_ZN7rocprim17ROCPRIM_400000_NS6detail17trampoline_kernelINS0_14default_configENS1_22reduce_config_selectorIN6thrust23THRUST_200600_302600_NS5tupleIblNS6_9null_typeES8_S8_S8_S8_S8_S8_S8_EEEEZNS1_11reduce_implILb1ES3_NS6_12zip_iteratorINS7_INS6_11hip_rocprim26transform_input_iterator_tIbNSD_35transform_pair_of_input_iterators_tIbNS6_6detail15normal_iteratorINS6_10device_ptrIKfEEEESL_NS6_8equal_toIfEEEENSG_9not_fun_tINSD_8identityEEEEENSD_19counting_iterator_tIlEES8_S8_S8_S8_S8_S8_S8_S8_EEEEPS9_S9_NSD_9__find_if7functorIS9_EEEE10hipError_tPvRmT1_T2_T3_mT4_P12ihipStream_tbEUlT_E0_NS1_11comp_targetILNS1_3genE10ELNS1_11target_archE1200ELNS1_3gpuE4ELNS1_3repE0EEENS1_30default_config_static_selectorELNS0_4arch9wavefront6targetE0EEEvS14_
; %bb.0:
	.section	.rodata,"a",@progbits
	.p2align	6, 0x0
	.amdhsa_kernel _ZN7rocprim17ROCPRIM_400000_NS6detail17trampoline_kernelINS0_14default_configENS1_22reduce_config_selectorIN6thrust23THRUST_200600_302600_NS5tupleIblNS6_9null_typeES8_S8_S8_S8_S8_S8_S8_EEEEZNS1_11reduce_implILb1ES3_NS6_12zip_iteratorINS7_INS6_11hip_rocprim26transform_input_iterator_tIbNSD_35transform_pair_of_input_iterators_tIbNS6_6detail15normal_iteratorINS6_10device_ptrIKfEEEESL_NS6_8equal_toIfEEEENSG_9not_fun_tINSD_8identityEEEEENSD_19counting_iterator_tIlEES8_S8_S8_S8_S8_S8_S8_S8_EEEEPS9_S9_NSD_9__find_if7functorIS9_EEEE10hipError_tPvRmT1_T2_T3_mT4_P12ihipStream_tbEUlT_E0_NS1_11comp_targetILNS1_3genE10ELNS1_11target_archE1200ELNS1_3gpuE4ELNS1_3repE0EEENS1_30default_config_static_selectorELNS0_4arch9wavefront6targetE0EEEvS14_
		.amdhsa_group_segment_fixed_size 0
		.amdhsa_private_segment_fixed_size 0
		.amdhsa_kernarg_size 104
		.amdhsa_user_sgpr_count 15
		.amdhsa_user_sgpr_dispatch_ptr 0
		.amdhsa_user_sgpr_queue_ptr 0
		.amdhsa_user_sgpr_kernarg_segment_ptr 1
		.amdhsa_user_sgpr_dispatch_id 0
		.amdhsa_user_sgpr_private_segment_size 0
		.amdhsa_wavefront_size32 1
		.amdhsa_uses_dynamic_stack 0
		.amdhsa_enable_private_segment 0
		.amdhsa_system_sgpr_workgroup_id_x 1
		.amdhsa_system_sgpr_workgroup_id_y 0
		.amdhsa_system_sgpr_workgroup_id_z 0
		.amdhsa_system_sgpr_workgroup_info 0
		.amdhsa_system_vgpr_workitem_id 0
		.amdhsa_next_free_vgpr 1
		.amdhsa_next_free_sgpr 1
		.amdhsa_reserve_vcc 0
		.amdhsa_float_round_mode_32 0
		.amdhsa_float_round_mode_16_64 0
		.amdhsa_float_denorm_mode_32 3
		.amdhsa_float_denorm_mode_16_64 3
		.amdhsa_dx10_clamp 1
		.amdhsa_ieee_mode 1
		.amdhsa_fp16_overflow 0
		.amdhsa_workgroup_processor_mode 1
		.amdhsa_memory_ordered 1
		.amdhsa_forward_progress 0
		.amdhsa_shared_vgpr_count 0
		.amdhsa_exception_fp_ieee_invalid_op 0
		.amdhsa_exception_fp_denorm_src 0
		.amdhsa_exception_fp_ieee_div_zero 0
		.amdhsa_exception_fp_ieee_overflow 0
		.amdhsa_exception_fp_ieee_underflow 0
		.amdhsa_exception_fp_ieee_inexact 0
		.amdhsa_exception_int_div_zero 0
	.end_amdhsa_kernel
	.section	.text._ZN7rocprim17ROCPRIM_400000_NS6detail17trampoline_kernelINS0_14default_configENS1_22reduce_config_selectorIN6thrust23THRUST_200600_302600_NS5tupleIblNS6_9null_typeES8_S8_S8_S8_S8_S8_S8_EEEEZNS1_11reduce_implILb1ES3_NS6_12zip_iteratorINS7_INS6_11hip_rocprim26transform_input_iterator_tIbNSD_35transform_pair_of_input_iterators_tIbNS6_6detail15normal_iteratorINS6_10device_ptrIKfEEEESL_NS6_8equal_toIfEEEENSG_9not_fun_tINSD_8identityEEEEENSD_19counting_iterator_tIlEES8_S8_S8_S8_S8_S8_S8_S8_EEEEPS9_S9_NSD_9__find_if7functorIS9_EEEE10hipError_tPvRmT1_T2_T3_mT4_P12ihipStream_tbEUlT_E0_NS1_11comp_targetILNS1_3genE10ELNS1_11target_archE1200ELNS1_3gpuE4ELNS1_3repE0EEENS1_30default_config_static_selectorELNS0_4arch9wavefront6targetE0EEEvS14_,"axG",@progbits,_ZN7rocprim17ROCPRIM_400000_NS6detail17trampoline_kernelINS0_14default_configENS1_22reduce_config_selectorIN6thrust23THRUST_200600_302600_NS5tupleIblNS6_9null_typeES8_S8_S8_S8_S8_S8_S8_EEEEZNS1_11reduce_implILb1ES3_NS6_12zip_iteratorINS7_INS6_11hip_rocprim26transform_input_iterator_tIbNSD_35transform_pair_of_input_iterators_tIbNS6_6detail15normal_iteratorINS6_10device_ptrIKfEEEESL_NS6_8equal_toIfEEEENSG_9not_fun_tINSD_8identityEEEEENSD_19counting_iterator_tIlEES8_S8_S8_S8_S8_S8_S8_S8_EEEEPS9_S9_NSD_9__find_if7functorIS9_EEEE10hipError_tPvRmT1_T2_T3_mT4_P12ihipStream_tbEUlT_E0_NS1_11comp_targetILNS1_3genE10ELNS1_11target_archE1200ELNS1_3gpuE4ELNS1_3repE0EEENS1_30default_config_static_selectorELNS0_4arch9wavefront6targetE0EEEvS14_,comdat
.Lfunc_end453:
	.size	_ZN7rocprim17ROCPRIM_400000_NS6detail17trampoline_kernelINS0_14default_configENS1_22reduce_config_selectorIN6thrust23THRUST_200600_302600_NS5tupleIblNS6_9null_typeES8_S8_S8_S8_S8_S8_S8_EEEEZNS1_11reduce_implILb1ES3_NS6_12zip_iteratorINS7_INS6_11hip_rocprim26transform_input_iterator_tIbNSD_35transform_pair_of_input_iterators_tIbNS6_6detail15normal_iteratorINS6_10device_ptrIKfEEEESL_NS6_8equal_toIfEEEENSG_9not_fun_tINSD_8identityEEEEENSD_19counting_iterator_tIlEES8_S8_S8_S8_S8_S8_S8_S8_EEEEPS9_S9_NSD_9__find_if7functorIS9_EEEE10hipError_tPvRmT1_T2_T3_mT4_P12ihipStream_tbEUlT_E0_NS1_11comp_targetILNS1_3genE10ELNS1_11target_archE1200ELNS1_3gpuE4ELNS1_3repE0EEENS1_30default_config_static_selectorELNS0_4arch9wavefront6targetE0EEEvS14_, .Lfunc_end453-_ZN7rocprim17ROCPRIM_400000_NS6detail17trampoline_kernelINS0_14default_configENS1_22reduce_config_selectorIN6thrust23THRUST_200600_302600_NS5tupleIblNS6_9null_typeES8_S8_S8_S8_S8_S8_S8_EEEEZNS1_11reduce_implILb1ES3_NS6_12zip_iteratorINS7_INS6_11hip_rocprim26transform_input_iterator_tIbNSD_35transform_pair_of_input_iterators_tIbNS6_6detail15normal_iteratorINS6_10device_ptrIKfEEEESL_NS6_8equal_toIfEEEENSG_9not_fun_tINSD_8identityEEEEENSD_19counting_iterator_tIlEES8_S8_S8_S8_S8_S8_S8_S8_EEEEPS9_S9_NSD_9__find_if7functorIS9_EEEE10hipError_tPvRmT1_T2_T3_mT4_P12ihipStream_tbEUlT_E0_NS1_11comp_targetILNS1_3genE10ELNS1_11target_archE1200ELNS1_3gpuE4ELNS1_3repE0EEENS1_30default_config_static_selectorELNS0_4arch9wavefront6targetE0EEEvS14_
                                        ; -- End function
	.section	.AMDGPU.csdata,"",@progbits
; Kernel info:
; codeLenInByte = 0
; NumSgprs: 0
; NumVgprs: 0
; ScratchSize: 0
; MemoryBound: 0
; FloatMode: 240
; IeeeMode: 1
; LDSByteSize: 0 bytes/workgroup (compile time only)
; SGPRBlocks: 0
; VGPRBlocks: 0
; NumSGPRsForWavesPerEU: 1
; NumVGPRsForWavesPerEU: 1
; Occupancy: 16
; WaveLimiterHint : 0
; COMPUTE_PGM_RSRC2:SCRATCH_EN: 0
; COMPUTE_PGM_RSRC2:USER_SGPR: 15
; COMPUTE_PGM_RSRC2:TRAP_HANDLER: 0
; COMPUTE_PGM_RSRC2:TGID_X_EN: 1
; COMPUTE_PGM_RSRC2:TGID_Y_EN: 0
; COMPUTE_PGM_RSRC2:TGID_Z_EN: 0
; COMPUTE_PGM_RSRC2:TIDIG_COMP_CNT: 0
	.section	.text._ZN7rocprim17ROCPRIM_400000_NS6detail17trampoline_kernelINS0_14default_configENS1_22reduce_config_selectorIN6thrust23THRUST_200600_302600_NS5tupleIblNS6_9null_typeES8_S8_S8_S8_S8_S8_S8_EEEEZNS1_11reduce_implILb1ES3_NS6_12zip_iteratorINS7_INS6_11hip_rocprim26transform_input_iterator_tIbNSD_35transform_pair_of_input_iterators_tIbNS6_6detail15normal_iteratorINS6_10device_ptrIKfEEEESL_NS6_8equal_toIfEEEENSG_9not_fun_tINSD_8identityEEEEENSD_19counting_iterator_tIlEES8_S8_S8_S8_S8_S8_S8_S8_EEEEPS9_S9_NSD_9__find_if7functorIS9_EEEE10hipError_tPvRmT1_T2_T3_mT4_P12ihipStream_tbEUlT_E0_NS1_11comp_targetILNS1_3genE9ELNS1_11target_archE1100ELNS1_3gpuE3ELNS1_3repE0EEENS1_30default_config_static_selectorELNS0_4arch9wavefront6targetE0EEEvS14_,"axG",@progbits,_ZN7rocprim17ROCPRIM_400000_NS6detail17trampoline_kernelINS0_14default_configENS1_22reduce_config_selectorIN6thrust23THRUST_200600_302600_NS5tupleIblNS6_9null_typeES8_S8_S8_S8_S8_S8_S8_EEEEZNS1_11reduce_implILb1ES3_NS6_12zip_iteratorINS7_INS6_11hip_rocprim26transform_input_iterator_tIbNSD_35transform_pair_of_input_iterators_tIbNS6_6detail15normal_iteratorINS6_10device_ptrIKfEEEESL_NS6_8equal_toIfEEEENSG_9not_fun_tINSD_8identityEEEEENSD_19counting_iterator_tIlEES8_S8_S8_S8_S8_S8_S8_S8_EEEEPS9_S9_NSD_9__find_if7functorIS9_EEEE10hipError_tPvRmT1_T2_T3_mT4_P12ihipStream_tbEUlT_E0_NS1_11comp_targetILNS1_3genE9ELNS1_11target_archE1100ELNS1_3gpuE3ELNS1_3repE0EEENS1_30default_config_static_selectorELNS0_4arch9wavefront6targetE0EEEvS14_,comdat
	.protected	_ZN7rocprim17ROCPRIM_400000_NS6detail17trampoline_kernelINS0_14default_configENS1_22reduce_config_selectorIN6thrust23THRUST_200600_302600_NS5tupleIblNS6_9null_typeES8_S8_S8_S8_S8_S8_S8_EEEEZNS1_11reduce_implILb1ES3_NS6_12zip_iteratorINS7_INS6_11hip_rocprim26transform_input_iterator_tIbNSD_35transform_pair_of_input_iterators_tIbNS6_6detail15normal_iteratorINS6_10device_ptrIKfEEEESL_NS6_8equal_toIfEEEENSG_9not_fun_tINSD_8identityEEEEENSD_19counting_iterator_tIlEES8_S8_S8_S8_S8_S8_S8_S8_EEEEPS9_S9_NSD_9__find_if7functorIS9_EEEE10hipError_tPvRmT1_T2_T3_mT4_P12ihipStream_tbEUlT_E0_NS1_11comp_targetILNS1_3genE9ELNS1_11target_archE1100ELNS1_3gpuE3ELNS1_3repE0EEENS1_30default_config_static_selectorELNS0_4arch9wavefront6targetE0EEEvS14_ ; -- Begin function _ZN7rocprim17ROCPRIM_400000_NS6detail17trampoline_kernelINS0_14default_configENS1_22reduce_config_selectorIN6thrust23THRUST_200600_302600_NS5tupleIblNS6_9null_typeES8_S8_S8_S8_S8_S8_S8_EEEEZNS1_11reduce_implILb1ES3_NS6_12zip_iteratorINS7_INS6_11hip_rocprim26transform_input_iterator_tIbNSD_35transform_pair_of_input_iterators_tIbNS6_6detail15normal_iteratorINS6_10device_ptrIKfEEEESL_NS6_8equal_toIfEEEENSG_9not_fun_tINSD_8identityEEEEENSD_19counting_iterator_tIlEES8_S8_S8_S8_S8_S8_S8_S8_EEEEPS9_S9_NSD_9__find_if7functorIS9_EEEE10hipError_tPvRmT1_T2_T3_mT4_P12ihipStream_tbEUlT_E0_NS1_11comp_targetILNS1_3genE9ELNS1_11target_archE1100ELNS1_3gpuE3ELNS1_3repE0EEENS1_30default_config_static_selectorELNS0_4arch9wavefront6targetE0EEEvS14_
	.globl	_ZN7rocprim17ROCPRIM_400000_NS6detail17trampoline_kernelINS0_14default_configENS1_22reduce_config_selectorIN6thrust23THRUST_200600_302600_NS5tupleIblNS6_9null_typeES8_S8_S8_S8_S8_S8_S8_EEEEZNS1_11reduce_implILb1ES3_NS6_12zip_iteratorINS7_INS6_11hip_rocprim26transform_input_iterator_tIbNSD_35transform_pair_of_input_iterators_tIbNS6_6detail15normal_iteratorINS6_10device_ptrIKfEEEESL_NS6_8equal_toIfEEEENSG_9not_fun_tINSD_8identityEEEEENSD_19counting_iterator_tIlEES8_S8_S8_S8_S8_S8_S8_S8_EEEEPS9_S9_NSD_9__find_if7functorIS9_EEEE10hipError_tPvRmT1_T2_T3_mT4_P12ihipStream_tbEUlT_E0_NS1_11comp_targetILNS1_3genE9ELNS1_11target_archE1100ELNS1_3gpuE3ELNS1_3repE0EEENS1_30default_config_static_selectorELNS0_4arch9wavefront6targetE0EEEvS14_
	.p2align	8
	.type	_ZN7rocprim17ROCPRIM_400000_NS6detail17trampoline_kernelINS0_14default_configENS1_22reduce_config_selectorIN6thrust23THRUST_200600_302600_NS5tupleIblNS6_9null_typeES8_S8_S8_S8_S8_S8_S8_EEEEZNS1_11reduce_implILb1ES3_NS6_12zip_iteratorINS7_INS6_11hip_rocprim26transform_input_iterator_tIbNSD_35transform_pair_of_input_iterators_tIbNS6_6detail15normal_iteratorINS6_10device_ptrIKfEEEESL_NS6_8equal_toIfEEEENSG_9not_fun_tINSD_8identityEEEEENSD_19counting_iterator_tIlEES8_S8_S8_S8_S8_S8_S8_S8_EEEEPS9_S9_NSD_9__find_if7functorIS9_EEEE10hipError_tPvRmT1_T2_T3_mT4_P12ihipStream_tbEUlT_E0_NS1_11comp_targetILNS1_3genE9ELNS1_11target_archE1100ELNS1_3gpuE3ELNS1_3repE0EEENS1_30default_config_static_selectorELNS0_4arch9wavefront6targetE0EEEvS14_,@function
_ZN7rocprim17ROCPRIM_400000_NS6detail17trampoline_kernelINS0_14default_configENS1_22reduce_config_selectorIN6thrust23THRUST_200600_302600_NS5tupleIblNS6_9null_typeES8_S8_S8_S8_S8_S8_S8_EEEEZNS1_11reduce_implILb1ES3_NS6_12zip_iteratorINS7_INS6_11hip_rocprim26transform_input_iterator_tIbNSD_35transform_pair_of_input_iterators_tIbNS6_6detail15normal_iteratorINS6_10device_ptrIKfEEEESL_NS6_8equal_toIfEEEENSG_9not_fun_tINSD_8identityEEEEENSD_19counting_iterator_tIlEES8_S8_S8_S8_S8_S8_S8_S8_EEEEPS9_S9_NSD_9__find_if7functorIS9_EEEE10hipError_tPvRmT1_T2_T3_mT4_P12ihipStream_tbEUlT_E0_NS1_11comp_targetILNS1_3genE9ELNS1_11target_archE1100ELNS1_3gpuE3ELNS1_3repE0EEENS1_30default_config_static_selectorELNS0_4arch9wavefront6targetE0EEEvS14_: ; @_ZN7rocprim17ROCPRIM_400000_NS6detail17trampoline_kernelINS0_14default_configENS1_22reduce_config_selectorIN6thrust23THRUST_200600_302600_NS5tupleIblNS6_9null_typeES8_S8_S8_S8_S8_S8_S8_EEEEZNS1_11reduce_implILb1ES3_NS6_12zip_iteratorINS7_INS6_11hip_rocprim26transform_input_iterator_tIbNSD_35transform_pair_of_input_iterators_tIbNS6_6detail15normal_iteratorINS6_10device_ptrIKfEEEESL_NS6_8equal_toIfEEEENSG_9not_fun_tINSD_8identityEEEEENSD_19counting_iterator_tIlEES8_S8_S8_S8_S8_S8_S8_S8_EEEEPS9_S9_NSD_9__find_if7functorIS9_EEEE10hipError_tPvRmT1_T2_T3_mT4_P12ihipStream_tbEUlT_E0_NS1_11comp_targetILNS1_3genE9ELNS1_11target_archE1100ELNS1_3gpuE3ELNS1_3repE0EEENS1_30default_config_static_selectorELNS0_4arch9wavefront6targetE0EEEvS14_
; %bb.0:
	s_clause 0x1
	s_load_b256 s[4:11], s[0:1], 0x20
	s_load_b128 s[24:27], s[0:1], 0x0
	s_mov_b32 s16, s15
	s_load_b128 s[12:15], s[0:1], 0x40
	s_mov_b32 s23, 0
	v_lshlrev_b32_e32 v9, 2, v0
	s_mov_b32 s17, s23
	s_waitcnt lgkmcnt(0)
	s_lshl_b64 s[2:3], s[6:7], 2
	s_delay_alu instid0(SALU_CYCLE_1)
	s_add_u32 s18, s24, s2
	s_addc_u32 s19, s25, s3
	s_add_u32 s20, s26, s2
	s_addc_u32 s21, s27, s3
	s_lshl_b32 s22, s16, 10
	s_lshr_b64 s[24:25], s[8:9], 10
	s_lshl_b64 s[2:3], s[22:23], 2
	s_delay_alu instid0(SALU_CYCLE_1)
	s_add_u32 s18, s18, s2
	s_addc_u32 s19, s19, s3
	s_add_u32 s20, s20, s2
	s_addc_u32 s21, s21, s3
	;; [unrolled: 2-line block ×4, first 2 shown]
	s_cmp_lg_u64 s[24:25], s[16:17]
	s_cbranch_scc0 .LBB454_16
; %bb.1:
	s_clause 0x7
	global_load_b32 v1, v9, s[20:21] offset:1024
	global_load_b32 v2, v9, s[18:19] offset:1024
	global_load_b32 v3, v9, s[18:19]
	global_load_b32 v4, v9, s[20:21]
	global_load_b32 v5, v9, s[18:19] offset:2048
	global_load_b32 v6, v9, s[20:21] offset:2048
	;; [unrolled: 1-line block ×4, first 2 shown]
	v_mov_b32_e32 v10, 0x100
	s_waitcnt vmcnt(6)
	v_cmp_neq_f32_e32 vcc_lo, v2, v1
	s_waitcnt vmcnt(4)
	v_cmp_neq_f32_e64 s2, v3, v4
	s_waitcnt vmcnt(2)
	v_cmp_neq_f32_e64 s3, v5, v6
	v_cndmask_b32_e32 v1, 0x200, v10, vcc_lo
	s_waitcnt vmcnt(0)
	v_cmp_neq_f32_e64 s4, v8, v7
	s_delay_alu instid0(VALU_DEP_2) | instskip(SKIP_1) | instid1(SALU_CYCLE_1)
	v_cndmask_b32_e64 v1, v1, 0, s2
	s_or_b32 s2, s2, vcc_lo
	s_or_b32 vcc_lo, s2, s3
	v_add_co_u32 v2, s2, s5, v0
	s_delay_alu instid0(VALU_DEP_2) | instskip(SKIP_3) | instid1(VALU_DEP_3)
	v_cndmask_b32_e32 v1, 0x300, v1, vcc_lo
	s_or_b32 s3, vcc_lo, s4
	v_add_co_ci_u32_e64 v3, null, s23, 0, s2
	v_cndmask_b32_e64 v5, 0, 1, s3
	v_add_co_u32 v1, vcc_lo, v2, v1
	s_delay_alu instid0(VALU_DEP_3) | instskip(NEXT) | instid1(VALU_DEP_3)
	v_add_co_ci_u32_e32 v2, vcc_lo, 0, v3, vcc_lo
	v_mov_b32_dpp v6, v5 quad_perm:[1,0,3,2] row_mask:0xf bank_mask:0xf
	s_delay_alu instid0(VALU_DEP_3) | instskip(SKIP_1) | instid1(VALU_DEP_3)
	v_mov_b32_dpp v3, v1 quad_perm:[1,0,3,2] row_mask:0xf bank_mask:0xf
	s_mov_b32 s4, exec_lo
	v_mov_b32_dpp v4, v2 quad_perm:[1,0,3,2] row_mask:0xf bank_mask:0xf
	s_delay_alu instid0(VALU_DEP_3) | instskip(NEXT) | instid1(VALU_DEP_1)
	v_and_b32_e32 v7, 1, v6
	v_cmpx_eq_u32_e32 1, v7
; %bb.2:
	v_cndmask_b32_e64 v5, v6, 1, s3
	s_delay_alu instid0(VALU_DEP_4) | instskip(NEXT) | instid1(VALU_DEP_2)
	v_cmp_lt_i64_e32 vcc_lo, v[1:2], v[3:4]
	v_and_b32_e32 v6, 1, v5
	v_and_b32_e32 v5, 0xff, v5
	s_and_b32 vcc_lo, s3, vcc_lo
	s_and_not1_b32 s3, s3, exec_lo
	v_dual_cndmask_b32 v2, v4, v2 :: v_dual_cndmask_b32 v1, v3, v1
	v_cmp_eq_u32_e64 s2, 1, v6
	s_delay_alu instid0(VALU_DEP_1) | instskip(NEXT) | instid1(SALU_CYCLE_1)
	s_and_b32 s2, s2, exec_lo
	s_or_b32 s3, s3, s2
; %bb.3:
	s_or_b32 exec_lo, exec_lo, s4
	v_mov_b32_dpp v6, v5 quad_perm:[2,3,0,1] row_mask:0xf bank_mask:0xf
	v_mov_b32_dpp v3, v1 quad_perm:[2,3,0,1] row_mask:0xf bank_mask:0xf
	;; [unrolled: 1-line block ×3, first 2 shown]
	s_mov_b32 s4, exec_lo
	s_delay_alu instid0(VALU_DEP_3) | instskip(NEXT) | instid1(VALU_DEP_1)
	v_and_b32_e32 v7, 1, v6
	v_cmpx_eq_u32_e32 1, v7
; %bb.4:
	v_cndmask_b32_e64 v5, v6, 1, s3
	v_cmp_lt_i64_e32 vcc_lo, v[1:2], v[3:4]
	s_delay_alu instid0(VALU_DEP_2)
	v_and_b32_e32 v6, 1, v5
	v_and_b32_e32 v5, 0xff, v5
	s_and_b32 vcc_lo, s3, vcc_lo
	s_and_not1_b32 s3, s3, exec_lo
	v_dual_cndmask_b32 v2, v4, v2 :: v_dual_cndmask_b32 v1, v3, v1
	v_cmp_eq_u32_e64 s2, 1, v6
	s_delay_alu instid0(VALU_DEP_1) | instskip(NEXT) | instid1(SALU_CYCLE_1)
	s_and_b32 s2, s2, exec_lo
	s_or_b32 s3, s3, s2
; %bb.5:
	s_or_b32 exec_lo, exec_lo, s4
	v_mov_b32_dpp v6, v5 row_ror:4 row_mask:0xf bank_mask:0xf
	v_mov_b32_dpp v3, v1 row_ror:4 row_mask:0xf bank_mask:0xf
	v_mov_b32_dpp v4, v2 row_ror:4 row_mask:0xf bank_mask:0xf
	s_mov_b32 s4, exec_lo
	s_delay_alu instid0(VALU_DEP_3) | instskip(NEXT) | instid1(VALU_DEP_1)
	v_and_b32_e32 v7, 1, v6
	v_cmpx_eq_u32_e32 1, v7
; %bb.6:
	v_cndmask_b32_e64 v5, v6, 1, s3
	v_cmp_lt_i64_e32 vcc_lo, v[1:2], v[3:4]
	s_delay_alu instid0(VALU_DEP_2)
	v_and_b32_e32 v6, 1, v5
	v_and_b32_e32 v5, 0xff, v5
	s_and_b32 vcc_lo, s3, vcc_lo
	s_and_not1_b32 s3, s3, exec_lo
	v_dual_cndmask_b32 v2, v4, v2 :: v_dual_cndmask_b32 v1, v3, v1
	v_cmp_eq_u32_e64 s2, 1, v6
	s_delay_alu instid0(VALU_DEP_1) | instskip(NEXT) | instid1(SALU_CYCLE_1)
	s_and_b32 s2, s2, exec_lo
	s_or_b32 s3, s3, s2
; %bb.7:
	s_or_b32 exec_lo, exec_lo, s4
	v_mov_b32_dpp v6, v5 row_ror:8 row_mask:0xf bank_mask:0xf
	v_mov_b32_dpp v3, v1 row_ror:8 row_mask:0xf bank_mask:0xf
	;; [unrolled: 1-line block ×3, first 2 shown]
	s_mov_b32 s4, exec_lo
	s_delay_alu instid0(VALU_DEP_3) | instskip(NEXT) | instid1(VALU_DEP_1)
	v_and_b32_e32 v7, 1, v6
	v_cmpx_eq_u32_e32 1, v7
; %bb.8:
	v_cndmask_b32_e64 v5, v6, 1, s3
	v_cmp_lt_i64_e32 vcc_lo, v[1:2], v[3:4]
	s_delay_alu instid0(VALU_DEP_2)
	v_and_b32_e32 v6, 1, v5
	v_and_b32_e32 v5, 0xff, v5
	s_and_b32 vcc_lo, s3, vcc_lo
	s_and_not1_b32 s3, s3, exec_lo
	v_dual_cndmask_b32 v2, v4, v2 :: v_dual_cndmask_b32 v1, v3, v1
	v_cmp_eq_u32_e64 s2, 1, v6
	s_delay_alu instid0(VALU_DEP_1) | instskip(NEXT) | instid1(SALU_CYCLE_1)
	s_and_b32 s2, s2, exec_lo
	s_or_b32 s3, s3, s2
; %bb.9:
	s_or_b32 exec_lo, exec_lo, s4
	ds_swizzle_b32 v6, v5 offset:swizzle(BROADCAST,32,15)
	ds_swizzle_b32 v3, v1 offset:swizzle(BROADCAST,32,15)
	;; [unrolled: 1-line block ×3, first 2 shown]
	s_mov_b32 s2, exec_lo
	s_waitcnt lgkmcnt(2)
	v_and_b32_e32 v7, 1, v6
	s_delay_alu instid0(VALU_DEP_1)
	v_cmpx_eq_u32_e32 1, v7
	s_cbranch_execz .LBB454_11
; %bb.10:
	s_waitcnt lgkmcnt(0)
	v_cmp_lt_i64_e32 vcc_lo, v[1:2], v[3:4]
	v_and_b32_e32 v5, 0xff, v6
	s_delay_alu instid0(VALU_DEP_1)
	v_cndmask_b32_e64 v5, v5, 1, s3
	s_and_b32 vcc_lo, s3, vcc_lo
	v_dual_cndmask_b32 v1, v3, v1 :: v_dual_cndmask_b32 v2, v4, v2
.LBB454_11:
	s_or_b32 exec_lo, exec_lo, s2
	s_waitcnt lgkmcnt(1)
	v_mov_b32_e32 v3, 0
	s_mov_b32 s2, exec_lo
	ds_bpermute_b32 v6, v3, v5 offset:124
	ds_bpermute_b32 v1, v3, v1 offset:124
	ds_bpermute_b32 v2, v3, v2 offset:124
	v_mbcnt_lo_u32_b32 v3, -1, 0
	s_delay_alu instid0(VALU_DEP_1)
	v_cmpx_eq_u32_e32 0, v3
	s_cbranch_execz .LBB454_13
; %bb.12:
	s_waitcnt lgkmcnt(3)
	v_lshrrev_b32_e32 v4, 1, v0
	s_delay_alu instid0(VALU_DEP_1)
	v_and_b32_e32 v4, 0x70, v4
	s_waitcnt lgkmcnt(2)
	ds_store_b8 v4, v6
	s_waitcnt lgkmcnt(1)
	ds_store_b64 v4, v[1:2] offset:8
.LBB454_13:
	s_or_b32 exec_lo, exec_lo, s2
	s_delay_alu instid0(SALU_CYCLE_1)
	s_mov_b32 s4, exec_lo
	s_waitcnt lgkmcnt(0)
	s_barrier
	buffer_gl0_inv
	v_cmpx_gt_u32_e32 32, v0
	s_cbranch_execz .LBB454_15
; %bb.14:
	v_and_b32_e32 v6, 7, v3
	s_delay_alu instid0(VALU_DEP_1)
	v_lshlrev_b32_e32 v1, 4, v6
	v_cmp_ne_u32_e32 vcc_lo, 7, v6
	ds_load_u8 v7, v1
	ds_load_b64 v[1:2], v1 offset:8
	v_add_co_ci_u32_e32 v4, vcc_lo, 0, v3, vcc_lo
	v_cmp_gt_u32_e32 vcc_lo, 6, v6
	s_delay_alu instid0(VALU_DEP_2)
	v_lshlrev_b32_e32 v5, 2, v4
	v_cndmask_b32_e64 v11, 0, 1, vcc_lo
	s_waitcnt lgkmcnt(1)
	v_and_b32_e32 v4, 0xff, v7
	v_and_b32_e32 v12, 1, v7
	ds_bpermute_b32 v8, v5, v4
	s_waitcnt lgkmcnt(1)
	ds_bpermute_b32 v4, v5, v1
	ds_bpermute_b32 v5, v5, v2
	v_cmp_eq_u32_e64 s3, 1, v12
	s_waitcnt lgkmcnt(2)
	v_and_b32_e32 v10, 1, v8
	s_waitcnt lgkmcnt(0)
	v_cmp_lt_i64_e64 s2, v[4:5], v[1:2]
	s_delay_alu instid0(VALU_DEP_2) | instskip(SKIP_2) | instid1(VALU_DEP_4)
	v_cmp_eq_u32_e32 vcc_lo, 1, v10
	v_lshlrev_b32_e32 v10, 1, v11
	v_cndmask_b32_e64 v7, v7, 1, vcc_lo
	s_and_b32 vcc_lo, vcc_lo, s2
	v_dual_cndmask_b32 v1, v1, v4 :: v_dual_cndmask_b32 v2, v2, v5
	s_delay_alu instid0(VALU_DEP_2) | instskip(SKIP_2) | instid1(VALU_DEP_4)
	v_cndmask_b32_e64 v7, v8, v7, s3
	v_add_lshl_u32 v8, v10, v3, 2
	v_cmp_gt_u32_e32 vcc_lo, 4, v6
	v_cndmask_b32_e64 v1, v4, v1, s3
	v_cndmask_b32_e64 v2, v5, v2, s3
	v_and_b32_e32 v10, 0xff, v7
	v_cndmask_b32_e64 v6, 0, 1, vcc_lo
	ds_bpermute_b32 v4, v8, v1
	ds_bpermute_b32 v5, v8, v2
	;; [unrolled: 1-line block ×3, first 2 shown]
	v_and_b32_e32 v11, 1, v7
	v_lshlrev_b32_e32 v6, 2, v6
	s_delay_alu instid0(VALU_DEP_1) | instskip(SKIP_4) | instid1(VALU_DEP_1)
	v_add_lshl_u32 v6, v6, v3, 2
	s_waitcnt lgkmcnt(1)
	v_cmp_lt_i64_e64 s2, v[4:5], v[1:2]
	s_waitcnt lgkmcnt(0)
	v_and_b32_e32 v8, 1, v10
	v_cmp_eq_u32_e32 vcc_lo, 1, v8
	v_cndmask_b32_e64 v7, v7, 1, vcc_lo
	s_delay_alu instid0(VALU_DEP_4) | instskip(SKIP_3) | instid1(VALU_DEP_2)
	s_and_b32 vcc_lo, vcc_lo, s2
	v_cndmask_b32_e32 v2, v2, v5, vcc_lo
	v_cmp_eq_u32_e64 s3, 1, v11
	v_cndmask_b32_e32 v1, v1, v4, vcc_lo
	v_cndmask_b32_e64 v7, v10, v7, s3
	s_delay_alu instid0(VALU_DEP_4) | instskip(NEXT) | instid1(VALU_DEP_3)
	v_cndmask_b32_e64 v2, v5, v2, s3
	v_cndmask_b32_e64 v1, v4, v1, s3
	ds_bpermute_b32 v4, v6, v2
	v_and_b32_e32 v3, 0xff, v7
	ds_bpermute_b32 v5, v6, v3
	ds_bpermute_b32 v3, v6, v1
	s_waitcnt lgkmcnt(1)
	v_and_b32_e32 v6, 1, v5
	s_waitcnt lgkmcnt(0)
	v_cmp_lt_i64_e32 vcc_lo, v[3:4], v[1:2]
	s_delay_alu instid0(VALU_DEP_2) | instskip(SKIP_1) | instid1(VALU_DEP_2)
	v_cmp_eq_u32_e64 s2, 1, v6
	v_and_b32_e32 v6, 1, v7
	v_cndmask_b32_e64 v7, v7, 1, s2
	s_and_b32 vcc_lo, s2, vcc_lo
	s_delay_alu instid0(VALU_DEP_2) | instskip(SKIP_1) | instid1(VALU_DEP_2)
	v_cmp_eq_u32_e64 s2, 1, v6
	v_dual_cndmask_b32 v2, v2, v4 :: v_dual_cndmask_b32 v1, v1, v3
	v_cndmask_b32_e64 v5, v5, v7, s2
	s_delay_alu instid0(VALU_DEP_2) | instskip(NEXT) | instid1(VALU_DEP_3)
	v_cndmask_b32_e64 v2, v4, v2, s2
	v_cndmask_b32_e64 v1, v3, v1, s2
	s_delay_alu instid0(VALU_DEP_3)
	v_and_b32_e32 v6, 0xff, v5
.LBB454_15:
	s_or_b32 exec_lo, exec_lo, s4
	s_load_b64 s[6:7], s[0:1], 0x58
	s_branch .LBB454_49
.LBB454_16:
                                        ; implicit-def: $vgpr1_vgpr2
                                        ; implicit-def: $vgpr6
	s_load_b64 s[6:7], s[0:1], 0x58
	s_cbranch_execz .LBB454_49
; %bb.17:
	v_dual_mov_b32 v5, 0 :: v_dual_mov_b32 v12, 0
	v_mov_b32_e32 v6, 0
	s_delay_alu instid0(VALU_DEP_2) | instskip(SKIP_2) | instid1(VALU_DEP_2)
	v_dual_mov_b32 v1, v5 :: v_dual_mov_b32 v10, 0
	s_sub_i32 s22, s8, s22
	s_mov_b32 s2, exec_lo
	v_mov_b32_e32 v2, v6
	v_cmpx_gt_u32_e64 s22, v0
	s_cbranch_execz .LBB454_19
; %bb.18:
	s_clause 0x1
	global_load_b32 v3, v9, s[18:19]
	global_load_b32 v4, v9, s[20:21]
	v_add_co_u32 v1, s3, s5, v0
	s_delay_alu instid0(VALU_DEP_1)
	v_add_co_ci_u32_e64 v2, null, s23, 0, s3
	s_waitcnt vmcnt(0)
	v_cmp_neq_f32_e32 vcc_lo, v3, v4
	v_cndmask_b32_e64 v10, 0, 1, vcc_lo
.LBB454_19:
	s_or_b32 exec_lo, exec_lo, s2
	v_or_b32_e32 v3, 0x100, v0
	s_delay_alu instid0(VALU_DEP_1) | instskip(NEXT) | instid1(VALU_DEP_1)
	v_cmp_gt_u32_e64 s3, s22, v3
	s_and_saveexec_b32 s2, s3
	s_cbranch_execz .LBB454_21
; %bb.20:
	s_clause 0x1
	global_load_b32 v4, v9, s[18:19] offset:1024
	global_load_b32 v7, v9, s[20:21] offset:1024
	v_add_co_u32 v5, s4, s5, v3
	s_delay_alu instid0(VALU_DEP_1)
	v_add_co_ci_u32_e64 v6, null, s23, 0, s4
	s_waitcnt vmcnt(0)
	v_cmp_neq_f32_e32 vcc_lo, v4, v7
	v_cndmask_b32_e64 v12, 0, 1, vcc_lo
.LBB454_21:
	s_or_b32 exec_lo, exec_lo, s2
	v_mov_b32_e32 v3, 0
	v_dual_mov_b32 v4, 0 :: v_dual_mov_b32 v11, 0
	v_or_b32_e32 v14, 0x200, v0
	s_delay_alu instid0(VALU_DEP_2) | instskip(NEXT) | instid1(VALU_DEP_4)
	v_dual_mov_b32 v13, 0 :: v_dual_mov_b32 v8, v4
	v_mov_b32_e32 v7, v3
	s_delay_alu instid0(VALU_DEP_3) | instskip(NEXT) | instid1(VALU_DEP_1)
	v_cmp_gt_u32_e64 s2, s22, v14
	s_and_saveexec_b32 s4, s2
	s_cbranch_execz .LBB454_23
; %bb.22:
	s_clause 0x1
	global_load_b32 v13, v9, s[18:19] offset:2048
	global_load_b32 v15, v9, s[20:21] offset:2048
	v_add_co_u32 v7, s24, s5, v14
	s_delay_alu instid0(VALU_DEP_1)
	v_add_co_ci_u32_e64 v8, null, s23, 0, s24
	s_waitcnt vmcnt(0)
	v_cmp_neq_f32_e32 vcc_lo, v13, v15
	v_cndmask_b32_e64 v13, 0, 1, vcc_lo
.LBB454_23:
	s_or_b32 exec_lo, exec_lo, s4
	v_or_b32_e32 v14, 0x300, v0
	s_delay_alu instid0(VALU_DEP_1)
	v_cmp_gt_u32_e32 vcc_lo, s22, v14
	s_and_saveexec_b32 s24, vcc_lo
	s_cbranch_execnz .LBB454_52
; %bb.24:
	s_or_b32 exec_lo, exec_lo, s24
	s_and_saveexec_b32 s5, s3
	s_cbranch_execnz .LBB454_53
.LBB454_25:
	s_or_b32 exec_lo, exec_lo, s5
	s_and_saveexec_b32 s4, s2
	s_cbranch_execnz .LBB454_54
.LBB454_26:
	s_or_b32 exec_lo, exec_lo, s4
	s_and_saveexec_b32 s3, vcc_lo
.LBB454_27:
	v_and_b32_e32 v5, 1, v11
	v_cmp_lt_i64_e32 vcc_lo, v[3:4], v[1:2]
	s_delay_alu instid0(VALU_DEP_2) | instskip(SKIP_1) | instid1(VALU_DEP_2)
	v_cmp_eq_u32_e64 s2, 1, v5
	v_and_b32_e32 v5, 1, v10
	s_and_b32 vcc_lo, s2, vcc_lo
	v_cndmask_b32_e64 v6, v10, 1, s2
	v_dual_cndmask_b32 v2, v2, v4 :: v_dual_cndmask_b32 v1, v1, v3
	s_delay_alu instid0(VALU_DEP_3) | instskip(NEXT) | instid1(VALU_DEP_3)
	v_cmp_eq_u32_e32 vcc_lo, 1, v5
	v_cndmask_b32_e32 v10, v11, v6, vcc_lo
	s_delay_alu instid0(VALU_DEP_3)
	v_dual_cndmask_b32 v2, v4, v2 :: v_dual_cndmask_b32 v1, v3, v1
.LBB454_28:
	s_or_b32 exec_lo, exec_lo, s3
	v_mbcnt_lo_u32_b32 v5, -1, 0
	v_and_b32_e32 v7, 0xe0, v0
	s_min_u32 s3, s22, 0x100
	v_and_b32_e32 v6, 0xffff, v10
	s_delay_alu instid0(VALU_DEP_3) | instskip(NEXT) | instid1(VALU_DEP_3)
	v_cmp_ne_u32_e32 vcc_lo, 31, v5
	v_sub_nc_u32_e64 v8, s3, v7 clamp
	v_add_nc_u32_e32 v7, 1, v5
	v_add_co_ci_u32_e32 v3, vcc_lo, 0, v5, vcc_lo
	s_delay_alu instid0(VALU_DEP_2) | instskip(NEXT) | instid1(VALU_DEP_2)
	v_cmp_lt_u32_e32 vcc_lo, v7, v8
	v_dual_mov_b32 v7, v6 :: v_dual_lshlrev_b32 v4, 2, v3
	ds_bpermute_b32 v9, v4, v6
	ds_bpermute_b32 v3, v4, v1
	;; [unrolled: 1-line block ×3, first 2 shown]
	s_and_saveexec_b32 s2, vcc_lo
	s_delay_alu instid0(SALU_CYCLE_1)
	s_xor_b32 s4, exec_lo, s2
	s_cbranch_execz .LBB454_30
; %bb.29:
	s_waitcnt lgkmcnt(0)
	v_and_b32_e32 v7, 1, v9
	v_cmp_lt_i64_e32 vcc_lo, v[3:4], v[1:2]
	s_delay_alu instid0(VALU_DEP_2) | instskip(SKIP_1) | instid1(VALU_DEP_2)
	v_cmp_eq_u32_e64 s2, 1, v7
	v_and_b32_e32 v7, 1, v10
	v_cndmask_b32_e64 v6, v6, 1, s2
	s_and_b32 vcc_lo, s2, vcc_lo
	s_delay_alu instid0(VALU_DEP_2) | instskip(SKIP_1) | instid1(VALU_DEP_2)
	v_cmp_eq_u32_e64 s2, 1, v7
	v_dual_cndmask_b32 v2, v2, v4 :: v_dual_cndmask_b32 v1, v1, v3
	v_cndmask_b32_e64 v7, v9, v6, s2
	s_delay_alu instid0(VALU_DEP_2) | instskip(NEXT) | instid1(VALU_DEP_3)
	v_cndmask_b32_e64 v2, v4, v2, s2
	v_cndmask_b32_e64 v1, v3, v1, s2
	s_delay_alu instid0(VALU_DEP_3)
	v_and_b32_e32 v6, 0xff, v7
.LBB454_30:
	s_or_b32 exec_lo, exec_lo, s4
	v_cmp_gt_u32_e32 vcc_lo, 30, v5
	v_add_nc_u32_e32 v10, 2, v5
	s_mov_b32 s4, exec_lo
	s_waitcnt lgkmcnt(0)
	v_cndmask_b32_e64 v3, 0, 1, vcc_lo
	s_delay_alu instid0(VALU_DEP_1) | instskip(NEXT) | instid1(VALU_DEP_1)
	v_lshlrev_b32_e32 v3, 1, v3
	v_add_lshl_u32 v4, v3, v5, 2
	ds_bpermute_b32 v9, v4, v6
	ds_bpermute_b32 v3, v4, v1
	ds_bpermute_b32 v4, v4, v2
	v_cmpx_lt_u32_e64 v10, v8
	s_cbranch_execz .LBB454_32
; %bb.31:
	s_waitcnt lgkmcnt(2)
	v_and_b32_e32 v6, 1, v9
	s_waitcnt lgkmcnt(0)
	v_cmp_lt_i64_e32 vcc_lo, v[3:4], v[1:2]
	s_delay_alu instid0(VALU_DEP_2) | instskip(SKIP_1) | instid1(VALU_DEP_2)
	v_cmp_eq_u32_e64 s2, 1, v6
	v_and_b32_e32 v6, 1, v7
	v_cndmask_b32_e64 v7, v7, 1, s2
	s_and_b32 vcc_lo, s2, vcc_lo
	s_delay_alu instid0(VALU_DEP_2) | instskip(SKIP_1) | instid1(VALU_DEP_2)
	v_cmp_eq_u32_e64 s2, 1, v6
	v_dual_cndmask_b32 v1, v1, v3 :: v_dual_cndmask_b32 v2, v2, v4
	v_cndmask_b32_e64 v7, v9, v7, s2
	s_delay_alu instid0(VALU_DEP_2) | instskip(NEXT) | instid1(VALU_DEP_3)
	v_cndmask_b32_e64 v1, v3, v1, s2
	v_cndmask_b32_e64 v2, v4, v2, s2
	s_delay_alu instid0(VALU_DEP_3)
	v_and_b32_e32 v6, 0xff, v7
.LBB454_32:
	s_or_b32 exec_lo, exec_lo, s4
	v_cmp_gt_u32_e32 vcc_lo, 28, v5
	v_add_nc_u32_e32 v10, 4, v5
	s_mov_b32 s4, exec_lo
	s_waitcnt lgkmcnt(1)
	v_cndmask_b32_e64 v3, 0, 1, vcc_lo
	s_delay_alu instid0(VALU_DEP_1) | instskip(SKIP_1) | instid1(VALU_DEP_1)
	v_lshlrev_b32_e32 v3, 2, v3
	s_waitcnt lgkmcnt(0)
	v_add_lshl_u32 v4, v3, v5, 2
	ds_bpermute_b32 v9, v4, v6
	ds_bpermute_b32 v3, v4, v1
	ds_bpermute_b32 v4, v4, v2
	v_cmpx_lt_u32_e64 v10, v8
	s_cbranch_execz .LBB454_34
; %bb.33:
	s_waitcnt lgkmcnt(2)
	v_and_b32_e32 v6, 1, v9
	s_waitcnt lgkmcnt(0)
	v_cmp_lt_i64_e32 vcc_lo, v[3:4], v[1:2]
	s_delay_alu instid0(VALU_DEP_2) | instskip(SKIP_1) | instid1(VALU_DEP_2)
	v_cmp_eq_u32_e64 s2, 1, v6
	v_and_b32_e32 v6, 1, v7
	v_cndmask_b32_e64 v7, v7, 1, s2
	s_and_b32 vcc_lo, s2, vcc_lo
	s_delay_alu instid0(VALU_DEP_2) | instskip(SKIP_1) | instid1(VALU_DEP_2)
	v_cmp_eq_u32_e64 s2, 1, v6
	v_dual_cndmask_b32 v1, v1, v3 :: v_dual_cndmask_b32 v2, v2, v4
	v_cndmask_b32_e64 v7, v9, v7, s2
	s_delay_alu instid0(VALU_DEP_2) | instskip(NEXT) | instid1(VALU_DEP_3)
	v_cndmask_b32_e64 v1, v3, v1, s2
	v_cndmask_b32_e64 v2, v4, v2, s2
	s_delay_alu instid0(VALU_DEP_3)
	v_and_b32_e32 v6, 0xff, v7
.LBB454_34:
	s_or_b32 exec_lo, exec_lo, s4
	v_cmp_gt_u32_e32 vcc_lo, 24, v5
	v_add_nc_u32_e32 v10, 8, v5
	s_mov_b32 s4, exec_lo
	s_waitcnt lgkmcnt(1)
	v_cndmask_b32_e64 v3, 0, 1, vcc_lo
	s_delay_alu instid0(VALU_DEP_1) | instskip(SKIP_1) | instid1(VALU_DEP_1)
	v_lshlrev_b32_e32 v3, 3, v3
	s_waitcnt lgkmcnt(0)
	;; [unrolled: 35-line block ×3, first 2 shown]
	v_add_lshl_u32 v4, v3, v5, 2
	ds_bpermute_b32 v9, v4, v6
	ds_bpermute_b32 v3, v4, v1
	;; [unrolled: 1-line block ×3, first 2 shown]
	v_cmpx_lt_u32_e64 v10, v8
	s_cbranch_execz .LBB454_38
; %bb.37:
	s_waitcnt lgkmcnt(2)
	v_and_b32_e32 v6, 1, v9
	s_waitcnt lgkmcnt(0)
	v_cmp_lt_i64_e32 vcc_lo, v[3:4], v[1:2]
	s_delay_alu instid0(VALU_DEP_2) | instskip(SKIP_1) | instid1(VALU_DEP_2)
	v_cmp_eq_u32_e64 s2, 1, v6
	v_and_b32_e32 v6, 1, v7
	v_cndmask_b32_e64 v7, v7, 1, s2
	s_and_b32 vcc_lo, s2, vcc_lo
	s_delay_alu instid0(VALU_DEP_2) | instskip(SKIP_1) | instid1(VALU_DEP_2)
	v_cmp_eq_u32_e64 s2, 1, v6
	v_dual_cndmask_b32 v1, v1, v3 :: v_dual_cndmask_b32 v2, v2, v4
	v_cndmask_b32_e64 v7, v9, v7, s2
	s_delay_alu instid0(VALU_DEP_2) | instskip(NEXT) | instid1(VALU_DEP_3)
	v_cndmask_b32_e64 v1, v3, v1, s2
	v_cndmask_b32_e64 v2, v4, v2, s2
	s_delay_alu instid0(VALU_DEP_3)
	v_and_b32_e32 v6, 0xff, v7
.LBB454_38:
	s_or_b32 exec_lo, exec_lo, s4
	s_delay_alu instid0(SALU_CYCLE_1)
	s_mov_b32 s2, exec_lo
	v_cmpx_eq_u32_e32 0, v5
	s_cbranch_execz .LBB454_40
; %bb.39:
	s_waitcnt lgkmcnt(1)
	v_lshrrev_b32_e32 v3, 1, v0
	s_delay_alu instid0(VALU_DEP_1)
	v_and_b32_e32 v3, 0x70, v3
	ds_store_b8 v3, v7 offset:128
	ds_store_b64 v3, v[1:2] offset:136
.LBB454_40:
	s_or_b32 exec_lo, exec_lo, s2
	s_delay_alu instid0(SALU_CYCLE_1)
	s_mov_b32 s4, exec_lo
	s_waitcnt lgkmcnt(0)
	s_barrier
	buffer_gl0_inv
	v_cmpx_gt_u32_e32 8, v0
	s_cbranch_execz .LBB454_48
; %bb.41:
	v_lshlrev_b32_e32 v1, 4, v5
	v_and_b32_e32 v8, 7, v5
	s_add_i32 s3, s3, 31
	s_mov_b32 s5, exec_lo
	s_lshr_b32 s3, s3, 5
	ds_load_u8 v7, v1 offset:128
	ds_load_b64 v[1:2], v1 offset:136
	v_cmp_ne_u32_e32 vcc_lo, 7, v8
	v_add_nc_u32_e32 v10, 1, v8
	v_add_co_ci_u32_e32 v3, vcc_lo, 0, v5, vcc_lo
	s_delay_alu instid0(VALU_DEP_1)
	v_lshlrev_b32_e32 v4, 2, v3
	s_waitcnt lgkmcnt(1)
	v_and_b32_e32 v6, 0xff, v7
	s_waitcnt lgkmcnt(0)
	ds_bpermute_b32 v3, v4, v1
	ds_bpermute_b32 v9, v4, v6
	;; [unrolled: 1-line block ×3, first 2 shown]
	v_cmpx_gt_u32_e64 s3, v10
	s_cbranch_execz .LBB454_43
; %bb.42:
	s_waitcnt lgkmcnt(1)
	v_and_b32_e32 v6, 1, v9
	s_waitcnt lgkmcnt(0)
	v_cmp_lt_i64_e32 vcc_lo, v[3:4], v[1:2]
	s_delay_alu instid0(VALU_DEP_2) | instskip(SKIP_1) | instid1(VALU_DEP_2)
	v_cmp_eq_u32_e64 s2, 1, v6
	v_and_b32_e32 v6, 1, v7
	v_cndmask_b32_e64 v7, v7, 1, s2
	s_and_b32 vcc_lo, s2, vcc_lo
	s_delay_alu instid0(VALU_DEP_2) | instskip(SKIP_1) | instid1(VALU_DEP_2)
	v_cmp_eq_u32_e64 s2, 1, v6
	v_dual_cndmask_b32 v1, v1, v3 :: v_dual_cndmask_b32 v2, v2, v4
	v_cndmask_b32_e64 v7, v9, v7, s2
	s_delay_alu instid0(VALU_DEP_2) | instskip(NEXT) | instid1(VALU_DEP_3)
	v_cndmask_b32_e64 v1, v3, v1, s2
	v_cndmask_b32_e64 v2, v4, v2, s2
	s_delay_alu instid0(VALU_DEP_3)
	v_and_b32_e32 v6, 0xff, v7
.LBB454_43:
	s_or_b32 exec_lo, exec_lo, s5
	v_cmp_gt_u32_e32 vcc_lo, 6, v8
	v_add_nc_u32_e32 v10, 2, v8
	s_mov_b32 s5, exec_lo
	s_waitcnt lgkmcnt(2)
	v_cndmask_b32_e64 v3, 0, 1, vcc_lo
	s_delay_alu instid0(VALU_DEP_1) | instskip(SKIP_1) | instid1(VALU_DEP_1)
	v_lshlrev_b32_e32 v3, 1, v3
	s_waitcnt lgkmcnt(0)
	v_add_lshl_u32 v4, v3, v5, 2
	ds_bpermute_b32 v9, v4, v6
	ds_bpermute_b32 v3, v4, v1
	;; [unrolled: 1-line block ×3, first 2 shown]
	v_cmpx_gt_u32_e64 s3, v10
	s_cbranch_execz .LBB454_45
; %bb.44:
	s_waitcnt lgkmcnt(2)
	v_and_b32_e32 v6, 1, v9
	s_waitcnt lgkmcnt(0)
	v_cmp_lt_i64_e32 vcc_lo, v[3:4], v[1:2]
	s_delay_alu instid0(VALU_DEP_2) | instskip(SKIP_1) | instid1(VALU_DEP_2)
	v_cmp_eq_u32_e64 s2, 1, v6
	v_and_b32_e32 v6, 1, v7
	v_cndmask_b32_e64 v7, v7, 1, s2
	s_and_b32 vcc_lo, s2, vcc_lo
	s_delay_alu instid0(VALU_DEP_2) | instskip(SKIP_1) | instid1(VALU_DEP_2)
	v_cmp_eq_u32_e64 s2, 1, v6
	v_dual_cndmask_b32 v1, v1, v3 :: v_dual_cndmask_b32 v2, v2, v4
	v_cndmask_b32_e64 v7, v9, v7, s2
	s_delay_alu instid0(VALU_DEP_2) | instskip(NEXT) | instid1(VALU_DEP_3)
	v_cndmask_b32_e64 v1, v3, v1, s2
	v_cndmask_b32_e64 v2, v4, v2, s2
	s_delay_alu instid0(VALU_DEP_3)
	v_and_b32_e32 v6, 0xff, v7
.LBB454_45:
	s_or_b32 exec_lo, exec_lo, s5
	v_cmp_gt_u32_e32 vcc_lo, 4, v8
	v_add_nc_u32_e32 v8, 4, v8
	s_waitcnt lgkmcnt(1)
	v_cndmask_b32_e64 v3, 0, 1, vcc_lo
	s_delay_alu instid0(VALU_DEP_2) | instskip(NEXT) | instid1(VALU_DEP_2)
	v_cmp_gt_u32_e32 vcc_lo, s3, v8
	v_lshlrev_b32_e32 v3, 2, v3
	s_waitcnt lgkmcnt(0)
	s_delay_alu instid0(VALU_DEP_1)
	v_add_lshl_u32 v4, v3, v5, 2
	ds_bpermute_b32 v5, v4, v6
	ds_bpermute_b32 v3, v4, v1
	ds_bpermute_b32 v4, v4, v2
	s_and_saveexec_b32 s3, vcc_lo
	s_cbranch_execz .LBB454_47
; %bb.46:
	s_waitcnt lgkmcnt(2)
	v_and_b32_e32 v6, 1, v5
	s_waitcnt lgkmcnt(0)
	v_cmp_lt_i64_e32 vcc_lo, v[3:4], v[1:2]
	s_delay_alu instid0(VALU_DEP_2) | instskip(SKIP_1) | instid1(VALU_DEP_2)
	v_cmp_eq_u32_e64 s2, 1, v6
	v_and_b32_e32 v6, 1, v7
	v_cndmask_b32_e64 v7, v7, 1, s2
	s_and_b32 vcc_lo, s2, vcc_lo
	s_delay_alu instid0(VALU_DEP_2) | instskip(SKIP_1) | instid1(VALU_DEP_2)
	v_cmp_eq_u32_e64 s2, 1, v6
	v_dual_cndmask_b32 v1, v1, v3 :: v_dual_cndmask_b32 v2, v2, v4
	v_cndmask_b32_e64 v5, v5, v7, s2
	s_delay_alu instid0(VALU_DEP_2) | instskip(NEXT) | instid1(VALU_DEP_3)
	v_cndmask_b32_e64 v1, v3, v1, s2
	v_cndmask_b32_e64 v2, v4, v2, s2
	s_delay_alu instid0(VALU_DEP_3)
	v_and_b32_e32 v6, 0xff, v5
.LBB454_47:
	s_or_b32 exec_lo, exec_lo, s3
.LBB454_48:
	s_delay_alu instid0(SALU_CYCLE_1)
	s_or_b32 exec_lo, exec_lo, s4
.LBB454_49:
	s_load_b32 s0, s[0:1], 0x50
	s_mov_b32 s1, exec_lo
	v_cmpx_eq_u32_e32 0, v0
	s_cbranch_execz .LBB454_51
; %bb.50:
	s_mul_i32 s1, s14, s13
	s_mul_hi_u32 s2, s14, s12
	s_mul_i32 s3, s15, s12
	s_add_i32 s1, s2, s1
	s_mul_i32 s2, s14, s12
	s_add_i32 s3, s1, s3
	v_mov_b32_e32 v0, 0
	s_lshl_b64 s[2:3], s[2:3], 4
	s_delay_alu instid0(SALU_CYCLE_1)
	s_add_u32 s1, s10, s2
	s_addc_u32 s4, s11, s3
	s_cmp_eq_u64 s[8:9], 0
	s_cselect_b32 s5, -1, 0
	s_lshl_b64 s[2:3], s[16:17], 4
	s_waitcnt lgkmcnt(0)
	v_cndmask_b32_e64 v3, v6, s0, s5
	v_cndmask_b32_e64 v2, v2, s7, s5
	;; [unrolled: 1-line block ×3, first 2 shown]
	s_add_u32 s0, s1, s2
	s_addc_u32 s1, s4, s3
	s_clause 0x1
	global_store_b8 v0, v3, s[0:1]
	global_store_b64 v0, v[1:2], s[0:1] offset:8
.LBB454_51:
	s_nop 0
	s_sendmsg sendmsg(MSG_DEALLOC_VGPRS)
	s_endpgm
.LBB454_52:
	s_clause 0x1
	global_load_b32 v11, v9, s[18:19] offset:3072
	global_load_b32 v9, v9, s[20:21] offset:3072
	v_add_co_u32 v3, s4, s5, v14
	s_delay_alu instid0(VALU_DEP_1) | instskip(SKIP_2) | instid1(VALU_DEP_1)
	v_add_co_ci_u32_e64 v4, null, s23, 0, s4
	s_waitcnt vmcnt(0)
	v_cmp_neq_f32_e64 s4, v11, v9
	v_cndmask_b32_e64 v11, 0, 1, s4
	s_or_b32 exec_lo, exec_lo, s24
	s_and_saveexec_b32 s5, s3
	s_cbranch_execz .LBB454_25
.LBB454_53:
	v_and_b32_e32 v9, 1, v12
	v_cmp_lt_i64_e64 s3, v[5:6], v[1:2]
	s_delay_alu instid0(VALU_DEP_2) | instskip(SKIP_1) | instid1(VALU_DEP_2)
	v_cmp_eq_u32_e64 s4, 1, v9
	v_and_b32_e32 v9, 1, v10
	s_and_b32 s3, s4, s3
	v_cndmask_b32_e64 v10, v10, 1, s4
	v_cndmask_b32_e64 v1, v1, v5, s3
	;; [unrolled: 1-line block ×3, first 2 shown]
	v_cmp_eq_u32_e64 s3, 1, v9
	s_delay_alu instid0(VALU_DEP_1) | instskip(NEXT) | instid1(VALU_DEP_3)
	v_cndmask_b32_e64 v10, v12, v10, s3
	v_cndmask_b32_e64 v2, v6, v2, s3
	;; [unrolled: 1-line block ×3, first 2 shown]
	s_or_b32 exec_lo, exec_lo, s5
	s_and_saveexec_b32 s4, s2
	s_cbranch_execz .LBB454_26
.LBB454_54:
	v_and_b32_e32 v5, 1, v13
	v_cmp_lt_i64_e64 s2, v[7:8], v[1:2]
	s_delay_alu instid0(VALU_DEP_2) | instskip(SKIP_1) | instid1(VALU_DEP_2)
	v_cmp_eq_u32_e64 s3, 1, v5
	v_and_b32_e32 v5, 1, v10
	s_and_b32 s2, s3, s2
	v_cndmask_b32_e64 v6, v10, 1, s3
	v_cndmask_b32_e64 v1, v1, v7, s2
	v_cndmask_b32_e64 v2, v2, v8, s2
	v_cmp_eq_u32_e64 s2, 1, v5
	s_delay_alu instid0(VALU_DEP_1) | instskip(NEXT) | instid1(VALU_DEP_3)
	v_cndmask_b32_e64 v10, v13, v6, s2
	v_cndmask_b32_e64 v2, v8, v2, s2
	;; [unrolled: 1-line block ×3, first 2 shown]
	s_or_b32 exec_lo, exec_lo, s4
	s_and_saveexec_b32 s3, vcc_lo
	s_cbranch_execnz .LBB454_27
	s_branch .LBB454_28
	.section	.rodata,"a",@progbits
	.p2align	6, 0x0
	.amdhsa_kernel _ZN7rocprim17ROCPRIM_400000_NS6detail17trampoline_kernelINS0_14default_configENS1_22reduce_config_selectorIN6thrust23THRUST_200600_302600_NS5tupleIblNS6_9null_typeES8_S8_S8_S8_S8_S8_S8_EEEEZNS1_11reduce_implILb1ES3_NS6_12zip_iteratorINS7_INS6_11hip_rocprim26transform_input_iterator_tIbNSD_35transform_pair_of_input_iterators_tIbNS6_6detail15normal_iteratorINS6_10device_ptrIKfEEEESL_NS6_8equal_toIfEEEENSG_9not_fun_tINSD_8identityEEEEENSD_19counting_iterator_tIlEES8_S8_S8_S8_S8_S8_S8_S8_EEEEPS9_S9_NSD_9__find_if7functorIS9_EEEE10hipError_tPvRmT1_T2_T3_mT4_P12ihipStream_tbEUlT_E0_NS1_11comp_targetILNS1_3genE9ELNS1_11target_archE1100ELNS1_3gpuE3ELNS1_3repE0EEENS1_30default_config_static_selectorELNS0_4arch9wavefront6targetE0EEEvS14_
		.amdhsa_group_segment_fixed_size 256
		.amdhsa_private_segment_fixed_size 0
		.amdhsa_kernarg_size 104
		.amdhsa_user_sgpr_count 15
		.amdhsa_user_sgpr_dispatch_ptr 0
		.amdhsa_user_sgpr_queue_ptr 0
		.amdhsa_user_sgpr_kernarg_segment_ptr 1
		.amdhsa_user_sgpr_dispatch_id 0
		.amdhsa_user_sgpr_private_segment_size 0
		.amdhsa_wavefront_size32 1
		.amdhsa_uses_dynamic_stack 0
		.amdhsa_enable_private_segment 0
		.amdhsa_system_sgpr_workgroup_id_x 1
		.amdhsa_system_sgpr_workgroup_id_y 0
		.amdhsa_system_sgpr_workgroup_id_z 0
		.amdhsa_system_sgpr_workgroup_info 0
		.amdhsa_system_vgpr_workitem_id 0
		.amdhsa_next_free_vgpr 16
		.amdhsa_next_free_sgpr 28
		.amdhsa_reserve_vcc 1
		.amdhsa_float_round_mode_32 0
		.amdhsa_float_round_mode_16_64 0
		.amdhsa_float_denorm_mode_32 3
		.amdhsa_float_denorm_mode_16_64 3
		.amdhsa_dx10_clamp 1
		.amdhsa_ieee_mode 1
		.amdhsa_fp16_overflow 0
		.amdhsa_workgroup_processor_mode 1
		.amdhsa_memory_ordered 1
		.amdhsa_forward_progress 0
		.amdhsa_shared_vgpr_count 0
		.amdhsa_exception_fp_ieee_invalid_op 0
		.amdhsa_exception_fp_denorm_src 0
		.amdhsa_exception_fp_ieee_div_zero 0
		.amdhsa_exception_fp_ieee_overflow 0
		.amdhsa_exception_fp_ieee_underflow 0
		.amdhsa_exception_fp_ieee_inexact 0
		.amdhsa_exception_int_div_zero 0
	.end_amdhsa_kernel
	.section	.text._ZN7rocprim17ROCPRIM_400000_NS6detail17trampoline_kernelINS0_14default_configENS1_22reduce_config_selectorIN6thrust23THRUST_200600_302600_NS5tupleIblNS6_9null_typeES8_S8_S8_S8_S8_S8_S8_EEEEZNS1_11reduce_implILb1ES3_NS6_12zip_iteratorINS7_INS6_11hip_rocprim26transform_input_iterator_tIbNSD_35transform_pair_of_input_iterators_tIbNS6_6detail15normal_iteratorINS6_10device_ptrIKfEEEESL_NS6_8equal_toIfEEEENSG_9not_fun_tINSD_8identityEEEEENSD_19counting_iterator_tIlEES8_S8_S8_S8_S8_S8_S8_S8_EEEEPS9_S9_NSD_9__find_if7functorIS9_EEEE10hipError_tPvRmT1_T2_T3_mT4_P12ihipStream_tbEUlT_E0_NS1_11comp_targetILNS1_3genE9ELNS1_11target_archE1100ELNS1_3gpuE3ELNS1_3repE0EEENS1_30default_config_static_selectorELNS0_4arch9wavefront6targetE0EEEvS14_,"axG",@progbits,_ZN7rocprim17ROCPRIM_400000_NS6detail17trampoline_kernelINS0_14default_configENS1_22reduce_config_selectorIN6thrust23THRUST_200600_302600_NS5tupleIblNS6_9null_typeES8_S8_S8_S8_S8_S8_S8_EEEEZNS1_11reduce_implILb1ES3_NS6_12zip_iteratorINS7_INS6_11hip_rocprim26transform_input_iterator_tIbNSD_35transform_pair_of_input_iterators_tIbNS6_6detail15normal_iteratorINS6_10device_ptrIKfEEEESL_NS6_8equal_toIfEEEENSG_9not_fun_tINSD_8identityEEEEENSD_19counting_iterator_tIlEES8_S8_S8_S8_S8_S8_S8_S8_EEEEPS9_S9_NSD_9__find_if7functorIS9_EEEE10hipError_tPvRmT1_T2_T3_mT4_P12ihipStream_tbEUlT_E0_NS1_11comp_targetILNS1_3genE9ELNS1_11target_archE1100ELNS1_3gpuE3ELNS1_3repE0EEENS1_30default_config_static_selectorELNS0_4arch9wavefront6targetE0EEEvS14_,comdat
.Lfunc_end454:
	.size	_ZN7rocprim17ROCPRIM_400000_NS6detail17trampoline_kernelINS0_14default_configENS1_22reduce_config_selectorIN6thrust23THRUST_200600_302600_NS5tupleIblNS6_9null_typeES8_S8_S8_S8_S8_S8_S8_EEEEZNS1_11reduce_implILb1ES3_NS6_12zip_iteratorINS7_INS6_11hip_rocprim26transform_input_iterator_tIbNSD_35transform_pair_of_input_iterators_tIbNS6_6detail15normal_iteratorINS6_10device_ptrIKfEEEESL_NS6_8equal_toIfEEEENSG_9not_fun_tINSD_8identityEEEEENSD_19counting_iterator_tIlEES8_S8_S8_S8_S8_S8_S8_S8_EEEEPS9_S9_NSD_9__find_if7functorIS9_EEEE10hipError_tPvRmT1_T2_T3_mT4_P12ihipStream_tbEUlT_E0_NS1_11comp_targetILNS1_3genE9ELNS1_11target_archE1100ELNS1_3gpuE3ELNS1_3repE0EEENS1_30default_config_static_selectorELNS0_4arch9wavefront6targetE0EEEvS14_, .Lfunc_end454-_ZN7rocprim17ROCPRIM_400000_NS6detail17trampoline_kernelINS0_14default_configENS1_22reduce_config_selectorIN6thrust23THRUST_200600_302600_NS5tupleIblNS6_9null_typeES8_S8_S8_S8_S8_S8_S8_EEEEZNS1_11reduce_implILb1ES3_NS6_12zip_iteratorINS7_INS6_11hip_rocprim26transform_input_iterator_tIbNSD_35transform_pair_of_input_iterators_tIbNS6_6detail15normal_iteratorINS6_10device_ptrIKfEEEESL_NS6_8equal_toIfEEEENSG_9not_fun_tINSD_8identityEEEEENSD_19counting_iterator_tIlEES8_S8_S8_S8_S8_S8_S8_S8_EEEEPS9_S9_NSD_9__find_if7functorIS9_EEEE10hipError_tPvRmT1_T2_T3_mT4_P12ihipStream_tbEUlT_E0_NS1_11comp_targetILNS1_3genE9ELNS1_11target_archE1100ELNS1_3gpuE3ELNS1_3repE0EEENS1_30default_config_static_selectorELNS0_4arch9wavefront6targetE0EEEvS14_
                                        ; -- End function
	.section	.AMDGPU.csdata,"",@progbits
; Kernel info:
; codeLenInByte = 4024
; NumSgprs: 30
; NumVgprs: 16
; ScratchSize: 0
; MemoryBound: 0
; FloatMode: 240
; IeeeMode: 1
; LDSByteSize: 256 bytes/workgroup (compile time only)
; SGPRBlocks: 3
; VGPRBlocks: 1
; NumSGPRsForWavesPerEU: 30
; NumVGPRsForWavesPerEU: 16
; Occupancy: 16
; WaveLimiterHint : 0
; COMPUTE_PGM_RSRC2:SCRATCH_EN: 0
; COMPUTE_PGM_RSRC2:USER_SGPR: 15
; COMPUTE_PGM_RSRC2:TRAP_HANDLER: 0
; COMPUTE_PGM_RSRC2:TGID_X_EN: 1
; COMPUTE_PGM_RSRC2:TGID_Y_EN: 0
; COMPUTE_PGM_RSRC2:TGID_Z_EN: 0
; COMPUTE_PGM_RSRC2:TIDIG_COMP_CNT: 0
	.section	.text._ZN7rocprim17ROCPRIM_400000_NS6detail17trampoline_kernelINS0_14default_configENS1_22reduce_config_selectorIN6thrust23THRUST_200600_302600_NS5tupleIblNS6_9null_typeES8_S8_S8_S8_S8_S8_S8_EEEEZNS1_11reduce_implILb1ES3_NS6_12zip_iteratorINS7_INS6_11hip_rocprim26transform_input_iterator_tIbNSD_35transform_pair_of_input_iterators_tIbNS6_6detail15normal_iteratorINS6_10device_ptrIKfEEEESL_NS6_8equal_toIfEEEENSG_9not_fun_tINSD_8identityEEEEENSD_19counting_iterator_tIlEES8_S8_S8_S8_S8_S8_S8_S8_EEEEPS9_S9_NSD_9__find_if7functorIS9_EEEE10hipError_tPvRmT1_T2_T3_mT4_P12ihipStream_tbEUlT_E0_NS1_11comp_targetILNS1_3genE8ELNS1_11target_archE1030ELNS1_3gpuE2ELNS1_3repE0EEENS1_30default_config_static_selectorELNS0_4arch9wavefront6targetE0EEEvS14_,"axG",@progbits,_ZN7rocprim17ROCPRIM_400000_NS6detail17trampoline_kernelINS0_14default_configENS1_22reduce_config_selectorIN6thrust23THRUST_200600_302600_NS5tupleIblNS6_9null_typeES8_S8_S8_S8_S8_S8_S8_EEEEZNS1_11reduce_implILb1ES3_NS6_12zip_iteratorINS7_INS6_11hip_rocprim26transform_input_iterator_tIbNSD_35transform_pair_of_input_iterators_tIbNS6_6detail15normal_iteratorINS6_10device_ptrIKfEEEESL_NS6_8equal_toIfEEEENSG_9not_fun_tINSD_8identityEEEEENSD_19counting_iterator_tIlEES8_S8_S8_S8_S8_S8_S8_S8_EEEEPS9_S9_NSD_9__find_if7functorIS9_EEEE10hipError_tPvRmT1_T2_T3_mT4_P12ihipStream_tbEUlT_E0_NS1_11comp_targetILNS1_3genE8ELNS1_11target_archE1030ELNS1_3gpuE2ELNS1_3repE0EEENS1_30default_config_static_selectorELNS0_4arch9wavefront6targetE0EEEvS14_,comdat
	.protected	_ZN7rocprim17ROCPRIM_400000_NS6detail17trampoline_kernelINS0_14default_configENS1_22reduce_config_selectorIN6thrust23THRUST_200600_302600_NS5tupleIblNS6_9null_typeES8_S8_S8_S8_S8_S8_S8_EEEEZNS1_11reduce_implILb1ES3_NS6_12zip_iteratorINS7_INS6_11hip_rocprim26transform_input_iterator_tIbNSD_35transform_pair_of_input_iterators_tIbNS6_6detail15normal_iteratorINS6_10device_ptrIKfEEEESL_NS6_8equal_toIfEEEENSG_9not_fun_tINSD_8identityEEEEENSD_19counting_iterator_tIlEES8_S8_S8_S8_S8_S8_S8_S8_EEEEPS9_S9_NSD_9__find_if7functorIS9_EEEE10hipError_tPvRmT1_T2_T3_mT4_P12ihipStream_tbEUlT_E0_NS1_11comp_targetILNS1_3genE8ELNS1_11target_archE1030ELNS1_3gpuE2ELNS1_3repE0EEENS1_30default_config_static_selectorELNS0_4arch9wavefront6targetE0EEEvS14_ ; -- Begin function _ZN7rocprim17ROCPRIM_400000_NS6detail17trampoline_kernelINS0_14default_configENS1_22reduce_config_selectorIN6thrust23THRUST_200600_302600_NS5tupleIblNS6_9null_typeES8_S8_S8_S8_S8_S8_S8_EEEEZNS1_11reduce_implILb1ES3_NS6_12zip_iteratorINS7_INS6_11hip_rocprim26transform_input_iterator_tIbNSD_35transform_pair_of_input_iterators_tIbNS6_6detail15normal_iteratorINS6_10device_ptrIKfEEEESL_NS6_8equal_toIfEEEENSG_9not_fun_tINSD_8identityEEEEENSD_19counting_iterator_tIlEES8_S8_S8_S8_S8_S8_S8_S8_EEEEPS9_S9_NSD_9__find_if7functorIS9_EEEE10hipError_tPvRmT1_T2_T3_mT4_P12ihipStream_tbEUlT_E0_NS1_11comp_targetILNS1_3genE8ELNS1_11target_archE1030ELNS1_3gpuE2ELNS1_3repE0EEENS1_30default_config_static_selectorELNS0_4arch9wavefront6targetE0EEEvS14_
	.globl	_ZN7rocprim17ROCPRIM_400000_NS6detail17trampoline_kernelINS0_14default_configENS1_22reduce_config_selectorIN6thrust23THRUST_200600_302600_NS5tupleIblNS6_9null_typeES8_S8_S8_S8_S8_S8_S8_EEEEZNS1_11reduce_implILb1ES3_NS6_12zip_iteratorINS7_INS6_11hip_rocprim26transform_input_iterator_tIbNSD_35transform_pair_of_input_iterators_tIbNS6_6detail15normal_iteratorINS6_10device_ptrIKfEEEESL_NS6_8equal_toIfEEEENSG_9not_fun_tINSD_8identityEEEEENSD_19counting_iterator_tIlEES8_S8_S8_S8_S8_S8_S8_S8_EEEEPS9_S9_NSD_9__find_if7functorIS9_EEEE10hipError_tPvRmT1_T2_T3_mT4_P12ihipStream_tbEUlT_E0_NS1_11comp_targetILNS1_3genE8ELNS1_11target_archE1030ELNS1_3gpuE2ELNS1_3repE0EEENS1_30default_config_static_selectorELNS0_4arch9wavefront6targetE0EEEvS14_
	.p2align	8
	.type	_ZN7rocprim17ROCPRIM_400000_NS6detail17trampoline_kernelINS0_14default_configENS1_22reduce_config_selectorIN6thrust23THRUST_200600_302600_NS5tupleIblNS6_9null_typeES8_S8_S8_S8_S8_S8_S8_EEEEZNS1_11reduce_implILb1ES3_NS6_12zip_iteratorINS7_INS6_11hip_rocprim26transform_input_iterator_tIbNSD_35transform_pair_of_input_iterators_tIbNS6_6detail15normal_iteratorINS6_10device_ptrIKfEEEESL_NS6_8equal_toIfEEEENSG_9not_fun_tINSD_8identityEEEEENSD_19counting_iterator_tIlEES8_S8_S8_S8_S8_S8_S8_S8_EEEEPS9_S9_NSD_9__find_if7functorIS9_EEEE10hipError_tPvRmT1_T2_T3_mT4_P12ihipStream_tbEUlT_E0_NS1_11comp_targetILNS1_3genE8ELNS1_11target_archE1030ELNS1_3gpuE2ELNS1_3repE0EEENS1_30default_config_static_selectorELNS0_4arch9wavefront6targetE0EEEvS14_,@function
_ZN7rocprim17ROCPRIM_400000_NS6detail17trampoline_kernelINS0_14default_configENS1_22reduce_config_selectorIN6thrust23THRUST_200600_302600_NS5tupleIblNS6_9null_typeES8_S8_S8_S8_S8_S8_S8_EEEEZNS1_11reduce_implILb1ES3_NS6_12zip_iteratorINS7_INS6_11hip_rocprim26transform_input_iterator_tIbNSD_35transform_pair_of_input_iterators_tIbNS6_6detail15normal_iteratorINS6_10device_ptrIKfEEEESL_NS6_8equal_toIfEEEENSG_9not_fun_tINSD_8identityEEEEENSD_19counting_iterator_tIlEES8_S8_S8_S8_S8_S8_S8_S8_EEEEPS9_S9_NSD_9__find_if7functorIS9_EEEE10hipError_tPvRmT1_T2_T3_mT4_P12ihipStream_tbEUlT_E0_NS1_11comp_targetILNS1_3genE8ELNS1_11target_archE1030ELNS1_3gpuE2ELNS1_3repE0EEENS1_30default_config_static_selectorELNS0_4arch9wavefront6targetE0EEEvS14_: ; @_ZN7rocprim17ROCPRIM_400000_NS6detail17trampoline_kernelINS0_14default_configENS1_22reduce_config_selectorIN6thrust23THRUST_200600_302600_NS5tupleIblNS6_9null_typeES8_S8_S8_S8_S8_S8_S8_EEEEZNS1_11reduce_implILb1ES3_NS6_12zip_iteratorINS7_INS6_11hip_rocprim26transform_input_iterator_tIbNSD_35transform_pair_of_input_iterators_tIbNS6_6detail15normal_iteratorINS6_10device_ptrIKfEEEESL_NS6_8equal_toIfEEEENSG_9not_fun_tINSD_8identityEEEEENSD_19counting_iterator_tIlEES8_S8_S8_S8_S8_S8_S8_S8_EEEEPS9_S9_NSD_9__find_if7functorIS9_EEEE10hipError_tPvRmT1_T2_T3_mT4_P12ihipStream_tbEUlT_E0_NS1_11comp_targetILNS1_3genE8ELNS1_11target_archE1030ELNS1_3gpuE2ELNS1_3repE0EEENS1_30default_config_static_selectorELNS0_4arch9wavefront6targetE0EEEvS14_
; %bb.0:
	.section	.rodata,"a",@progbits
	.p2align	6, 0x0
	.amdhsa_kernel _ZN7rocprim17ROCPRIM_400000_NS6detail17trampoline_kernelINS0_14default_configENS1_22reduce_config_selectorIN6thrust23THRUST_200600_302600_NS5tupleIblNS6_9null_typeES8_S8_S8_S8_S8_S8_S8_EEEEZNS1_11reduce_implILb1ES3_NS6_12zip_iteratorINS7_INS6_11hip_rocprim26transform_input_iterator_tIbNSD_35transform_pair_of_input_iterators_tIbNS6_6detail15normal_iteratorINS6_10device_ptrIKfEEEESL_NS6_8equal_toIfEEEENSG_9not_fun_tINSD_8identityEEEEENSD_19counting_iterator_tIlEES8_S8_S8_S8_S8_S8_S8_S8_EEEEPS9_S9_NSD_9__find_if7functorIS9_EEEE10hipError_tPvRmT1_T2_T3_mT4_P12ihipStream_tbEUlT_E0_NS1_11comp_targetILNS1_3genE8ELNS1_11target_archE1030ELNS1_3gpuE2ELNS1_3repE0EEENS1_30default_config_static_selectorELNS0_4arch9wavefront6targetE0EEEvS14_
		.amdhsa_group_segment_fixed_size 0
		.amdhsa_private_segment_fixed_size 0
		.amdhsa_kernarg_size 104
		.amdhsa_user_sgpr_count 15
		.amdhsa_user_sgpr_dispatch_ptr 0
		.amdhsa_user_sgpr_queue_ptr 0
		.amdhsa_user_sgpr_kernarg_segment_ptr 1
		.amdhsa_user_sgpr_dispatch_id 0
		.amdhsa_user_sgpr_private_segment_size 0
		.amdhsa_wavefront_size32 1
		.amdhsa_uses_dynamic_stack 0
		.amdhsa_enable_private_segment 0
		.amdhsa_system_sgpr_workgroup_id_x 1
		.amdhsa_system_sgpr_workgroup_id_y 0
		.amdhsa_system_sgpr_workgroup_id_z 0
		.amdhsa_system_sgpr_workgroup_info 0
		.amdhsa_system_vgpr_workitem_id 0
		.amdhsa_next_free_vgpr 1
		.amdhsa_next_free_sgpr 1
		.amdhsa_reserve_vcc 0
		.amdhsa_float_round_mode_32 0
		.amdhsa_float_round_mode_16_64 0
		.amdhsa_float_denorm_mode_32 3
		.amdhsa_float_denorm_mode_16_64 3
		.amdhsa_dx10_clamp 1
		.amdhsa_ieee_mode 1
		.amdhsa_fp16_overflow 0
		.amdhsa_workgroup_processor_mode 1
		.amdhsa_memory_ordered 1
		.amdhsa_forward_progress 0
		.amdhsa_shared_vgpr_count 0
		.amdhsa_exception_fp_ieee_invalid_op 0
		.amdhsa_exception_fp_denorm_src 0
		.amdhsa_exception_fp_ieee_div_zero 0
		.amdhsa_exception_fp_ieee_overflow 0
		.amdhsa_exception_fp_ieee_underflow 0
		.amdhsa_exception_fp_ieee_inexact 0
		.amdhsa_exception_int_div_zero 0
	.end_amdhsa_kernel
	.section	.text._ZN7rocprim17ROCPRIM_400000_NS6detail17trampoline_kernelINS0_14default_configENS1_22reduce_config_selectorIN6thrust23THRUST_200600_302600_NS5tupleIblNS6_9null_typeES8_S8_S8_S8_S8_S8_S8_EEEEZNS1_11reduce_implILb1ES3_NS6_12zip_iteratorINS7_INS6_11hip_rocprim26transform_input_iterator_tIbNSD_35transform_pair_of_input_iterators_tIbNS6_6detail15normal_iteratorINS6_10device_ptrIKfEEEESL_NS6_8equal_toIfEEEENSG_9not_fun_tINSD_8identityEEEEENSD_19counting_iterator_tIlEES8_S8_S8_S8_S8_S8_S8_S8_EEEEPS9_S9_NSD_9__find_if7functorIS9_EEEE10hipError_tPvRmT1_T2_T3_mT4_P12ihipStream_tbEUlT_E0_NS1_11comp_targetILNS1_3genE8ELNS1_11target_archE1030ELNS1_3gpuE2ELNS1_3repE0EEENS1_30default_config_static_selectorELNS0_4arch9wavefront6targetE0EEEvS14_,"axG",@progbits,_ZN7rocprim17ROCPRIM_400000_NS6detail17trampoline_kernelINS0_14default_configENS1_22reduce_config_selectorIN6thrust23THRUST_200600_302600_NS5tupleIblNS6_9null_typeES8_S8_S8_S8_S8_S8_S8_EEEEZNS1_11reduce_implILb1ES3_NS6_12zip_iteratorINS7_INS6_11hip_rocprim26transform_input_iterator_tIbNSD_35transform_pair_of_input_iterators_tIbNS6_6detail15normal_iteratorINS6_10device_ptrIKfEEEESL_NS6_8equal_toIfEEEENSG_9not_fun_tINSD_8identityEEEEENSD_19counting_iterator_tIlEES8_S8_S8_S8_S8_S8_S8_S8_EEEEPS9_S9_NSD_9__find_if7functorIS9_EEEE10hipError_tPvRmT1_T2_T3_mT4_P12ihipStream_tbEUlT_E0_NS1_11comp_targetILNS1_3genE8ELNS1_11target_archE1030ELNS1_3gpuE2ELNS1_3repE0EEENS1_30default_config_static_selectorELNS0_4arch9wavefront6targetE0EEEvS14_,comdat
.Lfunc_end455:
	.size	_ZN7rocprim17ROCPRIM_400000_NS6detail17trampoline_kernelINS0_14default_configENS1_22reduce_config_selectorIN6thrust23THRUST_200600_302600_NS5tupleIblNS6_9null_typeES8_S8_S8_S8_S8_S8_S8_EEEEZNS1_11reduce_implILb1ES3_NS6_12zip_iteratorINS7_INS6_11hip_rocprim26transform_input_iterator_tIbNSD_35transform_pair_of_input_iterators_tIbNS6_6detail15normal_iteratorINS6_10device_ptrIKfEEEESL_NS6_8equal_toIfEEEENSG_9not_fun_tINSD_8identityEEEEENSD_19counting_iterator_tIlEES8_S8_S8_S8_S8_S8_S8_S8_EEEEPS9_S9_NSD_9__find_if7functorIS9_EEEE10hipError_tPvRmT1_T2_T3_mT4_P12ihipStream_tbEUlT_E0_NS1_11comp_targetILNS1_3genE8ELNS1_11target_archE1030ELNS1_3gpuE2ELNS1_3repE0EEENS1_30default_config_static_selectorELNS0_4arch9wavefront6targetE0EEEvS14_, .Lfunc_end455-_ZN7rocprim17ROCPRIM_400000_NS6detail17trampoline_kernelINS0_14default_configENS1_22reduce_config_selectorIN6thrust23THRUST_200600_302600_NS5tupleIblNS6_9null_typeES8_S8_S8_S8_S8_S8_S8_EEEEZNS1_11reduce_implILb1ES3_NS6_12zip_iteratorINS7_INS6_11hip_rocprim26transform_input_iterator_tIbNSD_35transform_pair_of_input_iterators_tIbNS6_6detail15normal_iteratorINS6_10device_ptrIKfEEEESL_NS6_8equal_toIfEEEENSG_9not_fun_tINSD_8identityEEEEENSD_19counting_iterator_tIlEES8_S8_S8_S8_S8_S8_S8_S8_EEEEPS9_S9_NSD_9__find_if7functorIS9_EEEE10hipError_tPvRmT1_T2_T3_mT4_P12ihipStream_tbEUlT_E0_NS1_11comp_targetILNS1_3genE8ELNS1_11target_archE1030ELNS1_3gpuE2ELNS1_3repE0EEENS1_30default_config_static_selectorELNS0_4arch9wavefront6targetE0EEEvS14_
                                        ; -- End function
	.section	.AMDGPU.csdata,"",@progbits
; Kernel info:
; codeLenInByte = 0
; NumSgprs: 0
; NumVgprs: 0
; ScratchSize: 0
; MemoryBound: 0
; FloatMode: 240
; IeeeMode: 1
; LDSByteSize: 0 bytes/workgroup (compile time only)
; SGPRBlocks: 0
; VGPRBlocks: 0
; NumSGPRsForWavesPerEU: 1
; NumVGPRsForWavesPerEU: 1
; Occupancy: 16
; WaveLimiterHint : 0
; COMPUTE_PGM_RSRC2:SCRATCH_EN: 0
; COMPUTE_PGM_RSRC2:USER_SGPR: 15
; COMPUTE_PGM_RSRC2:TRAP_HANDLER: 0
; COMPUTE_PGM_RSRC2:TGID_X_EN: 1
; COMPUTE_PGM_RSRC2:TGID_Y_EN: 0
; COMPUTE_PGM_RSRC2:TGID_Z_EN: 0
; COMPUTE_PGM_RSRC2:TIDIG_COMP_CNT: 0
	.section	.text._ZN7rocprim17ROCPRIM_400000_NS6detail17trampoline_kernelINS0_14default_configENS1_22reduce_config_selectorIN6thrust23THRUST_200600_302600_NS5tupleIblNS6_9null_typeES8_S8_S8_S8_S8_S8_S8_EEEEZNS1_11reduce_implILb1ES3_NS6_12zip_iteratorINS7_INS6_11hip_rocprim26transform_input_iterator_tIbNSD_35transform_pair_of_input_iterators_tIbNS6_6detail15normal_iteratorINS6_10device_ptrIKfEEEESL_NS6_8equal_toIfEEEENSG_9not_fun_tINSD_8identityEEEEENSD_19counting_iterator_tIlEES8_S8_S8_S8_S8_S8_S8_S8_EEEEPS9_S9_NSD_9__find_if7functorIS9_EEEE10hipError_tPvRmT1_T2_T3_mT4_P12ihipStream_tbEUlT_E1_NS1_11comp_targetILNS1_3genE0ELNS1_11target_archE4294967295ELNS1_3gpuE0ELNS1_3repE0EEENS1_30default_config_static_selectorELNS0_4arch9wavefront6targetE0EEEvS14_,"axG",@progbits,_ZN7rocprim17ROCPRIM_400000_NS6detail17trampoline_kernelINS0_14default_configENS1_22reduce_config_selectorIN6thrust23THRUST_200600_302600_NS5tupleIblNS6_9null_typeES8_S8_S8_S8_S8_S8_S8_EEEEZNS1_11reduce_implILb1ES3_NS6_12zip_iteratorINS7_INS6_11hip_rocprim26transform_input_iterator_tIbNSD_35transform_pair_of_input_iterators_tIbNS6_6detail15normal_iteratorINS6_10device_ptrIKfEEEESL_NS6_8equal_toIfEEEENSG_9not_fun_tINSD_8identityEEEEENSD_19counting_iterator_tIlEES8_S8_S8_S8_S8_S8_S8_S8_EEEEPS9_S9_NSD_9__find_if7functorIS9_EEEE10hipError_tPvRmT1_T2_T3_mT4_P12ihipStream_tbEUlT_E1_NS1_11comp_targetILNS1_3genE0ELNS1_11target_archE4294967295ELNS1_3gpuE0ELNS1_3repE0EEENS1_30default_config_static_selectorELNS0_4arch9wavefront6targetE0EEEvS14_,comdat
	.protected	_ZN7rocprim17ROCPRIM_400000_NS6detail17trampoline_kernelINS0_14default_configENS1_22reduce_config_selectorIN6thrust23THRUST_200600_302600_NS5tupleIblNS6_9null_typeES8_S8_S8_S8_S8_S8_S8_EEEEZNS1_11reduce_implILb1ES3_NS6_12zip_iteratorINS7_INS6_11hip_rocprim26transform_input_iterator_tIbNSD_35transform_pair_of_input_iterators_tIbNS6_6detail15normal_iteratorINS6_10device_ptrIKfEEEESL_NS6_8equal_toIfEEEENSG_9not_fun_tINSD_8identityEEEEENSD_19counting_iterator_tIlEES8_S8_S8_S8_S8_S8_S8_S8_EEEEPS9_S9_NSD_9__find_if7functorIS9_EEEE10hipError_tPvRmT1_T2_T3_mT4_P12ihipStream_tbEUlT_E1_NS1_11comp_targetILNS1_3genE0ELNS1_11target_archE4294967295ELNS1_3gpuE0ELNS1_3repE0EEENS1_30default_config_static_selectorELNS0_4arch9wavefront6targetE0EEEvS14_ ; -- Begin function _ZN7rocprim17ROCPRIM_400000_NS6detail17trampoline_kernelINS0_14default_configENS1_22reduce_config_selectorIN6thrust23THRUST_200600_302600_NS5tupleIblNS6_9null_typeES8_S8_S8_S8_S8_S8_S8_EEEEZNS1_11reduce_implILb1ES3_NS6_12zip_iteratorINS7_INS6_11hip_rocprim26transform_input_iterator_tIbNSD_35transform_pair_of_input_iterators_tIbNS6_6detail15normal_iteratorINS6_10device_ptrIKfEEEESL_NS6_8equal_toIfEEEENSG_9not_fun_tINSD_8identityEEEEENSD_19counting_iterator_tIlEES8_S8_S8_S8_S8_S8_S8_S8_EEEEPS9_S9_NSD_9__find_if7functorIS9_EEEE10hipError_tPvRmT1_T2_T3_mT4_P12ihipStream_tbEUlT_E1_NS1_11comp_targetILNS1_3genE0ELNS1_11target_archE4294967295ELNS1_3gpuE0ELNS1_3repE0EEENS1_30default_config_static_selectorELNS0_4arch9wavefront6targetE0EEEvS14_
	.globl	_ZN7rocprim17ROCPRIM_400000_NS6detail17trampoline_kernelINS0_14default_configENS1_22reduce_config_selectorIN6thrust23THRUST_200600_302600_NS5tupleIblNS6_9null_typeES8_S8_S8_S8_S8_S8_S8_EEEEZNS1_11reduce_implILb1ES3_NS6_12zip_iteratorINS7_INS6_11hip_rocprim26transform_input_iterator_tIbNSD_35transform_pair_of_input_iterators_tIbNS6_6detail15normal_iteratorINS6_10device_ptrIKfEEEESL_NS6_8equal_toIfEEEENSG_9not_fun_tINSD_8identityEEEEENSD_19counting_iterator_tIlEES8_S8_S8_S8_S8_S8_S8_S8_EEEEPS9_S9_NSD_9__find_if7functorIS9_EEEE10hipError_tPvRmT1_T2_T3_mT4_P12ihipStream_tbEUlT_E1_NS1_11comp_targetILNS1_3genE0ELNS1_11target_archE4294967295ELNS1_3gpuE0ELNS1_3repE0EEENS1_30default_config_static_selectorELNS0_4arch9wavefront6targetE0EEEvS14_
	.p2align	8
	.type	_ZN7rocprim17ROCPRIM_400000_NS6detail17trampoline_kernelINS0_14default_configENS1_22reduce_config_selectorIN6thrust23THRUST_200600_302600_NS5tupleIblNS6_9null_typeES8_S8_S8_S8_S8_S8_S8_EEEEZNS1_11reduce_implILb1ES3_NS6_12zip_iteratorINS7_INS6_11hip_rocprim26transform_input_iterator_tIbNSD_35transform_pair_of_input_iterators_tIbNS6_6detail15normal_iteratorINS6_10device_ptrIKfEEEESL_NS6_8equal_toIfEEEENSG_9not_fun_tINSD_8identityEEEEENSD_19counting_iterator_tIlEES8_S8_S8_S8_S8_S8_S8_S8_EEEEPS9_S9_NSD_9__find_if7functorIS9_EEEE10hipError_tPvRmT1_T2_T3_mT4_P12ihipStream_tbEUlT_E1_NS1_11comp_targetILNS1_3genE0ELNS1_11target_archE4294967295ELNS1_3gpuE0ELNS1_3repE0EEENS1_30default_config_static_selectorELNS0_4arch9wavefront6targetE0EEEvS14_,@function
_ZN7rocprim17ROCPRIM_400000_NS6detail17trampoline_kernelINS0_14default_configENS1_22reduce_config_selectorIN6thrust23THRUST_200600_302600_NS5tupleIblNS6_9null_typeES8_S8_S8_S8_S8_S8_S8_EEEEZNS1_11reduce_implILb1ES3_NS6_12zip_iteratorINS7_INS6_11hip_rocprim26transform_input_iterator_tIbNSD_35transform_pair_of_input_iterators_tIbNS6_6detail15normal_iteratorINS6_10device_ptrIKfEEEESL_NS6_8equal_toIfEEEENSG_9not_fun_tINSD_8identityEEEEENSD_19counting_iterator_tIlEES8_S8_S8_S8_S8_S8_S8_S8_EEEEPS9_S9_NSD_9__find_if7functorIS9_EEEE10hipError_tPvRmT1_T2_T3_mT4_P12ihipStream_tbEUlT_E1_NS1_11comp_targetILNS1_3genE0ELNS1_11target_archE4294967295ELNS1_3gpuE0ELNS1_3repE0EEENS1_30default_config_static_selectorELNS0_4arch9wavefront6targetE0EEEvS14_: ; @_ZN7rocprim17ROCPRIM_400000_NS6detail17trampoline_kernelINS0_14default_configENS1_22reduce_config_selectorIN6thrust23THRUST_200600_302600_NS5tupleIblNS6_9null_typeES8_S8_S8_S8_S8_S8_S8_EEEEZNS1_11reduce_implILb1ES3_NS6_12zip_iteratorINS7_INS6_11hip_rocprim26transform_input_iterator_tIbNSD_35transform_pair_of_input_iterators_tIbNS6_6detail15normal_iteratorINS6_10device_ptrIKfEEEESL_NS6_8equal_toIfEEEENSG_9not_fun_tINSD_8identityEEEEENSD_19counting_iterator_tIlEES8_S8_S8_S8_S8_S8_S8_S8_EEEEPS9_S9_NSD_9__find_if7functorIS9_EEEE10hipError_tPvRmT1_T2_T3_mT4_P12ihipStream_tbEUlT_E1_NS1_11comp_targetILNS1_3genE0ELNS1_11target_archE4294967295ELNS1_3gpuE0ELNS1_3repE0EEENS1_30default_config_static_selectorELNS0_4arch9wavefront6targetE0EEEvS14_
; %bb.0:
	.section	.rodata,"a",@progbits
	.p2align	6, 0x0
	.amdhsa_kernel _ZN7rocprim17ROCPRIM_400000_NS6detail17trampoline_kernelINS0_14default_configENS1_22reduce_config_selectorIN6thrust23THRUST_200600_302600_NS5tupleIblNS6_9null_typeES8_S8_S8_S8_S8_S8_S8_EEEEZNS1_11reduce_implILb1ES3_NS6_12zip_iteratorINS7_INS6_11hip_rocprim26transform_input_iterator_tIbNSD_35transform_pair_of_input_iterators_tIbNS6_6detail15normal_iteratorINS6_10device_ptrIKfEEEESL_NS6_8equal_toIfEEEENSG_9not_fun_tINSD_8identityEEEEENSD_19counting_iterator_tIlEES8_S8_S8_S8_S8_S8_S8_S8_EEEEPS9_S9_NSD_9__find_if7functorIS9_EEEE10hipError_tPvRmT1_T2_T3_mT4_P12ihipStream_tbEUlT_E1_NS1_11comp_targetILNS1_3genE0ELNS1_11target_archE4294967295ELNS1_3gpuE0ELNS1_3repE0EEENS1_30default_config_static_selectorELNS0_4arch9wavefront6targetE0EEEvS14_
		.amdhsa_group_segment_fixed_size 0
		.amdhsa_private_segment_fixed_size 0
		.amdhsa_kernarg_size 88
		.amdhsa_user_sgpr_count 15
		.amdhsa_user_sgpr_dispatch_ptr 0
		.amdhsa_user_sgpr_queue_ptr 0
		.amdhsa_user_sgpr_kernarg_segment_ptr 1
		.amdhsa_user_sgpr_dispatch_id 0
		.amdhsa_user_sgpr_private_segment_size 0
		.amdhsa_wavefront_size32 1
		.amdhsa_uses_dynamic_stack 0
		.amdhsa_enable_private_segment 0
		.amdhsa_system_sgpr_workgroup_id_x 1
		.amdhsa_system_sgpr_workgroup_id_y 0
		.amdhsa_system_sgpr_workgroup_id_z 0
		.amdhsa_system_sgpr_workgroup_info 0
		.amdhsa_system_vgpr_workitem_id 0
		.amdhsa_next_free_vgpr 1
		.amdhsa_next_free_sgpr 1
		.amdhsa_reserve_vcc 0
		.amdhsa_float_round_mode_32 0
		.amdhsa_float_round_mode_16_64 0
		.amdhsa_float_denorm_mode_32 3
		.amdhsa_float_denorm_mode_16_64 3
		.amdhsa_dx10_clamp 1
		.amdhsa_ieee_mode 1
		.amdhsa_fp16_overflow 0
		.amdhsa_workgroup_processor_mode 1
		.amdhsa_memory_ordered 1
		.amdhsa_forward_progress 0
		.amdhsa_shared_vgpr_count 0
		.amdhsa_exception_fp_ieee_invalid_op 0
		.amdhsa_exception_fp_denorm_src 0
		.amdhsa_exception_fp_ieee_div_zero 0
		.amdhsa_exception_fp_ieee_overflow 0
		.amdhsa_exception_fp_ieee_underflow 0
		.amdhsa_exception_fp_ieee_inexact 0
		.amdhsa_exception_int_div_zero 0
	.end_amdhsa_kernel
	.section	.text._ZN7rocprim17ROCPRIM_400000_NS6detail17trampoline_kernelINS0_14default_configENS1_22reduce_config_selectorIN6thrust23THRUST_200600_302600_NS5tupleIblNS6_9null_typeES8_S8_S8_S8_S8_S8_S8_EEEEZNS1_11reduce_implILb1ES3_NS6_12zip_iteratorINS7_INS6_11hip_rocprim26transform_input_iterator_tIbNSD_35transform_pair_of_input_iterators_tIbNS6_6detail15normal_iteratorINS6_10device_ptrIKfEEEESL_NS6_8equal_toIfEEEENSG_9not_fun_tINSD_8identityEEEEENSD_19counting_iterator_tIlEES8_S8_S8_S8_S8_S8_S8_S8_EEEEPS9_S9_NSD_9__find_if7functorIS9_EEEE10hipError_tPvRmT1_T2_T3_mT4_P12ihipStream_tbEUlT_E1_NS1_11comp_targetILNS1_3genE0ELNS1_11target_archE4294967295ELNS1_3gpuE0ELNS1_3repE0EEENS1_30default_config_static_selectorELNS0_4arch9wavefront6targetE0EEEvS14_,"axG",@progbits,_ZN7rocprim17ROCPRIM_400000_NS6detail17trampoline_kernelINS0_14default_configENS1_22reduce_config_selectorIN6thrust23THRUST_200600_302600_NS5tupleIblNS6_9null_typeES8_S8_S8_S8_S8_S8_S8_EEEEZNS1_11reduce_implILb1ES3_NS6_12zip_iteratorINS7_INS6_11hip_rocprim26transform_input_iterator_tIbNSD_35transform_pair_of_input_iterators_tIbNS6_6detail15normal_iteratorINS6_10device_ptrIKfEEEESL_NS6_8equal_toIfEEEENSG_9not_fun_tINSD_8identityEEEEENSD_19counting_iterator_tIlEES8_S8_S8_S8_S8_S8_S8_S8_EEEEPS9_S9_NSD_9__find_if7functorIS9_EEEE10hipError_tPvRmT1_T2_T3_mT4_P12ihipStream_tbEUlT_E1_NS1_11comp_targetILNS1_3genE0ELNS1_11target_archE4294967295ELNS1_3gpuE0ELNS1_3repE0EEENS1_30default_config_static_selectorELNS0_4arch9wavefront6targetE0EEEvS14_,comdat
.Lfunc_end456:
	.size	_ZN7rocprim17ROCPRIM_400000_NS6detail17trampoline_kernelINS0_14default_configENS1_22reduce_config_selectorIN6thrust23THRUST_200600_302600_NS5tupleIblNS6_9null_typeES8_S8_S8_S8_S8_S8_S8_EEEEZNS1_11reduce_implILb1ES3_NS6_12zip_iteratorINS7_INS6_11hip_rocprim26transform_input_iterator_tIbNSD_35transform_pair_of_input_iterators_tIbNS6_6detail15normal_iteratorINS6_10device_ptrIKfEEEESL_NS6_8equal_toIfEEEENSG_9not_fun_tINSD_8identityEEEEENSD_19counting_iterator_tIlEES8_S8_S8_S8_S8_S8_S8_S8_EEEEPS9_S9_NSD_9__find_if7functorIS9_EEEE10hipError_tPvRmT1_T2_T3_mT4_P12ihipStream_tbEUlT_E1_NS1_11comp_targetILNS1_3genE0ELNS1_11target_archE4294967295ELNS1_3gpuE0ELNS1_3repE0EEENS1_30default_config_static_selectorELNS0_4arch9wavefront6targetE0EEEvS14_, .Lfunc_end456-_ZN7rocprim17ROCPRIM_400000_NS6detail17trampoline_kernelINS0_14default_configENS1_22reduce_config_selectorIN6thrust23THRUST_200600_302600_NS5tupleIblNS6_9null_typeES8_S8_S8_S8_S8_S8_S8_EEEEZNS1_11reduce_implILb1ES3_NS6_12zip_iteratorINS7_INS6_11hip_rocprim26transform_input_iterator_tIbNSD_35transform_pair_of_input_iterators_tIbNS6_6detail15normal_iteratorINS6_10device_ptrIKfEEEESL_NS6_8equal_toIfEEEENSG_9not_fun_tINSD_8identityEEEEENSD_19counting_iterator_tIlEES8_S8_S8_S8_S8_S8_S8_S8_EEEEPS9_S9_NSD_9__find_if7functorIS9_EEEE10hipError_tPvRmT1_T2_T3_mT4_P12ihipStream_tbEUlT_E1_NS1_11comp_targetILNS1_3genE0ELNS1_11target_archE4294967295ELNS1_3gpuE0ELNS1_3repE0EEENS1_30default_config_static_selectorELNS0_4arch9wavefront6targetE0EEEvS14_
                                        ; -- End function
	.section	.AMDGPU.csdata,"",@progbits
; Kernel info:
; codeLenInByte = 0
; NumSgprs: 0
; NumVgprs: 0
; ScratchSize: 0
; MemoryBound: 0
; FloatMode: 240
; IeeeMode: 1
; LDSByteSize: 0 bytes/workgroup (compile time only)
; SGPRBlocks: 0
; VGPRBlocks: 0
; NumSGPRsForWavesPerEU: 1
; NumVGPRsForWavesPerEU: 1
; Occupancy: 16
; WaveLimiterHint : 0
; COMPUTE_PGM_RSRC2:SCRATCH_EN: 0
; COMPUTE_PGM_RSRC2:USER_SGPR: 15
; COMPUTE_PGM_RSRC2:TRAP_HANDLER: 0
; COMPUTE_PGM_RSRC2:TGID_X_EN: 1
; COMPUTE_PGM_RSRC2:TGID_Y_EN: 0
; COMPUTE_PGM_RSRC2:TGID_Z_EN: 0
; COMPUTE_PGM_RSRC2:TIDIG_COMP_CNT: 0
	.section	.text._ZN7rocprim17ROCPRIM_400000_NS6detail17trampoline_kernelINS0_14default_configENS1_22reduce_config_selectorIN6thrust23THRUST_200600_302600_NS5tupleIblNS6_9null_typeES8_S8_S8_S8_S8_S8_S8_EEEEZNS1_11reduce_implILb1ES3_NS6_12zip_iteratorINS7_INS6_11hip_rocprim26transform_input_iterator_tIbNSD_35transform_pair_of_input_iterators_tIbNS6_6detail15normal_iteratorINS6_10device_ptrIKfEEEESL_NS6_8equal_toIfEEEENSG_9not_fun_tINSD_8identityEEEEENSD_19counting_iterator_tIlEES8_S8_S8_S8_S8_S8_S8_S8_EEEEPS9_S9_NSD_9__find_if7functorIS9_EEEE10hipError_tPvRmT1_T2_T3_mT4_P12ihipStream_tbEUlT_E1_NS1_11comp_targetILNS1_3genE5ELNS1_11target_archE942ELNS1_3gpuE9ELNS1_3repE0EEENS1_30default_config_static_selectorELNS0_4arch9wavefront6targetE0EEEvS14_,"axG",@progbits,_ZN7rocprim17ROCPRIM_400000_NS6detail17trampoline_kernelINS0_14default_configENS1_22reduce_config_selectorIN6thrust23THRUST_200600_302600_NS5tupleIblNS6_9null_typeES8_S8_S8_S8_S8_S8_S8_EEEEZNS1_11reduce_implILb1ES3_NS6_12zip_iteratorINS7_INS6_11hip_rocprim26transform_input_iterator_tIbNSD_35transform_pair_of_input_iterators_tIbNS6_6detail15normal_iteratorINS6_10device_ptrIKfEEEESL_NS6_8equal_toIfEEEENSG_9not_fun_tINSD_8identityEEEEENSD_19counting_iterator_tIlEES8_S8_S8_S8_S8_S8_S8_S8_EEEEPS9_S9_NSD_9__find_if7functorIS9_EEEE10hipError_tPvRmT1_T2_T3_mT4_P12ihipStream_tbEUlT_E1_NS1_11comp_targetILNS1_3genE5ELNS1_11target_archE942ELNS1_3gpuE9ELNS1_3repE0EEENS1_30default_config_static_selectorELNS0_4arch9wavefront6targetE0EEEvS14_,comdat
	.protected	_ZN7rocprim17ROCPRIM_400000_NS6detail17trampoline_kernelINS0_14default_configENS1_22reduce_config_selectorIN6thrust23THRUST_200600_302600_NS5tupleIblNS6_9null_typeES8_S8_S8_S8_S8_S8_S8_EEEEZNS1_11reduce_implILb1ES3_NS6_12zip_iteratorINS7_INS6_11hip_rocprim26transform_input_iterator_tIbNSD_35transform_pair_of_input_iterators_tIbNS6_6detail15normal_iteratorINS6_10device_ptrIKfEEEESL_NS6_8equal_toIfEEEENSG_9not_fun_tINSD_8identityEEEEENSD_19counting_iterator_tIlEES8_S8_S8_S8_S8_S8_S8_S8_EEEEPS9_S9_NSD_9__find_if7functorIS9_EEEE10hipError_tPvRmT1_T2_T3_mT4_P12ihipStream_tbEUlT_E1_NS1_11comp_targetILNS1_3genE5ELNS1_11target_archE942ELNS1_3gpuE9ELNS1_3repE0EEENS1_30default_config_static_selectorELNS0_4arch9wavefront6targetE0EEEvS14_ ; -- Begin function _ZN7rocprim17ROCPRIM_400000_NS6detail17trampoline_kernelINS0_14default_configENS1_22reduce_config_selectorIN6thrust23THRUST_200600_302600_NS5tupleIblNS6_9null_typeES8_S8_S8_S8_S8_S8_S8_EEEEZNS1_11reduce_implILb1ES3_NS6_12zip_iteratorINS7_INS6_11hip_rocprim26transform_input_iterator_tIbNSD_35transform_pair_of_input_iterators_tIbNS6_6detail15normal_iteratorINS6_10device_ptrIKfEEEESL_NS6_8equal_toIfEEEENSG_9not_fun_tINSD_8identityEEEEENSD_19counting_iterator_tIlEES8_S8_S8_S8_S8_S8_S8_S8_EEEEPS9_S9_NSD_9__find_if7functorIS9_EEEE10hipError_tPvRmT1_T2_T3_mT4_P12ihipStream_tbEUlT_E1_NS1_11comp_targetILNS1_3genE5ELNS1_11target_archE942ELNS1_3gpuE9ELNS1_3repE0EEENS1_30default_config_static_selectorELNS0_4arch9wavefront6targetE0EEEvS14_
	.globl	_ZN7rocprim17ROCPRIM_400000_NS6detail17trampoline_kernelINS0_14default_configENS1_22reduce_config_selectorIN6thrust23THRUST_200600_302600_NS5tupleIblNS6_9null_typeES8_S8_S8_S8_S8_S8_S8_EEEEZNS1_11reduce_implILb1ES3_NS6_12zip_iteratorINS7_INS6_11hip_rocprim26transform_input_iterator_tIbNSD_35transform_pair_of_input_iterators_tIbNS6_6detail15normal_iteratorINS6_10device_ptrIKfEEEESL_NS6_8equal_toIfEEEENSG_9not_fun_tINSD_8identityEEEEENSD_19counting_iterator_tIlEES8_S8_S8_S8_S8_S8_S8_S8_EEEEPS9_S9_NSD_9__find_if7functorIS9_EEEE10hipError_tPvRmT1_T2_T3_mT4_P12ihipStream_tbEUlT_E1_NS1_11comp_targetILNS1_3genE5ELNS1_11target_archE942ELNS1_3gpuE9ELNS1_3repE0EEENS1_30default_config_static_selectorELNS0_4arch9wavefront6targetE0EEEvS14_
	.p2align	8
	.type	_ZN7rocprim17ROCPRIM_400000_NS6detail17trampoline_kernelINS0_14default_configENS1_22reduce_config_selectorIN6thrust23THRUST_200600_302600_NS5tupleIblNS6_9null_typeES8_S8_S8_S8_S8_S8_S8_EEEEZNS1_11reduce_implILb1ES3_NS6_12zip_iteratorINS7_INS6_11hip_rocprim26transform_input_iterator_tIbNSD_35transform_pair_of_input_iterators_tIbNS6_6detail15normal_iteratorINS6_10device_ptrIKfEEEESL_NS6_8equal_toIfEEEENSG_9not_fun_tINSD_8identityEEEEENSD_19counting_iterator_tIlEES8_S8_S8_S8_S8_S8_S8_S8_EEEEPS9_S9_NSD_9__find_if7functorIS9_EEEE10hipError_tPvRmT1_T2_T3_mT4_P12ihipStream_tbEUlT_E1_NS1_11comp_targetILNS1_3genE5ELNS1_11target_archE942ELNS1_3gpuE9ELNS1_3repE0EEENS1_30default_config_static_selectorELNS0_4arch9wavefront6targetE0EEEvS14_,@function
_ZN7rocprim17ROCPRIM_400000_NS6detail17trampoline_kernelINS0_14default_configENS1_22reduce_config_selectorIN6thrust23THRUST_200600_302600_NS5tupleIblNS6_9null_typeES8_S8_S8_S8_S8_S8_S8_EEEEZNS1_11reduce_implILb1ES3_NS6_12zip_iteratorINS7_INS6_11hip_rocprim26transform_input_iterator_tIbNSD_35transform_pair_of_input_iterators_tIbNS6_6detail15normal_iteratorINS6_10device_ptrIKfEEEESL_NS6_8equal_toIfEEEENSG_9not_fun_tINSD_8identityEEEEENSD_19counting_iterator_tIlEES8_S8_S8_S8_S8_S8_S8_S8_EEEEPS9_S9_NSD_9__find_if7functorIS9_EEEE10hipError_tPvRmT1_T2_T3_mT4_P12ihipStream_tbEUlT_E1_NS1_11comp_targetILNS1_3genE5ELNS1_11target_archE942ELNS1_3gpuE9ELNS1_3repE0EEENS1_30default_config_static_selectorELNS0_4arch9wavefront6targetE0EEEvS14_: ; @_ZN7rocprim17ROCPRIM_400000_NS6detail17trampoline_kernelINS0_14default_configENS1_22reduce_config_selectorIN6thrust23THRUST_200600_302600_NS5tupleIblNS6_9null_typeES8_S8_S8_S8_S8_S8_S8_EEEEZNS1_11reduce_implILb1ES3_NS6_12zip_iteratorINS7_INS6_11hip_rocprim26transform_input_iterator_tIbNSD_35transform_pair_of_input_iterators_tIbNS6_6detail15normal_iteratorINS6_10device_ptrIKfEEEESL_NS6_8equal_toIfEEEENSG_9not_fun_tINSD_8identityEEEEENSD_19counting_iterator_tIlEES8_S8_S8_S8_S8_S8_S8_S8_EEEEPS9_S9_NSD_9__find_if7functorIS9_EEEE10hipError_tPvRmT1_T2_T3_mT4_P12ihipStream_tbEUlT_E1_NS1_11comp_targetILNS1_3genE5ELNS1_11target_archE942ELNS1_3gpuE9ELNS1_3repE0EEENS1_30default_config_static_selectorELNS0_4arch9wavefront6targetE0EEEvS14_
; %bb.0:
	.section	.rodata,"a",@progbits
	.p2align	6, 0x0
	.amdhsa_kernel _ZN7rocprim17ROCPRIM_400000_NS6detail17trampoline_kernelINS0_14default_configENS1_22reduce_config_selectorIN6thrust23THRUST_200600_302600_NS5tupleIblNS6_9null_typeES8_S8_S8_S8_S8_S8_S8_EEEEZNS1_11reduce_implILb1ES3_NS6_12zip_iteratorINS7_INS6_11hip_rocprim26transform_input_iterator_tIbNSD_35transform_pair_of_input_iterators_tIbNS6_6detail15normal_iteratorINS6_10device_ptrIKfEEEESL_NS6_8equal_toIfEEEENSG_9not_fun_tINSD_8identityEEEEENSD_19counting_iterator_tIlEES8_S8_S8_S8_S8_S8_S8_S8_EEEEPS9_S9_NSD_9__find_if7functorIS9_EEEE10hipError_tPvRmT1_T2_T3_mT4_P12ihipStream_tbEUlT_E1_NS1_11comp_targetILNS1_3genE5ELNS1_11target_archE942ELNS1_3gpuE9ELNS1_3repE0EEENS1_30default_config_static_selectorELNS0_4arch9wavefront6targetE0EEEvS14_
		.amdhsa_group_segment_fixed_size 0
		.amdhsa_private_segment_fixed_size 0
		.amdhsa_kernarg_size 88
		.amdhsa_user_sgpr_count 15
		.amdhsa_user_sgpr_dispatch_ptr 0
		.amdhsa_user_sgpr_queue_ptr 0
		.amdhsa_user_sgpr_kernarg_segment_ptr 1
		.amdhsa_user_sgpr_dispatch_id 0
		.amdhsa_user_sgpr_private_segment_size 0
		.amdhsa_wavefront_size32 1
		.amdhsa_uses_dynamic_stack 0
		.amdhsa_enable_private_segment 0
		.amdhsa_system_sgpr_workgroup_id_x 1
		.amdhsa_system_sgpr_workgroup_id_y 0
		.amdhsa_system_sgpr_workgroup_id_z 0
		.amdhsa_system_sgpr_workgroup_info 0
		.amdhsa_system_vgpr_workitem_id 0
		.amdhsa_next_free_vgpr 1
		.amdhsa_next_free_sgpr 1
		.amdhsa_reserve_vcc 0
		.amdhsa_float_round_mode_32 0
		.amdhsa_float_round_mode_16_64 0
		.amdhsa_float_denorm_mode_32 3
		.amdhsa_float_denorm_mode_16_64 3
		.amdhsa_dx10_clamp 1
		.amdhsa_ieee_mode 1
		.amdhsa_fp16_overflow 0
		.amdhsa_workgroup_processor_mode 1
		.amdhsa_memory_ordered 1
		.amdhsa_forward_progress 0
		.amdhsa_shared_vgpr_count 0
		.amdhsa_exception_fp_ieee_invalid_op 0
		.amdhsa_exception_fp_denorm_src 0
		.amdhsa_exception_fp_ieee_div_zero 0
		.amdhsa_exception_fp_ieee_overflow 0
		.amdhsa_exception_fp_ieee_underflow 0
		.amdhsa_exception_fp_ieee_inexact 0
		.amdhsa_exception_int_div_zero 0
	.end_amdhsa_kernel
	.section	.text._ZN7rocprim17ROCPRIM_400000_NS6detail17trampoline_kernelINS0_14default_configENS1_22reduce_config_selectorIN6thrust23THRUST_200600_302600_NS5tupleIblNS6_9null_typeES8_S8_S8_S8_S8_S8_S8_EEEEZNS1_11reduce_implILb1ES3_NS6_12zip_iteratorINS7_INS6_11hip_rocprim26transform_input_iterator_tIbNSD_35transform_pair_of_input_iterators_tIbNS6_6detail15normal_iteratorINS6_10device_ptrIKfEEEESL_NS6_8equal_toIfEEEENSG_9not_fun_tINSD_8identityEEEEENSD_19counting_iterator_tIlEES8_S8_S8_S8_S8_S8_S8_S8_EEEEPS9_S9_NSD_9__find_if7functorIS9_EEEE10hipError_tPvRmT1_T2_T3_mT4_P12ihipStream_tbEUlT_E1_NS1_11comp_targetILNS1_3genE5ELNS1_11target_archE942ELNS1_3gpuE9ELNS1_3repE0EEENS1_30default_config_static_selectorELNS0_4arch9wavefront6targetE0EEEvS14_,"axG",@progbits,_ZN7rocprim17ROCPRIM_400000_NS6detail17trampoline_kernelINS0_14default_configENS1_22reduce_config_selectorIN6thrust23THRUST_200600_302600_NS5tupleIblNS6_9null_typeES8_S8_S8_S8_S8_S8_S8_EEEEZNS1_11reduce_implILb1ES3_NS6_12zip_iteratorINS7_INS6_11hip_rocprim26transform_input_iterator_tIbNSD_35transform_pair_of_input_iterators_tIbNS6_6detail15normal_iteratorINS6_10device_ptrIKfEEEESL_NS6_8equal_toIfEEEENSG_9not_fun_tINSD_8identityEEEEENSD_19counting_iterator_tIlEES8_S8_S8_S8_S8_S8_S8_S8_EEEEPS9_S9_NSD_9__find_if7functorIS9_EEEE10hipError_tPvRmT1_T2_T3_mT4_P12ihipStream_tbEUlT_E1_NS1_11comp_targetILNS1_3genE5ELNS1_11target_archE942ELNS1_3gpuE9ELNS1_3repE0EEENS1_30default_config_static_selectorELNS0_4arch9wavefront6targetE0EEEvS14_,comdat
.Lfunc_end457:
	.size	_ZN7rocprim17ROCPRIM_400000_NS6detail17trampoline_kernelINS0_14default_configENS1_22reduce_config_selectorIN6thrust23THRUST_200600_302600_NS5tupleIblNS6_9null_typeES8_S8_S8_S8_S8_S8_S8_EEEEZNS1_11reduce_implILb1ES3_NS6_12zip_iteratorINS7_INS6_11hip_rocprim26transform_input_iterator_tIbNSD_35transform_pair_of_input_iterators_tIbNS6_6detail15normal_iteratorINS6_10device_ptrIKfEEEESL_NS6_8equal_toIfEEEENSG_9not_fun_tINSD_8identityEEEEENSD_19counting_iterator_tIlEES8_S8_S8_S8_S8_S8_S8_S8_EEEEPS9_S9_NSD_9__find_if7functorIS9_EEEE10hipError_tPvRmT1_T2_T3_mT4_P12ihipStream_tbEUlT_E1_NS1_11comp_targetILNS1_3genE5ELNS1_11target_archE942ELNS1_3gpuE9ELNS1_3repE0EEENS1_30default_config_static_selectorELNS0_4arch9wavefront6targetE0EEEvS14_, .Lfunc_end457-_ZN7rocprim17ROCPRIM_400000_NS6detail17trampoline_kernelINS0_14default_configENS1_22reduce_config_selectorIN6thrust23THRUST_200600_302600_NS5tupleIblNS6_9null_typeES8_S8_S8_S8_S8_S8_S8_EEEEZNS1_11reduce_implILb1ES3_NS6_12zip_iteratorINS7_INS6_11hip_rocprim26transform_input_iterator_tIbNSD_35transform_pair_of_input_iterators_tIbNS6_6detail15normal_iteratorINS6_10device_ptrIKfEEEESL_NS6_8equal_toIfEEEENSG_9not_fun_tINSD_8identityEEEEENSD_19counting_iterator_tIlEES8_S8_S8_S8_S8_S8_S8_S8_EEEEPS9_S9_NSD_9__find_if7functorIS9_EEEE10hipError_tPvRmT1_T2_T3_mT4_P12ihipStream_tbEUlT_E1_NS1_11comp_targetILNS1_3genE5ELNS1_11target_archE942ELNS1_3gpuE9ELNS1_3repE0EEENS1_30default_config_static_selectorELNS0_4arch9wavefront6targetE0EEEvS14_
                                        ; -- End function
	.section	.AMDGPU.csdata,"",@progbits
; Kernel info:
; codeLenInByte = 0
; NumSgprs: 0
; NumVgprs: 0
; ScratchSize: 0
; MemoryBound: 0
; FloatMode: 240
; IeeeMode: 1
; LDSByteSize: 0 bytes/workgroup (compile time only)
; SGPRBlocks: 0
; VGPRBlocks: 0
; NumSGPRsForWavesPerEU: 1
; NumVGPRsForWavesPerEU: 1
; Occupancy: 16
; WaveLimiterHint : 0
; COMPUTE_PGM_RSRC2:SCRATCH_EN: 0
; COMPUTE_PGM_RSRC2:USER_SGPR: 15
; COMPUTE_PGM_RSRC2:TRAP_HANDLER: 0
; COMPUTE_PGM_RSRC2:TGID_X_EN: 1
; COMPUTE_PGM_RSRC2:TGID_Y_EN: 0
; COMPUTE_PGM_RSRC2:TGID_Z_EN: 0
; COMPUTE_PGM_RSRC2:TIDIG_COMP_CNT: 0
	.section	.text._ZN7rocprim17ROCPRIM_400000_NS6detail17trampoline_kernelINS0_14default_configENS1_22reduce_config_selectorIN6thrust23THRUST_200600_302600_NS5tupleIblNS6_9null_typeES8_S8_S8_S8_S8_S8_S8_EEEEZNS1_11reduce_implILb1ES3_NS6_12zip_iteratorINS7_INS6_11hip_rocprim26transform_input_iterator_tIbNSD_35transform_pair_of_input_iterators_tIbNS6_6detail15normal_iteratorINS6_10device_ptrIKfEEEESL_NS6_8equal_toIfEEEENSG_9not_fun_tINSD_8identityEEEEENSD_19counting_iterator_tIlEES8_S8_S8_S8_S8_S8_S8_S8_EEEEPS9_S9_NSD_9__find_if7functorIS9_EEEE10hipError_tPvRmT1_T2_T3_mT4_P12ihipStream_tbEUlT_E1_NS1_11comp_targetILNS1_3genE4ELNS1_11target_archE910ELNS1_3gpuE8ELNS1_3repE0EEENS1_30default_config_static_selectorELNS0_4arch9wavefront6targetE0EEEvS14_,"axG",@progbits,_ZN7rocprim17ROCPRIM_400000_NS6detail17trampoline_kernelINS0_14default_configENS1_22reduce_config_selectorIN6thrust23THRUST_200600_302600_NS5tupleIblNS6_9null_typeES8_S8_S8_S8_S8_S8_S8_EEEEZNS1_11reduce_implILb1ES3_NS6_12zip_iteratorINS7_INS6_11hip_rocprim26transform_input_iterator_tIbNSD_35transform_pair_of_input_iterators_tIbNS6_6detail15normal_iteratorINS6_10device_ptrIKfEEEESL_NS6_8equal_toIfEEEENSG_9not_fun_tINSD_8identityEEEEENSD_19counting_iterator_tIlEES8_S8_S8_S8_S8_S8_S8_S8_EEEEPS9_S9_NSD_9__find_if7functorIS9_EEEE10hipError_tPvRmT1_T2_T3_mT4_P12ihipStream_tbEUlT_E1_NS1_11comp_targetILNS1_3genE4ELNS1_11target_archE910ELNS1_3gpuE8ELNS1_3repE0EEENS1_30default_config_static_selectorELNS0_4arch9wavefront6targetE0EEEvS14_,comdat
	.protected	_ZN7rocprim17ROCPRIM_400000_NS6detail17trampoline_kernelINS0_14default_configENS1_22reduce_config_selectorIN6thrust23THRUST_200600_302600_NS5tupleIblNS6_9null_typeES8_S8_S8_S8_S8_S8_S8_EEEEZNS1_11reduce_implILb1ES3_NS6_12zip_iteratorINS7_INS6_11hip_rocprim26transform_input_iterator_tIbNSD_35transform_pair_of_input_iterators_tIbNS6_6detail15normal_iteratorINS6_10device_ptrIKfEEEESL_NS6_8equal_toIfEEEENSG_9not_fun_tINSD_8identityEEEEENSD_19counting_iterator_tIlEES8_S8_S8_S8_S8_S8_S8_S8_EEEEPS9_S9_NSD_9__find_if7functorIS9_EEEE10hipError_tPvRmT1_T2_T3_mT4_P12ihipStream_tbEUlT_E1_NS1_11comp_targetILNS1_3genE4ELNS1_11target_archE910ELNS1_3gpuE8ELNS1_3repE0EEENS1_30default_config_static_selectorELNS0_4arch9wavefront6targetE0EEEvS14_ ; -- Begin function _ZN7rocprim17ROCPRIM_400000_NS6detail17trampoline_kernelINS0_14default_configENS1_22reduce_config_selectorIN6thrust23THRUST_200600_302600_NS5tupleIblNS6_9null_typeES8_S8_S8_S8_S8_S8_S8_EEEEZNS1_11reduce_implILb1ES3_NS6_12zip_iteratorINS7_INS6_11hip_rocprim26transform_input_iterator_tIbNSD_35transform_pair_of_input_iterators_tIbNS6_6detail15normal_iteratorINS6_10device_ptrIKfEEEESL_NS6_8equal_toIfEEEENSG_9not_fun_tINSD_8identityEEEEENSD_19counting_iterator_tIlEES8_S8_S8_S8_S8_S8_S8_S8_EEEEPS9_S9_NSD_9__find_if7functorIS9_EEEE10hipError_tPvRmT1_T2_T3_mT4_P12ihipStream_tbEUlT_E1_NS1_11comp_targetILNS1_3genE4ELNS1_11target_archE910ELNS1_3gpuE8ELNS1_3repE0EEENS1_30default_config_static_selectorELNS0_4arch9wavefront6targetE0EEEvS14_
	.globl	_ZN7rocprim17ROCPRIM_400000_NS6detail17trampoline_kernelINS0_14default_configENS1_22reduce_config_selectorIN6thrust23THRUST_200600_302600_NS5tupleIblNS6_9null_typeES8_S8_S8_S8_S8_S8_S8_EEEEZNS1_11reduce_implILb1ES3_NS6_12zip_iteratorINS7_INS6_11hip_rocprim26transform_input_iterator_tIbNSD_35transform_pair_of_input_iterators_tIbNS6_6detail15normal_iteratorINS6_10device_ptrIKfEEEESL_NS6_8equal_toIfEEEENSG_9not_fun_tINSD_8identityEEEEENSD_19counting_iterator_tIlEES8_S8_S8_S8_S8_S8_S8_S8_EEEEPS9_S9_NSD_9__find_if7functorIS9_EEEE10hipError_tPvRmT1_T2_T3_mT4_P12ihipStream_tbEUlT_E1_NS1_11comp_targetILNS1_3genE4ELNS1_11target_archE910ELNS1_3gpuE8ELNS1_3repE0EEENS1_30default_config_static_selectorELNS0_4arch9wavefront6targetE0EEEvS14_
	.p2align	8
	.type	_ZN7rocprim17ROCPRIM_400000_NS6detail17trampoline_kernelINS0_14default_configENS1_22reduce_config_selectorIN6thrust23THRUST_200600_302600_NS5tupleIblNS6_9null_typeES8_S8_S8_S8_S8_S8_S8_EEEEZNS1_11reduce_implILb1ES3_NS6_12zip_iteratorINS7_INS6_11hip_rocprim26transform_input_iterator_tIbNSD_35transform_pair_of_input_iterators_tIbNS6_6detail15normal_iteratorINS6_10device_ptrIKfEEEESL_NS6_8equal_toIfEEEENSG_9not_fun_tINSD_8identityEEEEENSD_19counting_iterator_tIlEES8_S8_S8_S8_S8_S8_S8_S8_EEEEPS9_S9_NSD_9__find_if7functorIS9_EEEE10hipError_tPvRmT1_T2_T3_mT4_P12ihipStream_tbEUlT_E1_NS1_11comp_targetILNS1_3genE4ELNS1_11target_archE910ELNS1_3gpuE8ELNS1_3repE0EEENS1_30default_config_static_selectorELNS0_4arch9wavefront6targetE0EEEvS14_,@function
_ZN7rocprim17ROCPRIM_400000_NS6detail17trampoline_kernelINS0_14default_configENS1_22reduce_config_selectorIN6thrust23THRUST_200600_302600_NS5tupleIblNS6_9null_typeES8_S8_S8_S8_S8_S8_S8_EEEEZNS1_11reduce_implILb1ES3_NS6_12zip_iteratorINS7_INS6_11hip_rocprim26transform_input_iterator_tIbNSD_35transform_pair_of_input_iterators_tIbNS6_6detail15normal_iteratorINS6_10device_ptrIKfEEEESL_NS6_8equal_toIfEEEENSG_9not_fun_tINSD_8identityEEEEENSD_19counting_iterator_tIlEES8_S8_S8_S8_S8_S8_S8_S8_EEEEPS9_S9_NSD_9__find_if7functorIS9_EEEE10hipError_tPvRmT1_T2_T3_mT4_P12ihipStream_tbEUlT_E1_NS1_11comp_targetILNS1_3genE4ELNS1_11target_archE910ELNS1_3gpuE8ELNS1_3repE0EEENS1_30default_config_static_selectorELNS0_4arch9wavefront6targetE0EEEvS14_: ; @_ZN7rocprim17ROCPRIM_400000_NS6detail17trampoline_kernelINS0_14default_configENS1_22reduce_config_selectorIN6thrust23THRUST_200600_302600_NS5tupleIblNS6_9null_typeES8_S8_S8_S8_S8_S8_S8_EEEEZNS1_11reduce_implILb1ES3_NS6_12zip_iteratorINS7_INS6_11hip_rocprim26transform_input_iterator_tIbNSD_35transform_pair_of_input_iterators_tIbNS6_6detail15normal_iteratorINS6_10device_ptrIKfEEEESL_NS6_8equal_toIfEEEENSG_9not_fun_tINSD_8identityEEEEENSD_19counting_iterator_tIlEES8_S8_S8_S8_S8_S8_S8_S8_EEEEPS9_S9_NSD_9__find_if7functorIS9_EEEE10hipError_tPvRmT1_T2_T3_mT4_P12ihipStream_tbEUlT_E1_NS1_11comp_targetILNS1_3genE4ELNS1_11target_archE910ELNS1_3gpuE8ELNS1_3repE0EEENS1_30default_config_static_selectorELNS0_4arch9wavefront6targetE0EEEvS14_
; %bb.0:
	.section	.rodata,"a",@progbits
	.p2align	6, 0x0
	.amdhsa_kernel _ZN7rocprim17ROCPRIM_400000_NS6detail17trampoline_kernelINS0_14default_configENS1_22reduce_config_selectorIN6thrust23THRUST_200600_302600_NS5tupleIblNS6_9null_typeES8_S8_S8_S8_S8_S8_S8_EEEEZNS1_11reduce_implILb1ES3_NS6_12zip_iteratorINS7_INS6_11hip_rocprim26transform_input_iterator_tIbNSD_35transform_pair_of_input_iterators_tIbNS6_6detail15normal_iteratorINS6_10device_ptrIKfEEEESL_NS6_8equal_toIfEEEENSG_9not_fun_tINSD_8identityEEEEENSD_19counting_iterator_tIlEES8_S8_S8_S8_S8_S8_S8_S8_EEEEPS9_S9_NSD_9__find_if7functorIS9_EEEE10hipError_tPvRmT1_T2_T3_mT4_P12ihipStream_tbEUlT_E1_NS1_11comp_targetILNS1_3genE4ELNS1_11target_archE910ELNS1_3gpuE8ELNS1_3repE0EEENS1_30default_config_static_selectorELNS0_4arch9wavefront6targetE0EEEvS14_
		.amdhsa_group_segment_fixed_size 0
		.amdhsa_private_segment_fixed_size 0
		.amdhsa_kernarg_size 88
		.amdhsa_user_sgpr_count 15
		.amdhsa_user_sgpr_dispatch_ptr 0
		.amdhsa_user_sgpr_queue_ptr 0
		.amdhsa_user_sgpr_kernarg_segment_ptr 1
		.amdhsa_user_sgpr_dispatch_id 0
		.amdhsa_user_sgpr_private_segment_size 0
		.amdhsa_wavefront_size32 1
		.amdhsa_uses_dynamic_stack 0
		.amdhsa_enable_private_segment 0
		.amdhsa_system_sgpr_workgroup_id_x 1
		.amdhsa_system_sgpr_workgroup_id_y 0
		.amdhsa_system_sgpr_workgroup_id_z 0
		.amdhsa_system_sgpr_workgroup_info 0
		.amdhsa_system_vgpr_workitem_id 0
		.amdhsa_next_free_vgpr 1
		.amdhsa_next_free_sgpr 1
		.amdhsa_reserve_vcc 0
		.amdhsa_float_round_mode_32 0
		.amdhsa_float_round_mode_16_64 0
		.amdhsa_float_denorm_mode_32 3
		.amdhsa_float_denorm_mode_16_64 3
		.amdhsa_dx10_clamp 1
		.amdhsa_ieee_mode 1
		.amdhsa_fp16_overflow 0
		.amdhsa_workgroup_processor_mode 1
		.amdhsa_memory_ordered 1
		.amdhsa_forward_progress 0
		.amdhsa_shared_vgpr_count 0
		.amdhsa_exception_fp_ieee_invalid_op 0
		.amdhsa_exception_fp_denorm_src 0
		.amdhsa_exception_fp_ieee_div_zero 0
		.amdhsa_exception_fp_ieee_overflow 0
		.amdhsa_exception_fp_ieee_underflow 0
		.amdhsa_exception_fp_ieee_inexact 0
		.amdhsa_exception_int_div_zero 0
	.end_amdhsa_kernel
	.section	.text._ZN7rocprim17ROCPRIM_400000_NS6detail17trampoline_kernelINS0_14default_configENS1_22reduce_config_selectorIN6thrust23THRUST_200600_302600_NS5tupleIblNS6_9null_typeES8_S8_S8_S8_S8_S8_S8_EEEEZNS1_11reduce_implILb1ES3_NS6_12zip_iteratorINS7_INS6_11hip_rocprim26transform_input_iterator_tIbNSD_35transform_pair_of_input_iterators_tIbNS6_6detail15normal_iteratorINS6_10device_ptrIKfEEEESL_NS6_8equal_toIfEEEENSG_9not_fun_tINSD_8identityEEEEENSD_19counting_iterator_tIlEES8_S8_S8_S8_S8_S8_S8_S8_EEEEPS9_S9_NSD_9__find_if7functorIS9_EEEE10hipError_tPvRmT1_T2_T3_mT4_P12ihipStream_tbEUlT_E1_NS1_11comp_targetILNS1_3genE4ELNS1_11target_archE910ELNS1_3gpuE8ELNS1_3repE0EEENS1_30default_config_static_selectorELNS0_4arch9wavefront6targetE0EEEvS14_,"axG",@progbits,_ZN7rocprim17ROCPRIM_400000_NS6detail17trampoline_kernelINS0_14default_configENS1_22reduce_config_selectorIN6thrust23THRUST_200600_302600_NS5tupleIblNS6_9null_typeES8_S8_S8_S8_S8_S8_S8_EEEEZNS1_11reduce_implILb1ES3_NS6_12zip_iteratorINS7_INS6_11hip_rocprim26transform_input_iterator_tIbNSD_35transform_pair_of_input_iterators_tIbNS6_6detail15normal_iteratorINS6_10device_ptrIKfEEEESL_NS6_8equal_toIfEEEENSG_9not_fun_tINSD_8identityEEEEENSD_19counting_iterator_tIlEES8_S8_S8_S8_S8_S8_S8_S8_EEEEPS9_S9_NSD_9__find_if7functorIS9_EEEE10hipError_tPvRmT1_T2_T3_mT4_P12ihipStream_tbEUlT_E1_NS1_11comp_targetILNS1_3genE4ELNS1_11target_archE910ELNS1_3gpuE8ELNS1_3repE0EEENS1_30default_config_static_selectorELNS0_4arch9wavefront6targetE0EEEvS14_,comdat
.Lfunc_end458:
	.size	_ZN7rocprim17ROCPRIM_400000_NS6detail17trampoline_kernelINS0_14default_configENS1_22reduce_config_selectorIN6thrust23THRUST_200600_302600_NS5tupleIblNS6_9null_typeES8_S8_S8_S8_S8_S8_S8_EEEEZNS1_11reduce_implILb1ES3_NS6_12zip_iteratorINS7_INS6_11hip_rocprim26transform_input_iterator_tIbNSD_35transform_pair_of_input_iterators_tIbNS6_6detail15normal_iteratorINS6_10device_ptrIKfEEEESL_NS6_8equal_toIfEEEENSG_9not_fun_tINSD_8identityEEEEENSD_19counting_iterator_tIlEES8_S8_S8_S8_S8_S8_S8_S8_EEEEPS9_S9_NSD_9__find_if7functorIS9_EEEE10hipError_tPvRmT1_T2_T3_mT4_P12ihipStream_tbEUlT_E1_NS1_11comp_targetILNS1_3genE4ELNS1_11target_archE910ELNS1_3gpuE8ELNS1_3repE0EEENS1_30default_config_static_selectorELNS0_4arch9wavefront6targetE0EEEvS14_, .Lfunc_end458-_ZN7rocprim17ROCPRIM_400000_NS6detail17trampoline_kernelINS0_14default_configENS1_22reduce_config_selectorIN6thrust23THRUST_200600_302600_NS5tupleIblNS6_9null_typeES8_S8_S8_S8_S8_S8_S8_EEEEZNS1_11reduce_implILb1ES3_NS6_12zip_iteratorINS7_INS6_11hip_rocprim26transform_input_iterator_tIbNSD_35transform_pair_of_input_iterators_tIbNS6_6detail15normal_iteratorINS6_10device_ptrIKfEEEESL_NS6_8equal_toIfEEEENSG_9not_fun_tINSD_8identityEEEEENSD_19counting_iterator_tIlEES8_S8_S8_S8_S8_S8_S8_S8_EEEEPS9_S9_NSD_9__find_if7functorIS9_EEEE10hipError_tPvRmT1_T2_T3_mT4_P12ihipStream_tbEUlT_E1_NS1_11comp_targetILNS1_3genE4ELNS1_11target_archE910ELNS1_3gpuE8ELNS1_3repE0EEENS1_30default_config_static_selectorELNS0_4arch9wavefront6targetE0EEEvS14_
                                        ; -- End function
	.section	.AMDGPU.csdata,"",@progbits
; Kernel info:
; codeLenInByte = 0
; NumSgprs: 0
; NumVgprs: 0
; ScratchSize: 0
; MemoryBound: 0
; FloatMode: 240
; IeeeMode: 1
; LDSByteSize: 0 bytes/workgroup (compile time only)
; SGPRBlocks: 0
; VGPRBlocks: 0
; NumSGPRsForWavesPerEU: 1
; NumVGPRsForWavesPerEU: 1
; Occupancy: 16
; WaveLimiterHint : 0
; COMPUTE_PGM_RSRC2:SCRATCH_EN: 0
; COMPUTE_PGM_RSRC2:USER_SGPR: 15
; COMPUTE_PGM_RSRC2:TRAP_HANDLER: 0
; COMPUTE_PGM_RSRC2:TGID_X_EN: 1
; COMPUTE_PGM_RSRC2:TGID_Y_EN: 0
; COMPUTE_PGM_RSRC2:TGID_Z_EN: 0
; COMPUTE_PGM_RSRC2:TIDIG_COMP_CNT: 0
	.section	.text._ZN7rocprim17ROCPRIM_400000_NS6detail17trampoline_kernelINS0_14default_configENS1_22reduce_config_selectorIN6thrust23THRUST_200600_302600_NS5tupleIblNS6_9null_typeES8_S8_S8_S8_S8_S8_S8_EEEEZNS1_11reduce_implILb1ES3_NS6_12zip_iteratorINS7_INS6_11hip_rocprim26transform_input_iterator_tIbNSD_35transform_pair_of_input_iterators_tIbNS6_6detail15normal_iteratorINS6_10device_ptrIKfEEEESL_NS6_8equal_toIfEEEENSG_9not_fun_tINSD_8identityEEEEENSD_19counting_iterator_tIlEES8_S8_S8_S8_S8_S8_S8_S8_EEEEPS9_S9_NSD_9__find_if7functorIS9_EEEE10hipError_tPvRmT1_T2_T3_mT4_P12ihipStream_tbEUlT_E1_NS1_11comp_targetILNS1_3genE3ELNS1_11target_archE908ELNS1_3gpuE7ELNS1_3repE0EEENS1_30default_config_static_selectorELNS0_4arch9wavefront6targetE0EEEvS14_,"axG",@progbits,_ZN7rocprim17ROCPRIM_400000_NS6detail17trampoline_kernelINS0_14default_configENS1_22reduce_config_selectorIN6thrust23THRUST_200600_302600_NS5tupleIblNS6_9null_typeES8_S8_S8_S8_S8_S8_S8_EEEEZNS1_11reduce_implILb1ES3_NS6_12zip_iteratorINS7_INS6_11hip_rocprim26transform_input_iterator_tIbNSD_35transform_pair_of_input_iterators_tIbNS6_6detail15normal_iteratorINS6_10device_ptrIKfEEEESL_NS6_8equal_toIfEEEENSG_9not_fun_tINSD_8identityEEEEENSD_19counting_iterator_tIlEES8_S8_S8_S8_S8_S8_S8_S8_EEEEPS9_S9_NSD_9__find_if7functorIS9_EEEE10hipError_tPvRmT1_T2_T3_mT4_P12ihipStream_tbEUlT_E1_NS1_11comp_targetILNS1_3genE3ELNS1_11target_archE908ELNS1_3gpuE7ELNS1_3repE0EEENS1_30default_config_static_selectorELNS0_4arch9wavefront6targetE0EEEvS14_,comdat
	.protected	_ZN7rocprim17ROCPRIM_400000_NS6detail17trampoline_kernelINS0_14default_configENS1_22reduce_config_selectorIN6thrust23THRUST_200600_302600_NS5tupleIblNS6_9null_typeES8_S8_S8_S8_S8_S8_S8_EEEEZNS1_11reduce_implILb1ES3_NS6_12zip_iteratorINS7_INS6_11hip_rocprim26transform_input_iterator_tIbNSD_35transform_pair_of_input_iterators_tIbNS6_6detail15normal_iteratorINS6_10device_ptrIKfEEEESL_NS6_8equal_toIfEEEENSG_9not_fun_tINSD_8identityEEEEENSD_19counting_iterator_tIlEES8_S8_S8_S8_S8_S8_S8_S8_EEEEPS9_S9_NSD_9__find_if7functorIS9_EEEE10hipError_tPvRmT1_T2_T3_mT4_P12ihipStream_tbEUlT_E1_NS1_11comp_targetILNS1_3genE3ELNS1_11target_archE908ELNS1_3gpuE7ELNS1_3repE0EEENS1_30default_config_static_selectorELNS0_4arch9wavefront6targetE0EEEvS14_ ; -- Begin function _ZN7rocprim17ROCPRIM_400000_NS6detail17trampoline_kernelINS0_14default_configENS1_22reduce_config_selectorIN6thrust23THRUST_200600_302600_NS5tupleIblNS6_9null_typeES8_S8_S8_S8_S8_S8_S8_EEEEZNS1_11reduce_implILb1ES3_NS6_12zip_iteratorINS7_INS6_11hip_rocprim26transform_input_iterator_tIbNSD_35transform_pair_of_input_iterators_tIbNS6_6detail15normal_iteratorINS6_10device_ptrIKfEEEESL_NS6_8equal_toIfEEEENSG_9not_fun_tINSD_8identityEEEEENSD_19counting_iterator_tIlEES8_S8_S8_S8_S8_S8_S8_S8_EEEEPS9_S9_NSD_9__find_if7functorIS9_EEEE10hipError_tPvRmT1_T2_T3_mT4_P12ihipStream_tbEUlT_E1_NS1_11comp_targetILNS1_3genE3ELNS1_11target_archE908ELNS1_3gpuE7ELNS1_3repE0EEENS1_30default_config_static_selectorELNS0_4arch9wavefront6targetE0EEEvS14_
	.globl	_ZN7rocprim17ROCPRIM_400000_NS6detail17trampoline_kernelINS0_14default_configENS1_22reduce_config_selectorIN6thrust23THRUST_200600_302600_NS5tupleIblNS6_9null_typeES8_S8_S8_S8_S8_S8_S8_EEEEZNS1_11reduce_implILb1ES3_NS6_12zip_iteratorINS7_INS6_11hip_rocprim26transform_input_iterator_tIbNSD_35transform_pair_of_input_iterators_tIbNS6_6detail15normal_iteratorINS6_10device_ptrIKfEEEESL_NS6_8equal_toIfEEEENSG_9not_fun_tINSD_8identityEEEEENSD_19counting_iterator_tIlEES8_S8_S8_S8_S8_S8_S8_S8_EEEEPS9_S9_NSD_9__find_if7functorIS9_EEEE10hipError_tPvRmT1_T2_T3_mT4_P12ihipStream_tbEUlT_E1_NS1_11comp_targetILNS1_3genE3ELNS1_11target_archE908ELNS1_3gpuE7ELNS1_3repE0EEENS1_30default_config_static_selectorELNS0_4arch9wavefront6targetE0EEEvS14_
	.p2align	8
	.type	_ZN7rocprim17ROCPRIM_400000_NS6detail17trampoline_kernelINS0_14default_configENS1_22reduce_config_selectorIN6thrust23THRUST_200600_302600_NS5tupleIblNS6_9null_typeES8_S8_S8_S8_S8_S8_S8_EEEEZNS1_11reduce_implILb1ES3_NS6_12zip_iteratorINS7_INS6_11hip_rocprim26transform_input_iterator_tIbNSD_35transform_pair_of_input_iterators_tIbNS6_6detail15normal_iteratorINS6_10device_ptrIKfEEEESL_NS6_8equal_toIfEEEENSG_9not_fun_tINSD_8identityEEEEENSD_19counting_iterator_tIlEES8_S8_S8_S8_S8_S8_S8_S8_EEEEPS9_S9_NSD_9__find_if7functorIS9_EEEE10hipError_tPvRmT1_T2_T3_mT4_P12ihipStream_tbEUlT_E1_NS1_11comp_targetILNS1_3genE3ELNS1_11target_archE908ELNS1_3gpuE7ELNS1_3repE0EEENS1_30default_config_static_selectorELNS0_4arch9wavefront6targetE0EEEvS14_,@function
_ZN7rocprim17ROCPRIM_400000_NS6detail17trampoline_kernelINS0_14default_configENS1_22reduce_config_selectorIN6thrust23THRUST_200600_302600_NS5tupleIblNS6_9null_typeES8_S8_S8_S8_S8_S8_S8_EEEEZNS1_11reduce_implILb1ES3_NS6_12zip_iteratorINS7_INS6_11hip_rocprim26transform_input_iterator_tIbNSD_35transform_pair_of_input_iterators_tIbNS6_6detail15normal_iteratorINS6_10device_ptrIKfEEEESL_NS6_8equal_toIfEEEENSG_9not_fun_tINSD_8identityEEEEENSD_19counting_iterator_tIlEES8_S8_S8_S8_S8_S8_S8_S8_EEEEPS9_S9_NSD_9__find_if7functorIS9_EEEE10hipError_tPvRmT1_T2_T3_mT4_P12ihipStream_tbEUlT_E1_NS1_11comp_targetILNS1_3genE3ELNS1_11target_archE908ELNS1_3gpuE7ELNS1_3repE0EEENS1_30default_config_static_selectorELNS0_4arch9wavefront6targetE0EEEvS14_: ; @_ZN7rocprim17ROCPRIM_400000_NS6detail17trampoline_kernelINS0_14default_configENS1_22reduce_config_selectorIN6thrust23THRUST_200600_302600_NS5tupleIblNS6_9null_typeES8_S8_S8_S8_S8_S8_S8_EEEEZNS1_11reduce_implILb1ES3_NS6_12zip_iteratorINS7_INS6_11hip_rocprim26transform_input_iterator_tIbNSD_35transform_pair_of_input_iterators_tIbNS6_6detail15normal_iteratorINS6_10device_ptrIKfEEEESL_NS6_8equal_toIfEEEENSG_9not_fun_tINSD_8identityEEEEENSD_19counting_iterator_tIlEES8_S8_S8_S8_S8_S8_S8_S8_EEEEPS9_S9_NSD_9__find_if7functorIS9_EEEE10hipError_tPvRmT1_T2_T3_mT4_P12ihipStream_tbEUlT_E1_NS1_11comp_targetILNS1_3genE3ELNS1_11target_archE908ELNS1_3gpuE7ELNS1_3repE0EEENS1_30default_config_static_selectorELNS0_4arch9wavefront6targetE0EEEvS14_
; %bb.0:
	.section	.rodata,"a",@progbits
	.p2align	6, 0x0
	.amdhsa_kernel _ZN7rocprim17ROCPRIM_400000_NS6detail17trampoline_kernelINS0_14default_configENS1_22reduce_config_selectorIN6thrust23THRUST_200600_302600_NS5tupleIblNS6_9null_typeES8_S8_S8_S8_S8_S8_S8_EEEEZNS1_11reduce_implILb1ES3_NS6_12zip_iteratorINS7_INS6_11hip_rocprim26transform_input_iterator_tIbNSD_35transform_pair_of_input_iterators_tIbNS6_6detail15normal_iteratorINS6_10device_ptrIKfEEEESL_NS6_8equal_toIfEEEENSG_9not_fun_tINSD_8identityEEEEENSD_19counting_iterator_tIlEES8_S8_S8_S8_S8_S8_S8_S8_EEEEPS9_S9_NSD_9__find_if7functorIS9_EEEE10hipError_tPvRmT1_T2_T3_mT4_P12ihipStream_tbEUlT_E1_NS1_11comp_targetILNS1_3genE3ELNS1_11target_archE908ELNS1_3gpuE7ELNS1_3repE0EEENS1_30default_config_static_selectorELNS0_4arch9wavefront6targetE0EEEvS14_
		.amdhsa_group_segment_fixed_size 0
		.amdhsa_private_segment_fixed_size 0
		.amdhsa_kernarg_size 88
		.amdhsa_user_sgpr_count 15
		.amdhsa_user_sgpr_dispatch_ptr 0
		.amdhsa_user_sgpr_queue_ptr 0
		.amdhsa_user_sgpr_kernarg_segment_ptr 1
		.amdhsa_user_sgpr_dispatch_id 0
		.amdhsa_user_sgpr_private_segment_size 0
		.amdhsa_wavefront_size32 1
		.amdhsa_uses_dynamic_stack 0
		.amdhsa_enable_private_segment 0
		.amdhsa_system_sgpr_workgroup_id_x 1
		.amdhsa_system_sgpr_workgroup_id_y 0
		.amdhsa_system_sgpr_workgroup_id_z 0
		.amdhsa_system_sgpr_workgroup_info 0
		.amdhsa_system_vgpr_workitem_id 0
		.amdhsa_next_free_vgpr 1
		.amdhsa_next_free_sgpr 1
		.amdhsa_reserve_vcc 0
		.amdhsa_float_round_mode_32 0
		.amdhsa_float_round_mode_16_64 0
		.amdhsa_float_denorm_mode_32 3
		.amdhsa_float_denorm_mode_16_64 3
		.amdhsa_dx10_clamp 1
		.amdhsa_ieee_mode 1
		.amdhsa_fp16_overflow 0
		.amdhsa_workgroup_processor_mode 1
		.amdhsa_memory_ordered 1
		.amdhsa_forward_progress 0
		.amdhsa_shared_vgpr_count 0
		.amdhsa_exception_fp_ieee_invalid_op 0
		.amdhsa_exception_fp_denorm_src 0
		.amdhsa_exception_fp_ieee_div_zero 0
		.amdhsa_exception_fp_ieee_overflow 0
		.amdhsa_exception_fp_ieee_underflow 0
		.amdhsa_exception_fp_ieee_inexact 0
		.amdhsa_exception_int_div_zero 0
	.end_amdhsa_kernel
	.section	.text._ZN7rocprim17ROCPRIM_400000_NS6detail17trampoline_kernelINS0_14default_configENS1_22reduce_config_selectorIN6thrust23THRUST_200600_302600_NS5tupleIblNS6_9null_typeES8_S8_S8_S8_S8_S8_S8_EEEEZNS1_11reduce_implILb1ES3_NS6_12zip_iteratorINS7_INS6_11hip_rocprim26transform_input_iterator_tIbNSD_35transform_pair_of_input_iterators_tIbNS6_6detail15normal_iteratorINS6_10device_ptrIKfEEEESL_NS6_8equal_toIfEEEENSG_9not_fun_tINSD_8identityEEEEENSD_19counting_iterator_tIlEES8_S8_S8_S8_S8_S8_S8_S8_EEEEPS9_S9_NSD_9__find_if7functorIS9_EEEE10hipError_tPvRmT1_T2_T3_mT4_P12ihipStream_tbEUlT_E1_NS1_11comp_targetILNS1_3genE3ELNS1_11target_archE908ELNS1_3gpuE7ELNS1_3repE0EEENS1_30default_config_static_selectorELNS0_4arch9wavefront6targetE0EEEvS14_,"axG",@progbits,_ZN7rocprim17ROCPRIM_400000_NS6detail17trampoline_kernelINS0_14default_configENS1_22reduce_config_selectorIN6thrust23THRUST_200600_302600_NS5tupleIblNS6_9null_typeES8_S8_S8_S8_S8_S8_S8_EEEEZNS1_11reduce_implILb1ES3_NS6_12zip_iteratorINS7_INS6_11hip_rocprim26transform_input_iterator_tIbNSD_35transform_pair_of_input_iterators_tIbNS6_6detail15normal_iteratorINS6_10device_ptrIKfEEEESL_NS6_8equal_toIfEEEENSG_9not_fun_tINSD_8identityEEEEENSD_19counting_iterator_tIlEES8_S8_S8_S8_S8_S8_S8_S8_EEEEPS9_S9_NSD_9__find_if7functorIS9_EEEE10hipError_tPvRmT1_T2_T3_mT4_P12ihipStream_tbEUlT_E1_NS1_11comp_targetILNS1_3genE3ELNS1_11target_archE908ELNS1_3gpuE7ELNS1_3repE0EEENS1_30default_config_static_selectorELNS0_4arch9wavefront6targetE0EEEvS14_,comdat
.Lfunc_end459:
	.size	_ZN7rocprim17ROCPRIM_400000_NS6detail17trampoline_kernelINS0_14default_configENS1_22reduce_config_selectorIN6thrust23THRUST_200600_302600_NS5tupleIblNS6_9null_typeES8_S8_S8_S8_S8_S8_S8_EEEEZNS1_11reduce_implILb1ES3_NS6_12zip_iteratorINS7_INS6_11hip_rocprim26transform_input_iterator_tIbNSD_35transform_pair_of_input_iterators_tIbNS6_6detail15normal_iteratorINS6_10device_ptrIKfEEEESL_NS6_8equal_toIfEEEENSG_9not_fun_tINSD_8identityEEEEENSD_19counting_iterator_tIlEES8_S8_S8_S8_S8_S8_S8_S8_EEEEPS9_S9_NSD_9__find_if7functorIS9_EEEE10hipError_tPvRmT1_T2_T3_mT4_P12ihipStream_tbEUlT_E1_NS1_11comp_targetILNS1_3genE3ELNS1_11target_archE908ELNS1_3gpuE7ELNS1_3repE0EEENS1_30default_config_static_selectorELNS0_4arch9wavefront6targetE0EEEvS14_, .Lfunc_end459-_ZN7rocprim17ROCPRIM_400000_NS6detail17trampoline_kernelINS0_14default_configENS1_22reduce_config_selectorIN6thrust23THRUST_200600_302600_NS5tupleIblNS6_9null_typeES8_S8_S8_S8_S8_S8_S8_EEEEZNS1_11reduce_implILb1ES3_NS6_12zip_iteratorINS7_INS6_11hip_rocprim26transform_input_iterator_tIbNSD_35transform_pair_of_input_iterators_tIbNS6_6detail15normal_iteratorINS6_10device_ptrIKfEEEESL_NS6_8equal_toIfEEEENSG_9not_fun_tINSD_8identityEEEEENSD_19counting_iterator_tIlEES8_S8_S8_S8_S8_S8_S8_S8_EEEEPS9_S9_NSD_9__find_if7functorIS9_EEEE10hipError_tPvRmT1_T2_T3_mT4_P12ihipStream_tbEUlT_E1_NS1_11comp_targetILNS1_3genE3ELNS1_11target_archE908ELNS1_3gpuE7ELNS1_3repE0EEENS1_30default_config_static_selectorELNS0_4arch9wavefront6targetE0EEEvS14_
                                        ; -- End function
	.section	.AMDGPU.csdata,"",@progbits
; Kernel info:
; codeLenInByte = 0
; NumSgprs: 0
; NumVgprs: 0
; ScratchSize: 0
; MemoryBound: 0
; FloatMode: 240
; IeeeMode: 1
; LDSByteSize: 0 bytes/workgroup (compile time only)
; SGPRBlocks: 0
; VGPRBlocks: 0
; NumSGPRsForWavesPerEU: 1
; NumVGPRsForWavesPerEU: 1
; Occupancy: 16
; WaveLimiterHint : 0
; COMPUTE_PGM_RSRC2:SCRATCH_EN: 0
; COMPUTE_PGM_RSRC2:USER_SGPR: 15
; COMPUTE_PGM_RSRC2:TRAP_HANDLER: 0
; COMPUTE_PGM_RSRC2:TGID_X_EN: 1
; COMPUTE_PGM_RSRC2:TGID_Y_EN: 0
; COMPUTE_PGM_RSRC2:TGID_Z_EN: 0
; COMPUTE_PGM_RSRC2:TIDIG_COMP_CNT: 0
	.section	.text._ZN7rocprim17ROCPRIM_400000_NS6detail17trampoline_kernelINS0_14default_configENS1_22reduce_config_selectorIN6thrust23THRUST_200600_302600_NS5tupleIblNS6_9null_typeES8_S8_S8_S8_S8_S8_S8_EEEEZNS1_11reduce_implILb1ES3_NS6_12zip_iteratorINS7_INS6_11hip_rocprim26transform_input_iterator_tIbNSD_35transform_pair_of_input_iterators_tIbNS6_6detail15normal_iteratorINS6_10device_ptrIKfEEEESL_NS6_8equal_toIfEEEENSG_9not_fun_tINSD_8identityEEEEENSD_19counting_iterator_tIlEES8_S8_S8_S8_S8_S8_S8_S8_EEEEPS9_S9_NSD_9__find_if7functorIS9_EEEE10hipError_tPvRmT1_T2_T3_mT4_P12ihipStream_tbEUlT_E1_NS1_11comp_targetILNS1_3genE2ELNS1_11target_archE906ELNS1_3gpuE6ELNS1_3repE0EEENS1_30default_config_static_selectorELNS0_4arch9wavefront6targetE0EEEvS14_,"axG",@progbits,_ZN7rocprim17ROCPRIM_400000_NS6detail17trampoline_kernelINS0_14default_configENS1_22reduce_config_selectorIN6thrust23THRUST_200600_302600_NS5tupleIblNS6_9null_typeES8_S8_S8_S8_S8_S8_S8_EEEEZNS1_11reduce_implILb1ES3_NS6_12zip_iteratorINS7_INS6_11hip_rocprim26transform_input_iterator_tIbNSD_35transform_pair_of_input_iterators_tIbNS6_6detail15normal_iteratorINS6_10device_ptrIKfEEEESL_NS6_8equal_toIfEEEENSG_9not_fun_tINSD_8identityEEEEENSD_19counting_iterator_tIlEES8_S8_S8_S8_S8_S8_S8_S8_EEEEPS9_S9_NSD_9__find_if7functorIS9_EEEE10hipError_tPvRmT1_T2_T3_mT4_P12ihipStream_tbEUlT_E1_NS1_11comp_targetILNS1_3genE2ELNS1_11target_archE906ELNS1_3gpuE6ELNS1_3repE0EEENS1_30default_config_static_selectorELNS0_4arch9wavefront6targetE0EEEvS14_,comdat
	.protected	_ZN7rocprim17ROCPRIM_400000_NS6detail17trampoline_kernelINS0_14default_configENS1_22reduce_config_selectorIN6thrust23THRUST_200600_302600_NS5tupleIblNS6_9null_typeES8_S8_S8_S8_S8_S8_S8_EEEEZNS1_11reduce_implILb1ES3_NS6_12zip_iteratorINS7_INS6_11hip_rocprim26transform_input_iterator_tIbNSD_35transform_pair_of_input_iterators_tIbNS6_6detail15normal_iteratorINS6_10device_ptrIKfEEEESL_NS6_8equal_toIfEEEENSG_9not_fun_tINSD_8identityEEEEENSD_19counting_iterator_tIlEES8_S8_S8_S8_S8_S8_S8_S8_EEEEPS9_S9_NSD_9__find_if7functorIS9_EEEE10hipError_tPvRmT1_T2_T3_mT4_P12ihipStream_tbEUlT_E1_NS1_11comp_targetILNS1_3genE2ELNS1_11target_archE906ELNS1_3gpuE6ELNS1_3repE0EEENS1_30default_config_static_selectorELNS0_4arch9wavefront6targetE0EEEvS14_ ; -- Begin function _ZN7rocprim17ROCPRIM_400000_NS6detail17trampoline_kernelINS0_14default_configENS1_22reduce_config_selectorIN6thrust23THRUST_200600_302600_NS5tupleIblNS6_9null_typeES8_S8_S8_S8_S8_S8_S8_EEEEZNS1_11reduce_implILb1ES3_NS6_12zip_iteratorINS7_INS6_11hip_rocprim26transform_input_iterator_tIbNSD_35transform_pair_of_input_iterators_tIbNS6_6detail15normal_iteratorINS6_10device_ptrIKfEEEESL_NS6_8equal_toIfEEEENSG_9not_fun_tINSD_8identityEEEEENSD_19counting_iterator_tIlEES8_S8_S8_S8_S8_S8_S8_S8_EEEEPS9_S9_NSD_9__find_if7functorIS9_EEEE10hipError_tPvRmT1_T2_T3_mT4_P12ihipStream_tbEUlT_E1_NS1_11comp_targetILNS1_3genE2ELNS1_11target_archE906ELNS1_3gpuE6ELNS1_3repE0EEENS1_30default_config_static_selectorELNS0_4arch9wavefront6targetE0EEEvS14_
	.globl	_ZN7rocprim17ROCPRIM_400000_NS6detail17trampoline_kernelINS0_14default_configENS1_22reduce_config_selectorIN6thrust23THRUST_200600_302600_NS5tupleIblNS6_9null_typeES8_S8_S8_S8_S8_S8_S8_EEEEZNS1_11reduce_implILb1ES3_NS6_12zip_iteratorINS7_INS6_11hip_rocprim26transform_input_iterator_tIbNSD_35transform_pair_of_input_iterators_tIbNS6_6detail15normal_iteratorINS6_10device_ptrIKfEEEESL_NS6_8equal_toIfEEEENSG_9not_fun_tINSD_8identityEEEEENSD_19counting_iterator_tIlEES8_S8_S8_S8_S8_S8_S8_S8_EEEEPS9_S9_NSD_9__find_if7functorIS9_EEEE10hipError_tPvRmT1_T2_T3_mT4_P12ihipStream_tbEUlT_E1_NS1_11comp_targetILNS1_3genE2ELNS1_11target_archE906ELNS1_3gpuE6ELNS1_3repE0EEENS1_30default_config_static_selectorELNS0_4arch9wavefront6targetE0EEEvS14_
	.p2align	8
	.type	_ZN7rocprim17ROCPRIM_400000_NS6detail17trampoline_kernelINS0_14default_configENS1_22reduce_config_selectorIN6thrust23THRUST_200600_302600_NS5tupleIblNS6_9null_typeES8_S8_S8_S8_S8_S8_S8_EEEEZNS1_11reduce_implILb1ES3_NS6_12zip_iteratorINS7_INS6_11hip_rocprim26transform_input_iterator_tIbNSD_35transform_pair_of_input_iterators_tIbNS6_6detail15normal_iteratorINS6_10device_ptrIKfEEEESL_NS6_8equal_toIfEEEENSG_9not_fun_tINSD_8identityEEEEENSD_19counting_iterator_tIlEES8_S8_S8_S8_S8_S8_S8_S8_EEEEPS9_S9_NSD_9__find_if7functorIS9_EEEE10hipError_tPvRmT1_T2_T3_mT4_P12ihipStream_tbEUlT_E1_NS1_11comp_targetILNS1_3genE2ELNS1_11target_archE906ELNS1_3gpuE6ELNS1_3repE0EEENS1_30default_config_static_selectorELNS0_4arch9wavefront6targetE0EEEvS14_,@function
_ZN7rocprim17ROCPRIM_400000_NS6detail17trampoline_kernelINS0_14default_configENS1_22reduce_config_selectorIN6thrust23THRUST_200600_302600_NS5tupleIblNS6_9null_typeES8_S8_S8_S8_S8_S8_S8_EEEEZNS1_11reduce_implILb1ES3_NS6_12zip_iteratorINS7_INS6_11hip_rocprim26transform_input_iterator_tIbNSD_35transform_pair_of_input_iterators_tIbNS6_6detail15normal_iteratorINS6_10device_ptrIKfEEEESL_NS6_8equal_toIfEEEENSG_9not_fun_tINSD_8identityEEEEENSD_19counting_iterator_tIlEES8_S8_S8_S8_S8_S8_S8_S8_EEEEPS9_S9_NSD_9__find_if7functorIS9_EEEE10hipError_tPvRmT1_T2_T3_mT4_P12ihipStream_tbEUlT_E1_NS1_11comp_targetILNS1_3genE2ELNS1_11target_archE906ELNS1_3gpuE6ELNS1_3repE0EEENS1_30default_config_static_selectorELNS0_4arch9wavefront6targetE0EEEvS14_: ; @_ZN7rocprim17ROCPRIM_400000_NS6detail17trampoline_kernelINS0_14default_configENS1_22reduce_config_selectorIN6thrust23THRUST_200600_302600_NS5tupleIblNS6_9null_typeES8_S8_S8_S8_S8_S8_S8_EEEEZNS1_11reduce_implILb1ES3_NS6_12zip_iteratorINS7_INS6_11hip_rocprim26transform_input_iterator_tIbNSD_35transform_pair_of_input_iterators_tIbNS6_6detail15normal_iteratorINS6_10device_ptrIKfEEEESL_NS6_8equal_toIfEEEENSG_9not_fun_tINSD_8identityEEEEENSD_19counting_iterator_tIlEES8_S8_S8_S8_S8_S8_S8_S8_EEEEPS9_S9_NSD_9__find_if7functorIS9_EEEE10hipError_tPvRmT1_T2_T3_mT4_P12ihipStream_tbEUlT_E1_NS1_11comp_targetILNS1_3genE2ELNS1_11target_archE906ELNS1_3gpuE6ELNS1_3repE0EEENS1_30default_config_static_selectorELNS0_4arch9wavefront6targetE0EEEvS14_
; %bb.0:
	.section	.rodata,"a",@progbits
	.p2align	6, 0x0
	.amdhsa_kernel _ZN7rocprim17ROCPRIM_400000_NS6detail17trampoline_kernelINS0_14default_configENS1_22reduce_config_selectorIN6thrust23THRUST_200600_302600_NS5tupleIblNS6_9null_typeES8_S8_S8_S8_S8_S8_S8_EEEEZNS1_11reduce_implILb1ES3_NS6_12zip_iteratorINS7_INS6_11hip_rocprim26transform_input_iterator_tIbNSD_35transform_pair_of_input_iterators_tIbNS6_6detail15normal_iteratorINS6_10device_ptrIKfEEEESL_NS6_8equal_toIfEEEENSG_9not_fun_tINSD_8identityEEEEENSD_19counting_iterator_tIlEES8_S8_S8_S8_S8_S8_S8_S8_EEEEPS9_S9_NSD_9__find_if7functorIS9_EEEE10hipError_tPvRmT1_T2_T3_mT4_P12ihipStream_tbEUlT_E1_NS1_11comp_targetILNS1_3genE2ELNS1_11target_archE906ELNS1_3gpuE6ELNS1_3repE0EEENS1_30default_config_static_selectorELNS0_4arch9wavefront6targetE0EEEvS14_
		.amdhsa_group_segment_fixed_size 0
		.amdhsa_private_segment_fixed_size 0
		.amdhsa_kernarg_size 88
		.amdhsa_user_sgpr_count 15
		.amdhsa_user_sgpr_dispatch_ptr 0
		.amdhsa_user_sgpr_queue_ptr 0
		.amdhsa_user_sgpr_kernarg_segment_ptr 1
		.amdhsa_user_sgpr_dispatch_id 0
		.amdhsa_user_sgpr_private_segment_size 0
		.amdhsa_wavefront_size32 1
		.amdhsa_uses_dynamic_stack 0
		.amdhsa_enable_private_segment 0
		.amdhsa_system_sgpr_workgroup_id_x 1
		.amdhsa_system_sgpr_workgroup_id_y 0
		.amdhsa_system_sgpr_workgroup_id_z 0
		.amdhsa_system_sgpr_workgroup_info 0
		.amdhsa_system_vgpr_workitem_id 0
		.amdhsa_next_free_vgpr 1
		.amdhsa_next_free_sgpr 1
		.amdhsa_reserve_vcc 0
		.amdhsa_float_round_mode_32 0
		.amdhsa_float_round_mode_16_64 0
		.amdhsa_float_denorm_mode_32 3
		.amdhsa_float_denorm_mode_16_64 3
		.amdhsa_dx10_clamp 1
		.amdhsa_ieee_mode 1
		.amdhsa_fp16_overflow 0
		.amdhsa_workgroup_processor_mode 1
		.amdhsa_memory_ordered 1
		.amdhsa_forward_progress 0
		.amdhsa_shared_vgpr_count 0
		.amdhsa_exception_fp_ieee_invalid_op 0
		.amdhsa_exception_fp_denorm_src 0
		.amdhsa_exception_fp_ieee_div_zero 0
		.amdhsa_exception_fp_ieee_overflow 0
		.amdhsa_exception_fp_ieee_underflow 0
		.amdhsa_exception_fp_ieee_inexact 0
		.amdhsa_exception_int_div_zero 0
	.end_amdhsa_kernel
	.section	.text._ZN7rocprim17ROCPRIM_400000_NS6detail17trampoline_kernelINS0_14default_configENS1_22reduce_config_selectorIN6thrust23THRUST_200600_302600_NS5tupleIblNS6_9null_typeES8_S8_S8_S8_S8_S8_S8_EEEEZNS1_11reduce_implILb1ES3_NS6_12zip_iteratorINS7_INS6_11hip_rocprim26transform_input_iterator_tIbNSD_35transform_pair_of_input_iterators_tIbNS6_6detail15normal_iteratorINS6_10device_ptrIKfEEEESL_NS6_8equal_toIfEEEENSG_9not_fun_tINSD_8identityEEEEENSD_19counting_iterator_tIlEES8_S8_S8_S8_S8_S8_S8_S8_EEEEPS9_S9_NSD_9__find_if7functorIS9_EEEE10hipError_tPvRmT1_T2_T3_mT4_P12ihipStream_tbEUlT_E1_NS1_11comp_targetILNS1_3genE2ELNS1_11target_archE906ELNS1_3gpuE6ELNS1_3repE0EEENS1_30default_config_static_selectorELNS0_4arch9wavefront6targetE0EEEvS14_,"axG",@progbits,_ZN7rocprim17ROCPRIM_400000_NS6detail17trampoline_kernelINS0_14default_configENS1_22reduce_config_selectorIN6thrust23THRUST_200600_302600_NS5tupleIblNS6_9null_typeES8_S8_S8_S8_S8_S8_S8_EEEEZNS1_11reduce_implILb1ES3_NS6_12zip_iteratorINS7_INS6_11hip_rocprim26transform_input_iterator_tIbNSD_35transform_pair_of_input_iterators_tIbNS6_6detail15normal_iteratorINS6_10device_ptrIKfEEEESL_NS6_8equal_toIfEEEENSG_9not_fun_tINSD_8identityEEEEENSD_19counting_iterator_tIlEES8_S8_S8_S8_S8_S8_S8_S8_EEEEPS9_S9_NSD_9__find_if7functorIS9_EEEE10hipError_tPvRmT1_T2_T3_mT4_P12ihipStream_tbEUlT_E1_NS1_11comp_targetILNS1_3genE2ELNS1_11target_archE906ELNS1_3gpuE6ELNS1_3repE0EEENS1_30default_config_static_selectorELNS0_4arch9wavefront6targetE0EEEvS14_,comdat
.Lfunc_end460:
	.size	_ZN7rocprim17ROCPRIM_400000_NS6detail17trampoline_kernelINS0_14default_configENS1_22reduce_config_selectorIN6thrust23THRUST_200600_302600_NS5tupleIblNS6_9null_typeES8_S8_S8_S8_S8_S8_S8_EEEEZNS1_11reduce_implILb1ES3_NS6_12zip_iteratorINS7_INS6_11hip_rocprim26transform_input_iterator_tIbNSD_35transform_pair_of_input_iterators_tIbNS6_6detail15normal_iteratorINS6_10device_ptrIKfEEEESL_NS6_8equal_toIfEEEENSG_9not_fun_tINSD_8identityEEEEENSD_19counting_iterator_tIlEES8_S8_S8_S8_S8_S8_S8_S8_EEEEPS9_S9_NSD_9__find_if7functorIS9_EEEE10hipError_tPvRmT1_T2_T3_mT4_P12ihipStream_tbEUlT_E1_NS1_11comp_targetILNS1_3genE2ELNS1_11target_archE906ELNS1_3gpuE6ELNS1_3repE0EEENS1_30default_config_static_selectorELNS0_4arch9wavefront6targetE0EEEvS14_, .Lfunc_end460-_ZN7rocprim17ROCPRIM_400000_NS6detail17trampoline_kernelINS0_14default_configENS1_22reduce_config_selectorIN6thrust23THRUST_200600_302600_NS5tupleIblNS6_9null_typeES8_S8_S8_S8_S8_S8_S8_EEEEZNS1_11reduce_implILb1ES3_NS6_12zip_iteratorINS7_INS6_11hip_rocprim26transform_input_iterator_tIbNSD_35transform_pair_of_input_iterators_tIbNS6_6detail15normal_iteratorINS6_10device_ptrIKfEEEESL_NS6_8equal_toIfEEEENSG_9not_fun_tINSD_8identityEEEEENSD_19counting_iterator_tIlEES8_S8_S8_S8_S8_S8_S8_S8_EEEEPS9_S9_NSD_9__find_if7functorIS9_EEEE10hipError_tPvRmT1_T2_T3_mT4_P12ihipStream_tbEUlT_E1_NS1_11comp_targetILNS1_3genE2ELNS1_11target_archE906ELNS1_3gpuE6ELNS1_3repE0EEENS1_30default_config_static_selectorELNS0_4arch9wavefront6targetE0EEEvS14_
                                        ; -- End function
	.section	.AMDGPU.csdata,"",@progbits
; Kernel info:
; codeLenInByte = 0
; NumSgprs: 0
; NumVgprs: 0
; ScratchSize: 0
; MemoryBound: 0
; FloatMode: 240
; IeeeMode: 1
; LDSByteSize: 0 bytes/workgroup (compile time only)
; SGPRBlocks: 0
; VGPRBlocks: 0
; NumSGPRsForWavesPerEU: 1
; NumVGPRsForWavesPerEU: 1
; Occupancy: 16
; WaveLimiterHint : 0
; COMPUTE_PGM_RSRC2:SCRATCH_EN: 0
; COMPUTE_PGM_RSRC2:USER_SGPR: 15
; COMPUTE_PGM_RSRC2:TRAP_HANDLER: 0
; COMPUTE_PGM_RSRC2:TGID_X_EN: 1
; COMPUTE_PGM_RSRC2:TGID_Y_EN: 0
; COMPUTE_PGM_RSRC2:TGID_Z_EN: 0
; COMPUTE_PGM_RSRC2:TIDIG_COMP_CNT: 0
	.section	.text._ZN7rocprim17ROCPRIM_400000_NS6detail17trampoline_kernelINS0_14default_configENS1_22reduce_config_selectorIN6thrust23THRUST_200600_302600_NS5tupleIblNS6_9null_typeES8_S8_S8_S8_S8_S8_S8_EEEEZNS1_11reduce_implILb1ES3_NS6_12zip_iteratorINS7_INS6_11hip_rocprim26transform_input_iterator_tIbNSD_35transform_pair_of_input_iterators_tIbNS6_6detail15normal_iteratorINS6_10device_ptrIKfEEEESL_NS6_8equal_toIfEEEENSG_9not_fun_tINSD_8identityEEEEENSD_19counting_iterator_tIlEES8_S8_S8_S8_S8_S8_S8_S8_EEEEPS9_S9_NSD_9__find_if7functorIS9_EEEE10hipError_tPvRmT1_T2_T3_mT4_P12ihipStream_tbEUlT_E1_NS1_11comp_targetILNS1_3genE10ELNS1_11target_archE1201ELNS1_3gpuE5ELNS1_3repE0EEENS1_30default_config_static_selectorELNS0_4arch9wavefront6targetE0EEEvS14_,"axG",@progbits,_ZN7rocprim17ROCPRIM_400000_NS6detail17trampoline_kernelINS0_14default_configENS1_22reduce_config_selectorIN6thrust23THRUST_200600_302600_NS5tupleIblNS6_9null_typeES8_S8_S8_S8_S8_S8_S8_EEEEZNS1_11reduce_implILb1ES3_NS6_12zip_iteratorINS7_INS6_11hip_rocprim26transform_input_iterator_tIbNSD_35transform_pair_of_input_iterators_tIbNS6_6detail15normal_iteratorINS6_10device_ptrIKfEEEESL_NS6_8equal_toIfEEEENSG_9not_fun_tINSD_8identityEEEEENSD_19counting_iterator_tIlEES8_S8_S8_S8_S8_S8_S8_S8_EEEEPS9_S9_NSD_9__find_if7functorIS9_EEEE10hipError_tPvRmT1_T2_T3_mT4_P12ihipStream_tbEUlT_E1_NS1_11comp_targetILNS1_3genE10ELNS1_11target_archE1201ELNS1_3gpuE5ELNS1_3repE0EEENS1_30default_config_static_selectorELNS0_4arch9wavefront6targetE0EEEvS14_,comdat
	.protected	_ZN7rocprim17ROCPRIM_400000_NS6detail17trampoline_kernelINS0_14default_configENS1_22reduce_config_selectorIN6thrust23THRUST_200600_302600_NS5tupleIblNS6_9null_typeES8_S8_S8_S8_S8_S8_S8_EEEEZNS1_11reduce_implILb1ES3_NS6_12zip_iteratorINS7_INS6_11hip_rocprim26transform_input_iterator_tIbNSD_35transform_pair_of_input_iterators_tIbNS6_6detail15normal_iteratorINS6_10device_ptrIKfEEEESL_NS6_8equal_toIfEEEENSG_9not_fun_tINSD_8identityEEEEENSD_19counting_iterator_tIlEES8_S8_S8_S8_S8_S8_S8_S8_EEEEPS9_S9_NSD_9__find_if7functorIS9_EEEE10hipError_tPvRmT1_T2_T3_mT4_P12ihipStream_tbEUlT_E1_NS1_11comp_targetILNS1_3genE10ELNS1_11target_archE1201ELNS1_3gpuE5ELNS1_3repE0EEENS1_30default_config_static_selectorELNS0_4arch9wavefront6targetE0EEEvS14_ ; -- Begin function _ZN7rocprim17ROCPRIM_400000_NS6detail17trampoline_kernelINS0_14default_configENS1_22reduce_config_selectorIN6thrust23THRUST_200600_302600_NS5tupleIblNS6_9null_typeES8_S8_S8_S8_S8_S8_S8_EEEEZNS1_11reduce_implILb1ES3_NS6_12zip_iteratorINS7_INS6_11hip_rocprim26transform_input_iterator_tIbNSD_35transform_pair_of_input_iterators_tIbNS6_6detail15normal_iteratorINS6_10device_ptrIKfEEEESL_NS6_8equal_toIfEEEENSG_9not_fun_tINSD_8identityEEEEENSD_19counting_iterator_tIlEES8_S8_S8_S8_S8_S8_S8_S8_EEEEPS9_S9_NSD_9__find_if7functorIS9_EEEE10hipError_tPvRmT1_T2_T3_mT4_P12ihipStream_tbEUlT_E1_NS1_11comp_targetILNS1_3genE10ELNS1_11target_archE1201ELNS1_3gpuE5ELNS1_3repE0EEENS1_30default_config_static_selectorELNS0_4arch9wavefront6targetE0EEEvS14_
	.globl	_ZN7rocprim17ROCPRIM_400000_NS6detail17trampoline_kernelINS0_14default_configENS1_22reduce_config_selectorIN6thrust23THRUST_200600_302600_NS5tupleIblNS6_9null_typeES8_S8_S8_S8_S8_S8_S8_EEEEZNS1_11reduce_implILb1ES3_NS6_12zip_iteratorINS7_INS6_11hip_rocprim26transform_input_iterator_tIbNSD_35transform_pair_of_input_iterators_tIbNS6_6detail15normal_iteratorINS6_10device_ptrIKfEEEESL_NS6_8equal_toIfEEEENSG_9not_fun_tINSD_8identityEEEEENSD_19counting_iterator_tIlEES8_S8_S8_S8_S8_S8_S8_S8_EEEEPS9_S9_NSD_9__find_if7functorIS9_EEEE10hipError_tPvRmT1_T2_T3_mT4_P12ihipStream_tbEUlT_E1_NS1_11comp_targetILNS1_3genE10ELNS1_11target_archE1201ELNS1_3gpuE5ELNS1_3repE0EEENS1_30default_config_static_selectorELNS0_4arch9wavefront6targetE0EEEvS14_
	.p2align	8
	.type	_ZN7rocprim17ROCPRIM_400000_NS6detail17trampoline_kernelINS0_14default_configENS1_22reduce_config_selectorIN6thrust23THRUST_200600_302600_NS5tupleIblNS6_9null_typeES8_S8_S8_S8_S8_S8_S8_EEEEZNS1_11reduce_implILb1ES3_NS6_12zip_iteratorINS7_INS6_11hip_rocprim26transform_input_iterator_tIbNSD_35transform_pair_of_input_iterators_tIbNS6_6detail15normal_iteratorINS6_10device_ptrIKfEEEESL_NS6_8equal_toIfEEEENSG_9not_fun_tINSD_8identityEEEEENSD_19counting_iterator_tIlEES8_S8_S8_S8_S8_S8_S8_S8_EEEEPS9_S9_NSD_9__find_if7functorIS9_EEEE10hipError_tPvRmT1_T2_T3_mT4_P12ihipStream_tbEUlT_E1_NS1_11comp_targetILNS1_3genE10ELNS1_11target_archE1201ELNS1_3gpuE5ELNS1_3repE0EEENS1_30default_config_static_selectorELNS0_4arch9wavefront6targetE0EEEvS14_,@function
_ZN7rocprim17ROCPRIM_400000_NS6detail17trampoline_kernelINS0_14default_configENS1_22reduce_config_selectorIN6thrust23THRUST_200600_302600_NS5tupleIblNS6_9null_typeES8_S8_S8_S8_S8_S8_S8_EEEEZNS1_11reduce_implILb1ES3_NS6_12zip_iteratorINS7_INS6_11hip_rocprim26transform_input_iterator_tIbNSD_35transform_pair_of_input_iterators_tIbNS6_6detail15normal_iteratorINS6_10device_ptrIKfEEEESL_NS6_8equal_toIfEEEENSG_9not_fun_tINSD_8identityEEEEENSD_19counting_iterator_tIlEES8_S8_S8_S8_S8_S8_S8_S8_EEEEPS9_S9_NSD_9__find_if7functorIS9_EEEE10hipError_tPvRmT1_T2_T3_mT4_P12ihipStream_tbEUlT_E1_NS1_11comp_targetILNS1_3genE10ELNS1_11target_archE1201ELNS1_3gpuE5ELNS1_3repE0EEENS1_30default_config_static_selectorELNS0_4arch9wavefront6targetE0EEEvS14_: ; @_ZN7rocprim17ROCPRIM_400000_NS6detail17trampoline_kernelINS0_14default_configENS1_22reduce_config_selectorIN6thrust23THRUST_200600_302600_NS5tupleIblNS6_9null_typeES8_S8_S8_S8_S8_S8_S8_EEEEZNS1_11reduce_implILb1ES3_NS6_12zip_iteratorINS7_INS6_11hip_rocprim26transform_input_iterator_tIbNSD_35transform_pair_of_input_iterators_tIbNS6_6detail15normal_iteratorINS6_10device_ptrIKfEEEESL_NS6_8equal_toIfEEEENSG_9not_fun_tINSD_8identityEEEEENSD_19counting_iterator_tIlEES8_S8_S8_S8_S8_S8_S8_S8_EEEEPS9_S9_NSD_9__find_if7functorIS9_EEEE10hipError_tPvRmT1_T2_T3_mT4_P12ihipStream_tbEUlT_E1_NS1_11comp_targetILNS1_3genE10ELNS1_11target_archE1201ELNS1_3gpuE5ELNS1_3repE0EEENS1_30default_config_static_selectorELNS0_4arch9wavefront6targetE0EEEvS14_
; %bb.0:
	.section	.rodata,"a",@progbits
	.p2align	6, 0x0
	.amdhsa_kernel _ZN7rocprim17ROCPRIM_400000_NS6detail17trampoline_kernelINS0_14default_configENS1_22reduce_config_selectorIN6thrust23THRUST_200600_302600_NS5tupleIblNS6_9null_typeES8_S8_S8_S8_S8_S8_S8_EEEEZNS1_11reduce_implILb1ES3_NS6_12zip_iteratorINS7_INS6_11hip_rocprim26transform_input_iterator_tIbNSD_35transform_pair_of_input_iterators_tIbNS6_6detail15normal_iteratorINS6_10device_ptrIKfEEEESL_NS6_8equal_toIfEEEENSG_9not_fun_tINSD_8identityEEEEENSD_19counting_iterator_tIlEES8_S8_S8_S8_S8_S8_S8_S8_EEEEPS9_S9_NSD_9__find_if7functorIS9_EEEE10hipError_tPvRmT1_T2_T3_mT4_P12ihipStream_tbEUlT_E1_NS1_11comp_targetILNS1_3genE10ELNS1_11target_archE1201ELNS1_3gpuE5ELNS1_3repE0EEENS1_30default_config_static_selectorELNS0_4arch9wavefront6targetE0EEEvS14_
		.amdhsa_group_segment_fixed_size 0
		.amdhsa_private_segment_fixed_size 0
		.amdhsa_kernarg_size 88
		.amdhsa_user_sgpr_count 15
		.amdhsa_user_sgpr_dispatch_ptr 0
		.amdhsa_user_sgpr_queue_ptr 0
		.amdhsa_user_sgpr_kernarg_segment_ptr 1
		.amdhsa_user_sgpr_dispatch_id 0
		.amdhsa_user_sgpr_private_segment_size 0
		.amdhsa_wavefront_size32 1
		.amdhsa_uses_dynamic_stack 0
		.amdhsa_enable_private_segment 0
		.amdhsa_system_sgpr_workgroup_id_x 1
		.amdhsa_system_sgpr_workgroup_id_y 0
		.amdhsa_system_sgpr_workgroup_id_z 0
		.amdhsa_system_sgpr_workgroup_info 0
		.amdhsa_system_vgpr_workitem_id 0
		.amdhsa_next_free_vgpr 1
		.amdhsa_next_free_sgpr 1
		.amdhsa_reserve_vcc 0
		.amdhsa_float_round_mode_32 0
		.amdhsa_float_round_mode_16_64 0
		.amdhsa_float_denorm_mode_32 3
		.amdhsa_float_denorm_mode_16_64 3
		.amdhsa_dx10_clamp 1
		.amdhsa_ieee_mode 1
		.amdhsa_fp16_overflow 0
		.amdhsa_workgroup_processor_mode 1
		.amdhsa_memory_ordered 1
		.amdhsa_forward_progress 0
		.amdhsa_shared_vgpr_count 0
		.amdhsa_exception_fp_ieee_invalid_op 0
		.amdhsa_exception_fp_denorm_src 0
		.amdhsa_exception_fp_ieee_div_zero 0
		.amdhsa_exception_fp_ieee_overflow 0
		.amdhsa_exception_fp_ieee_underflow 0
		.amdhsa_exception_fp_ieee_inexact 0
		.amdhsa_exception_int_div_zero 0
	.end_amdhsa_kernel
	.section	.text._ZN7rocprim17ROCPRIM_400000_NS6detail17trampoline_kernelINS0_14default_configENS1_22reduce_config_selectorIN6thrust23THRUST_200600_302600_NS5tupleIblNS6_9null_typeES8_S8_S8_S8_S8_S8_S8_EEEEZNS1_11reduce_implILb1ES3_NS6_12zip_iteratorINS7_INS6_11hip_rocprim26transform_input_iterator_tIbNSD_35transform_pair_of_input_iterators_tIbNS6_6detail15normal_iteratorINS6_10device_ptrIKfEEEESL_NS6_8equal_toIfEEEENSG_9not_fun_tINSD_8identityEEEEENSD_19counting_iterator_tIlEES8_S8_S8_S8_S8_S8_S8_S8_EEEEPS9_S9_NSD_9__find_if7functorIS9_EEEE10hipError_tPvRmT1_T2_T3_mT4_P12ihipStream_tbEUlT_E1_NS1_11comp_targetILNS1_3genE10ELNS1_11target_archE1201ELNS1_3gpuE5ELNS1_3repE0EEENS1_30default_config_static_selectorELNS0_4arch9wavefront6targetE0EEEvS14_,"axG",@progbits,_ZN7rocprim17ROCPRIM_400000_NS6detail17trampoline_kernelINS0_14default_configENS1_22reduce_config_selectorIN6thrust23THRUST_200600_302600_NS5tupleIblNS6_9null_typeES8_S8_S8_S8_S8_S8_S8_EEEEZNS1_11reduce_implILb1ES3_NS6_12zip_iteratorINS7_INS6_11hip_rocprim26transform_input_iterator_tIbNSD_35transform_pair_of_input_iterators_tIbNS6_6detail15normal_iteratorINS6_10device_ptrIKfEEEESL_NS6_8equal_toIfEEEENSG_9not_fun_tINSD_8identityEEEEENSD_19counting_iterator_tIlEES8_S8_S8_S8_S8_S8_S8_S8_EEEEPS9_S9_NSD_9__find_if7functorIS9_EEEE10hipError_tPvRmT1_T2_T3_mT4_P12ihipStream_tbEUlT_E1_NS1_11comp_targetILNS1_3genE10ELNS1_11target_archE1201ELNS1_3gpuE5ELNS1_3repE0EEENS1_30default_config_static_selectorELNS0_4arch9wavefront6targetE0EEEvS14_,comdat
.Lfunc_end461:
	.size	_ZN7rocprim17ROCPRIM_400000_NS6detail17trampoline_kernelINS0_14default_configENS1_22reduce_config_selectorIN6thrust23THRUST_200600_302600_NS5tupleIblNS6_9null_typeES8_S8_S8_S8_S8_S8_S8_EEEEZNS1_11reduce_implILb1ES3_NS6_12zip_iteratorINS7_INS6_11hip_rocprim26transform_input_iterator_tIbNSD_35transform_pair_of_input_iterators_tIbNS6_6detail15normal_iteratorINS6_10device_ptrIKfEEEESL_NS6_8equal_toIfEEEENSG_9not_fun_tINSD_8identityEEEEENSD_19counting_iterator_tIlEES8_S8_S8_S8_S8_S8_S8_S8_EEEEPS9_S9_NSD_9__find_if7functorIS9_EEEE10hipError_tPvRmT1_T2_T3_mT4_P12ihipStream_tbEUlT_E1_NS1_11comp_targetILNS1_3genE10ELNS1_11target_archE1201ELNS1_3gpuE5ELNS1_3repE0EEENS1_30default_config_static_selectorELNS0_4arch9wavefront6targetE0EEEvS14_, .Lfunc_end461-_ZN7rocprim17ROCPRIM_400000_NS6detail17trampoline_kernelINS0_14default_configENS1_22reduce_config_selectorIN6thrust23THRUST_200600_302600_NS5tupleIblNS6_9null_typeES8_S8_S8_S8_S8_S8_S8_EEEEZNS1_11reduce_implILb1ES3_NS6_12zip_iteratorINS7_INS6_11hip_rocprim26transform_input_iterator_tIbNSD_35transform_pair_of_input_iterators_tIbNS6_6detail15normal_iteratorINS6_10device_ptrIKfEEEESL_NS6_8equal_toIfEEEENSG_9not_fun_tINSD_8identityEEEEENSD_19counting_iterator_tIlEES8_S8_S8_S8_S8_S8_S8_S8_EEEEPS9_S9_NSD_9__find_if7functorIS9_EEEE10hipError_tPvRmT1_T2_T3_mT4_P12ihipStream_tbEUlT_E1_NS1_11comp_targetILNS1_3genE10ELNS1_11target_archE1201ELNS1_3gpuE5ELNS1_3repE0EEENS1_30default_config_static_selectorELNS0_4arch9wavefront6targetE0EEEvS14_
                                        ; -- End function
	.section	.AMDGPU.csdata,"",@progbits
; Kernel info:
; codeLenInByte = 0
; NumSgprs: 0
; NumVgprs: 0
; ScratchSize: 0
; MemoryBound: 0
; FloatMode: 240
; IeeeMode: 1
; LDSByteSize: 0 bytes/workgroup (compile time only)
; SGPRBlocks: 0
; VGPRBlocks: 0
; NumSGPRsForWavesPerEU: 1
; NumVGPRsForWavesPerEU: 1
; Occupancy: 16
; WaveLimiterHint : 0
; COMPUTE_PGM_RSRC2:SCRATCH_EN: 0
; COMPUTE_PGM_RSRC2:USER_SGPR: 15
; COMPUTE_PGM_RSRC2:TRAP_HANDLER: 0
; COMPUTE_PGM_RSRC2:TGID_X_EN: 1
; COMPUTE_PGM_RSRC2:TGID_Y_EN: 0
; COMPUTE_PGM_RSRC2:TGID_Z_EN: 0
; COMPUTE_PGM_RSRC2:TIDIG_COMP_CNT: 0
	.section	.text._ZN7rocprim17ROCPRIM_400000_NS6detail17trampoline_kernelINS0_14default_configENS1_22reduce_config_selectorIN6thrust23THRUST_200600_302600_NS5tupleIblNS6_9null_typeES8_S8_S8_S8_S8_S8_S8_EEEEZNS1_11reduce_implILb1ES3_NS6_12zip_iteratorINS7_INS6_11hip_rocprim26transform_input_iterator_tIbNSD_35transform_pair_of_input_iterators_tIbNS6_6detail15normal_iteratorINS6_10device_ptrIKfEEEESL_NS6_8equal_toIfEEEENSG_9not_fun_tINSD_8identityEEEEENSD_19counting_iterator_tIlEES8_S8_S8_S8_S8_S8_S8_S8_EEEEPS9_S9_NSD_9__find_if7functorIS9_EEEE10hipError_tPvRmT1_T2_T3_mT4_P12ihipStream_tbEUlT_E1_NS1_11comp_targetILNS1_3genE10ELNS1_11target_archE1200ELNS1_3gpuE4ELNS1_3repE0EEENS1_30default_config_static_selectorELNS0_4arch9wavefront6targetE0EEEvS14_,"axG",@progbits,_ZN7rocprim17ROCPRIM_400000_NS6detail17trampoline_kernelINS0_14default_configENS1_22reduce_config_selectorIN6thrust23THRUST_200600_302600_NS5tupleIblNS6_9null_typeES8_S8_S8_S8_S8_S8_S8_EEEEZNS1_11reduce_implILb1ES3_NS6_12zip_iteratorINS7_INS6_11hip_rocprim26transform_input_iterator_tIbNSD_35transform_pair_of_input_iterators_tIbNS6_6detail15normal_iteratorINS6_10device_ptrIKfEEEESL_NS6_8equal_toIfEEEENSG_9not_fun_tINSD_8identityEEEEENSD_19counting_iterator_tIlEES8_S8_S8_S8_S8_S8_S8_S8_EEEEPS9_S9_NSD_9__find_if7functorIS9_EEEE10hipError_tPvRmT1_T2_T3_mT4_P12ihipStream_tbEUlT_E1_NS1_11comp_targetILNS1_3genE10ELNS1_11target_archE1200ELNS1_3gpuE4ELNS1_3repE0EEENS1_30default_config_static_selectorELNS0_4arch9wavefront6targetE0EEEvS14_,comdat
	.protected	_ZN7rocprim17ROCPRIM_400000_NS6detail17trampoline_kernelINS0_14default_configENS1_22reduce_config_selectorIN6thrust23THRUST_200600_302600_NS5tupleIblNS6_9null_typeES8_S8_S8_S8_S8_S8_S8_EEEEZNS1_11reduce_implILb1ES3_NS6_12zip_iteratorINS7_INS6_11hip_rocprim26transform_input_iterator_tIbNSD_35transform_pair_of_input_iterators_tIbNS6_6detail15normal_iteratorINS6_10device_ptrIKfEEEESL_NS6_8equal_toIfEEEENSG_9not_fun_tINSD_8identityEEEEENSD_19counting_iterator_tIlEES8_S8_S8_S8_S8_S8_S8_S8_EEEEPS9_S9_NSD_9__find_if7functorIS9_EEEE10hipError_tPvRmT1_T2_T3_mT4_P12ihipStream_tbEUlT_E1_NS1_11comp_targetILNS1_3genE10ELNS1_11target_archE1200ELNS1_3gpuE4ELNS1_3repE0EEENS1_30default_config_static_selectorELNS0_4arch9wavefront6targetE0EEEvS14_ ; -- Begin function _ZN7rocprim17ROCPRIM_400000_NS6detail17trampoline_kernelINS0_14default_configENS1_22reduce_config_selectorIN6thrust23THRUST_200600_302600_NS5tupleIblNS6_9null_typeES8_S8_S8_S8_S8_S8_S8_EEEEZNS1_11reduce_implILb1ES3_NS6_12zip_iteratorINS7_INS6_11hip_rocprim26transform_input_iterator_tIbNSD_35transform_pair_of_input_iterators_tIbNS6_6detail15normal_iteratorINS6_10device_ptrIKfEEEESL_NS6_8equal_toIfEEEENSG_9not_fun_tINSD_8identityEEEEENSD_19counting_iterator_tIlEES8_S8_S8_S8_S8_S8_S8_S8_EEEEPS9_S9_NSD_9__find_if7functorIS9_EEEE10hipError_tPvRmT1_T2_T3_mT4_P12ihipStream_tbEUlT_E1_NS1_11comp_targetILNS1_3genE10ELNS1_11target_archE1200ELNS1_3gpuE4ELNS1_3repE0EEENS1_30default_config_static_selectorELNS0_4arch9wavefront6targetE0EEEvS14_
	.globl	_ZN7rocprim17ROCPRIM_400000_NS6detail17trampoline_kernelINS0_14default_configENS1_22reduce_config_selectorIN6thrust23THRUST_200600_302600_NS5tupleIblNS6_9null_typeES8_S8_S8_S8_S8_S8_S8_EEEEZNS1_11reduce_implILb1ES3_NS6_12zip_iteratorINS7_INS6_11hip_rocprim26transform_input_iterator_tIbNSD_35transform_pair_of_input_iterators_tIbNS6_6detail15normal_iteratorINS6_10device_ptrIKfEEEESL_NS6_8equal_toIfEEEENSG_9not_fun_tINSD_8identityEEEEENSD_19counting_iterator_tIlEES8_S8_S8_S8_S8_S8_S8_S8_EEEEPS9_S9_NSD_9__find_if7functorIS9_EEEE10hipError_tPvRmT1_T2_T3_mT4_P12ihipStream_tbEUlT_E1_NS1_11comp_targetILNS1_3genE10ELNS1_11target_archE1200ELNS1_3gpuE4ELNS1_3repE0EEENS1_30default_config_static_selectorELNS0_4arch9wavefront6targetE0EEEvS14_
	.p2align	8
	.type	_ZN7rocprim17ROCPRIM_400000_NS6detail17trampoline_kernelINS0_14default_configENS1_22reduce_config_selectorIN6thrust23THRUST_200600_302600_NS5tupleIblNS6_9null_typeES8_S8_S8_S8_S8_S8_S8_EEEEZNS1_11reduce_implILb1ES3_NS6_12zip_iteratorINS7_INS6_11hip_rocprim26transform_input_iterator_tIbNSD_35transform_pair_of_input_iterators_tIbNS6_6detail15normal_iteratorINS6_10device_ptrIKfEEEESL_NS6_8equal_toIfEEEENSG_9not_fun_tINSD_8identityEEEEENSD_19counting_iterator_tIlEES8_S8_S8_S8_S8_S8_S8_S8_EEEEPS9_S9_NSD_9__find_if7functorIS9_EEEE10hipError_tPvRmT1_T2_T3_mT4_P12ihipStream_tbEUlT_E1_NS1_11comp_targetILNS1_3genE10ELNS1_11target_archE1200ELNS1_3gpuE4ELNS1_3repE0EEENS1_30default_config_static_selectorELNS0_4arch9wavefront6targetE0EEEvS14_,@function
_ZN7rocprim17ROCPRIM_400000_NS6detail17trampoline_kernelINS0_14default_configENS1_22reduce_config_selectorIN6thrust23THRUST_200600_302600_NS5tupleIblNS6_9null_typeES8_S8_S8_S8_S8_S8_S8_EEEEZNS1_11reduce_implILb1ES3_NS6_12zip_iteratorINS7_INS6_11hip_rocprim26transform_input_iterator_tIbNSD_35transform_pair_of_input_iterators_tIbNS6_6detail15normal_iteratorINS6_10device_ptrIKfEEEESL_NS6_8equal_toIfEEEENSG_9not_fun_tINSD_8identityEEEEENSD_19counting_iterator_tIlEES8_S8_S8_S8_S8_S8_S8_S8_EEEEPS9_S9_NSD_9__find_if7functorIS9_EEEE10hipError_tPvRmT1_T2_T3_mT4_P12ihipStream_tbEUlT_E1_NS1_11comp_targetILNS1_3genE10ELNS1_11target_archE1200ELNS1_3gpuE4ELNS1_3repE0EEENS1_30default_config_static_selectorELNS0_4arch9wavefront6targetE0EEEvS14_: ; @_ZN7rocprim17ROCPRIM_400000_NS6detail17trampoline_kernelINS0_14default_configENS1_22reduce_config_selectorIN6thrust23THRUST_200600_302600_NS5tupleIblNS6_9null_typeES8_S8_S8_S8_S8_S8_S8_EEEEZNS1_11reduce_implILb1ES3_NS6_12zip_iteratorINS7_INS6_11hip_rocprim26transform_input_iterator_tIbNSD_35transform_pair_of_input_iterators_tIbNS6_6detail15normal_iteratorINS6_10device_ptrIKfEEEESL_NS6_8equal_toIfEEEENSG_9not_fun_tINSD_8identityEEEEENSD_19counting_iterator_tIlEES8_S8_S8_S8_S8_S8_S8_S8_EEEEPS9_S9_NSD_9__find_if7functorIS9_EEEE10hipError_tPvRmT1_T2_T3_mT4_P12ihipStream_tbEUlT_E1_NS1_11comp_targetILNS1_3genE10ELNS1_11target_archE1200ELNS1_3gpuE4ELNS1_3repE0EEENS1_30default_config_static_selectorELNS0_4arch9wavefront6targetE0EEEvS14_
; %bb.0:
	.section	.rodata,"a",@progbits
	.p2align	6, 0x0
	.amdhsa_kernel _ZN7rocprim17ROCPRIM_400000_NS6detail17trampoline_kernelINS0_14default_configENS1_22reduce_config_selectorIN6thrust23THRUST_200600_302600_NS5tupleIblNS6_9null_typeES8_S8_S8_S8_S8_S8_S8_EEEEZNS1_11reduce_implILb1ES3_NS6_12zip_iteratorINS7_INS6_11hip_rocprim26transform_input_iterator_tIbNSD_35transform_pair_of_input_iterators_tIbNS6_6detail15normal_iteratorINS6_10device_ptrIKfEEEESL_NS6_8equal_toIfEEEENSG_9not_fun_tINSD_8identityEEEEENSD_19counting_iterator_tIlEES8_S8_S8_S8_S8_S8_S8_S8_EEEEPS9_S9_NSD_9__find_if7functorIS9_EEEE10hipError_tPvRmT1_T2_T3_mT4_P12ihipStream_tbEUlT_E1_NS1_11comp_targetILNS1_3genE10ELNS1_11target_archE1200ELNS1_3gpuE4ELNS1_3repE0EEENS1_30default_config_static_selectorELNS0_4arch9wavefront6targetE0EEEvS14_
		.amdhsa_group_segment_fixed_size 0
		.amdhsa_private_segment_fixed_size 0
		.amdhsa_kernarg_size 88
		.amdhsa_user_sgpr_count 15
		.amdhsa_user_sgpr_dispatch_ptr 0
		.amdhsa_user_sgpr_queue_ptr 0
		.amdhsa_user_sgpr_kernarg_segment_ptr 1
		.amdhsa_user_sgpr_dispatch_id 0
		.amdhsa_user_sgpr_private_segment_size 0
		.amdhsa_wavefront_size32 1
		.amdhsa_uses_dynamic_stack 0
		.amdhsa_enable_private_segment 0
		.amdhsa_system_sgpr_workgroup_id_x 1
		.amdhsa_system_sgpr_workgroup_id_y 0
		.amdhsa_system_sgpr_workgroup_id_z 0
		.amdhsa_system_sgpr_workgroup_info 0
		.amdhsa_system_vgpr_workitem_id 0
		.amdhsa_next_free_vgpr 1
		.amdhsa_next_free_sgpr 1
		.amdhsa_reserve_vcc 0
		.amdhsa_float_round_mode_32 0
		.amdhsa_float_round_mode_16_64 0
		.amdhsa_float_denorm_mode_32 3
		.amdhsa_float_denorm_mode_16_64 3
		.amdhsa_dx10_clamp 1
		.amdhsa_ieee_mode 1
		.amdhsa_fp16_overflow 0
		.amdhsa_workgroup_processor_mode 1
		.amdhsa_memory_ordered 1
		.amdhsa_forward_progress 0
		.amdhsa_shared_vgpr_count 0
		.amdhsa_exception_fp_ieee_invalid_op 0
		.amdhsa_exception_fp_denorm_src 0
		.amdhsa_exception_fp_ieee_div_zero 0
		.amdhsa_exception_fp_ieee_overflow 0
		.amdhsa_exception_fp_ieee_underflow 0
		.amdhsa_exception_fp_ieee_inexact 0
		.amdhsa_exception_int_div_zero 0
	.end_amdhsa_kernel
	.section	.text._ZN7rocprim17ROCPRIM_400000_NS6detail17trampoline_kernelINS0_14default_configENS1_22reduce_config_selectorIN6thrust23THRUST_200600_302600_NS5tupleIblNS6_9null_typeES8_S8_S8_S8_S8_S8_S8_EEEEZNS1_11reduce_implILb1ES3_NS6_12zip_iteratorINS7_INS6_11hip_rocprim26transform_input_iterator_tIbNSD_35transform_pair_of_input_iterators_tIbNS6_6detail15normal_iteratorINS6_10device_ptrIKfEEEESL_NS6_8equal_toIfEEEENSG_9not_fun_tINSD_8identityEEEEENSD_19counting_iterator_tIlEES8_S8_S8_S8_S8_S8_S8_S8_EEEEPS9_S9_NSD_9__find_if7functorIS9_EEEE10hipError_tPvRmT1_T2_T3_mT4_P12ihipStream_tbEUlT_E1_NS1_11comp_targetILNS1_3genE10ELNS1_11target_archE1200ELNS1_3gpuE4ELNS1_3repE0EEENS1_30default_config_static_selectorELNS0_4arch9wavefront6targetE0EEEvS14_,"axG",@progbits,_ZN7rocprim17ROCPRIM_400000_NS6detail17trampoline_kernelINS0_14default_configENS1_22reduce_config_selectorIN6thrust23THRUST_200600_302600_NS5tupleIblNS6_9null_typeES8_S8_S8_S8_S8_S8_S8_EEEEZNS1_11reduce_implILb1ES3_NS6_12zip_iteratorINS7_INS6_11hip_rocprim26transform_input_iterator_tIbNSD_35transform_pair_of_input_iterators_tIbNS6_6detail15normal_iteratorINS6_10device_ptrIKfEEEESL_NS6_8equal_toIfEEEENSG_9not_fun_tINSD_8identityEEEEENSD_19counting_iterator_tIlEES8_S8_S8_S8_S8_S8_S8_S8_EEEEPS9_S9_NSD_9__find_if7functorIS9_EEEE10hipError_tPvRmT1_T2_T3_mT4_P12ihipStream_tbEUlT_E1_NS1_11comp_targetILNS1_3genE10ELNS1_11target_archE1200ELNS1_3gpuE4ELNS1_3repE0EEENS1_30default_config_static_selectorELNS0_4arch9wavefront6targetE0EEEvS14_,comdat
.Lfunc_end462:
	.size	_ZN7rocprim17ROCPRIM_400000_NS6detail17trampoline_kernelINS0_14default_configENS1_22reduce_config_selectorIN6thrust23THRUST_200600_302600_NS5tupleIblNS6_9null_typeES8_S8_S8_S8_S8_S8_S8_EEEEZNS1_11reduce_implILb1ES3_NS6_12zip_iteratorINS7_INS6_11hip_rocprim26transform_input_iterator_tIbNSD_35transform_pair_of_input_iterators_tIbNS6_6detail15normal_iteratorINS6_10device_ptrIKfEEEESL_NS6_8equal_toIfEEEENSG_9not_fun_tINSD_8identityEEEEENSD_19counting_iterator_tIlEES8_S8_S8_S8_S8_S8_S8_S8_EEEEPS9_S9_NSD_9__find_if7functorIS9_EEEE10hipError_tPvRmT1_T2_T3_mT4_P12ihipStream_tbEUlT_E1_NS1_11comp_targetILNS1_3genE10ELNS1_11target_archE1200ELNS1_3gpuE4ELNS1_3repE0EEENS1_30default_config_static_selectorELNS0_4arch9wavefront6targetE0EEEvS14_, .Lfunc_end462-_ZN7rocprim17ROCPRIM_400000_NS6detail17trampoline_kernelINS0_14default_configENS1_22reduce_config_selectorIN6thrust23THRUST_200600_302600_NS5tupleIblNS6_9null_typeES8_S8_S8_S8_S8_S8_S8_EEEEZNS1_11reduce_implILb1ES3_NS6_12zip_iteratorINS7_INS6_11hip_rocprim26transform_input_iterator_tIbNSD_35transform_pair_of_input_iterators_tIbNS6_6detail15normal_iteratorINS6_10device_ptrIKfEEEESL_NS6_8equal_toIfEEEENSG_9not_fun_tINSD_8identityEEEEENSD_19counting_iterator_tIlEES8_S8_S8_S8_S8_S8_S8_S8_EEEEPS9_S9_NSD_9__find_if7functorIS9_EEEE10hipError_tPvRmT1_T2_T3_mT4_P12ihipStream_tbEUlT_E1_NS1_11comp_targetILNS1_3genE10ELNS1_11target_archE1200ELNS1_3gpuE4ELNS1_3repE0EEENS1_30default_config_static_selectorELNS0_4arch9wavefront6targetE0EEEvS14_
                                        ; -- End function
	.section	.AMDGPU.csdata,"",@progbits
; Kernel info:
; codeLenInByte = 0
; NumSgprs: 0
; NumVgprs: 0
; ScratchSize: 0
; MemoryBound: 0
; FloatMode: 240
; IeeeMode: 1
; LDSByteSize: 0 bytes/workgroup (compile time only)
; SGPRBlocks: 0
; VGPRBlocks: 0
; NumSGPRsForWavesPerEU: 1
; NumVGPRsForWavesPerEU: 1
; Occupancy: 16
; WaveLimiterHint : 0
; COMPUTE_PGM_RSRC2:SCRATCH_EN: 0
; COMPUTE_PGM_RSRC2:USER_SGPR: 15
; COMPUTE_PGM_RSRC2:TRAP_HANDLER: 0
; COMPUTE_PGM_RSRC2:TGID_X_EN: 1
; COMPUTE_PGM_RSRC2:TGID_Y_EN: 0
; COMPUTE_PGM_RSRC2:TGID_Z_EN: 0
; COMPUTE_PGM_RSRC2:TIDIG_COMP_CNT: 0
	.section	.text._ZN7rocprim17ROCPRIM_400000_NS6detail17trampoline_kernelINS0_14default_configENS1_22reduce_config_selectorIN6thrust23THRUST_200600_302600_NS5tupleIblNS6_9null_typeES8_S8_S8_S8_S8_S8_S8_EEEEZNS1_11reduce_implILb1ES3_NS6_12zip_iteratorINS7_INS6_11hip_rocprim26transform_input_iterator_tIbNSD_35transform_pair_of_input_iterators_tIbNS6_6detail15normal_iteratorINS6_10device_ptrIKfEEEESL_NS6_8equal_toIfEEEENSG_9not_fun_tINSD_8identityEEEEENSD_19counting_iterator_tIlEES8_S8_S8_S8_S8_S8_S8_S8_EEEEPS9_S9_NSD_9__find_if7functorIS9_EEEE10hipError_tPvRmT1_T2_T3_mT4_P12ihipStream_tbEUlT_E1_NS1_11comp_targetILNS1_3genE9ELNS1_11target_archE1100ELNS1_3gpuE3ELNS1_3repE0EEENS1_30default_config_static_selectorELNS0_4arch9wavefront6targetE0EEEvS14_,"axG",@progbits,_ZN7rocprim17ROCPRIM_400000_NS6detail17trampoline_kernelINS0_14default_configENS1_22reduce_config_selectorIN6thrust23THRUST_200600_302600_NS5tupleIblNS6_9null_typeES8_S8_S8_S8_S8_S8_S8_EEEEZNS1_11reduce_implILb1ES3_NS6_12zip_iteratorINS7_INS6_11hip_rocprim26transform_input_iterator_tIbNSD_35transform_pair_of_input_iterators_tIbNS6_6detail15normal_iteratorINS6_10device_ptrIKfEEEESL_NS6_8equal_toIfEEEENSG_9not_fun_tINSD_8identityEEEEENSD_19counting_iterator_tIlEES8_S8_S8_S8_S8_S8_S8_S8_EEEEPS9_S9_NSD_9__find_if7functorIS9_EEEE10hipError_tPvRmT1_T2_T3_mT4_P12ihipStream_tbEUlT_E1_NS1_11comp_targetILNS1_3genE9ELNS1_11target_archE1100ELNS1_3gpuE3ELNS1_3repE0EEENS1_30default_config_static_selectorELNS0_4arch9wavefront6targetE0EEEvS14_,comdat
	.protected	_ZN7rocprim17ROCPRIM_400000_NS6detail17trampoline_kernelINS0_14default_configENS1_22reduce_config_selectorIN6thrust23THRUST_200600_302600_NS5tupleIblNS6_9null_typeES8_S8_S8_S8_S8_S8_S8_EEEEZNS1_11reduce_implILb1ES3_NS6_12zip_iteratorINS7_INS6_11hip_rocprim26transform_input_iterator_tIbNSD_35transform_pair_of_input_iterators_tIbNS6_6detail15normal_iteratorINS6_10device_ptrIKfEEEESL_NS6_8equal_toIfEEEENSG_9not_fun_tINSD_8identityEEEEENSD_19counting_iterator_tIlEES8_S8_S8_S8_S8_S8_S8_S8_EEEEPS9_S9_NSD_9__find_if7functorIS9_EEEE10hipError_tPvRmT1_T2_T3_mT4_P12ihipStream_tbEUlT_E1_NS1_11comp_targetILNS1_3genE9ELNS1_11target_archE1100ELNS1_3gpuE3ELNS1_3repE0EEENS1_30default_config_static_selectorELNS0_4arch9wavefront6targetE0EEEvS14_ ; -- Begin function _ZN7rocprim17ROCPRIM_400000_NS6detail17trampoline_kernelINS0_14default_configENS1_22reduce_config_selectorIN6thrust23THRUST_200600_302600_NS5tupleIblNS6_9null_typeES8_S8_S8_S8_S8_S8_S8_EEEEZNS1_11reduce_implILb1ES3_NS6_12zip_iteratorINS7_INS6_11hip_rocprim26transform_input_iterator_tIbNSD_35transform_pair_of_input_iterators_tIbNS6_6detail15normal_iteratorINS6_10device_ptrIKfEEEESL_NS6_8equal_toIfEEEENSG_9not_fun_tINSD_8identityEEEEENSD_19counting_iterator_tIlEES8_S8_S8_S8_S8_S8_S8_S8_EEEEPS9_S9_NSD_9__find_if7functorIS9_EEEE10hipError_tPvRmT1_T2_T3_mT4_P12ihipStream_tbEUlT_E1_NS1_11comp_targetILNS1_3genE9ELNS1_11target_archE1100ELNS1_3gpuE3ELNS1_3repE0EEENS1_30default_config_static_selectorELNS0_4arch9wavefront6targetE0EEEvS14_
	.globl	_ZN7rocprim17ROCPRIM_400000_NS6detail17trampoline_kernelINS0_14default_configENS1_22reduce_config_selectorIN6thrust23THRUST_200600_302600_NS5tupleIblNS6_9null_typeES8_S8_S8_S8_S8_S8_S8_EEEEZNS1_11reduce_implILb1ES3_NS6_12zip_iteratorINS7_INS6_11hip_rocprim26transform_input_iterator_tIbNSD_35transform_pair_of_input_iterators_tIbNS6_6detail15normal_iteratorINS6_10device_ptrIKfEEEESL_NS6_8equal_toIfEEEENSG_9not_fun_tINSD_8identityEEEEENSD_19counting_iterator_tIlEES8_S8_S8_S8_S8_S8_S8_S8_EEEEPS9_S9_NSD_9__find_if7functorIS9_EEEE10hipError_tPvRmT1_T2_T3_mT4_P12ihipStream_tbEUlT_E1_NS1_11comp_targetILNS1_3genE9ELNS1_11target_archE1100ELNS1_3gpuE3ELNS1_3repE0EEENS1_30default_config_static_selectorELNS0_4arch9wavefront6targetE0EEEvS14_
	.p2align	8
	.type	_ZN7rocprim17ROCPRIM_400000_NS6detail17trampoline_kernelINS0_14default_configENS1_22reduce_config_selectorIN6thrust23THRUST_200600_302600_NS5tupleIblNS6_9null_typeES8_S8_S8_S8_S8_S8_S8_EEEEZNS1_11reduce_implILb1ES3_NS6_12zip_iteratorINS7_INS6_11hip_rocprim26transform_input_iterator_tIbNSD_35transform_pair_of_input_iterators_tIbNS6_6detail15normal_iteratorINS6_10device_ptrIKfEEEESL_NS6_8equal_toIfEEEENSG_9not_fun_tINSD_8identityEEEEENSD_19counting_iterator_tIlEES8_S8_S8_S8_S8_S8_S8_S8_EEEEPS9_S9_NSD_9__find_if7functorIS9_EEEE10hipError_tPvRmT1_T2_T3_mT4_P12ihipStream_tbEUlT_E1_NS1_11comp_targetILNS1_3genE9ELNS1_11target_archE1100ELNS1_3gpuE3ELNS1_3repE0EEENS1_30default_config_static_selectorELNS0_4arch9wavefront6targetE0EEEvS14_,@function
_ZN7rocprim17ROCPRIM_400000_NS6detail17trampoline_kernelINS0_14default_configENS1_22reduce_config_selectorIN6thrust23THRUST_200600_302600_NS5tupleIblNS6_9null_typeES8_S8_S8_S8_S8_S8_S8_EEEEZNS1_11reduce_implILb1ES3_NS6_12zip_iteratorINS7_INS6_11hip_rocprim26transform_input_iterator_tIbNSD_35transform_pair_of_input_iterators_tIbNS6_6detail15normal_iteratorINS6_10device_ptrIKfEEEESL_NS6_8equal_toIfEEEENSG_9not_fun_tINSD_8identityEEEEENSD_19counting_iterator_tIlEES8_S8_S8_S8_S8_S8_S8_S8_EEEEPS9_S9_NSD_9__find_if7functorIS9_EEEE10hipError_tPvRmT1_T2_T3_mT4_P12ihipStream_tbEUlT_E1_NS1_11comp_targetILNS1_3genE9ELNS1_11target_archE1100ELNS1_3gpuE3ELNS1_3repE0EEENS1_30default_config_static_selectorELNS0_4arch9wavefront6targetE0EEEvS14_: ; @_ZN7rocprim17ROCPRIM_400000_NS6detail17trampoline_kernelINS0_14default_configENS1_22reduce_config_selectorIN6thrust23THRUST_200600_302600_NS5tupleIblNS6_9null_typeES8_S8_S8_S8_S8_S8_S8_EEEEZNS1_11reduce_implILb1ES3_NS6_12zip_iteratorINS7_INS6_11hip_rocprim26transform_input_iterator_tIbNSD_35transform_pair_of_input_iterators_tIbNS6_6detail15normal_iteratorINS6_10device_ptrIKfEEEESL_NS6_8equal_toIfEEEENSG_9not_fun_tINSD_8identityEEEEENSD_19counting_iterator_tIlEES8_S8_S8_S8_S8_S8_S8_S8_EEEEPS9_S9_NSD_9__find_if7functorIS9_EEEE10hipError_tPvRmT1_T2_T3_mT4_P12ihipStream_tbEUlT_E1_NS1_11comp_targetILNS1_3genE9ELNS1_11target_archE1100ELNS1_3gpuE3ELNS1_3repE0EEENS1_30default_config_static_selectorELNS0_4arch9wavefront6targetE0EEEvS14_
; %bb.0:
	s_mov_b32 s10, s15
	s_clause 0x4
	s_load_b32 s25, s[0:1], 0x4
	s_load_b128 s[16:19], s[0:1], 0x8
	s_load_b128 s[12:15], s[0:1], 0x28
	s_load_b32 s24, s[0:1], 0x40
	s_load_b64 s[20:21], s[0:1], 0x48
	s_waitcnt lgkmcnt(0)
	s_cmp_lt_i32 s25, 4
	s_cbranch_scc1 .LBB463_19
; %bb.1:
	s_cmp_gt_i32 s25, 7
	s_cbranch_scc0 .LBB463_20
; %bb.2:
	s_cmp_eq_u32 s25, 8
	s_mov_b32 s27, 0
	s_cbranch_scc0 .LBB463_21
; %bb.3:
	s_mov_b32 s11, 0
	s_lshl_b32 s6, s10, 11
	s_mov_b32 s7, s11
	s_lshr_b64 s[4:5], s[14:15], 11
	s_lshl_b64 s[2:3], s[6:7], 2
	s_delay_alu instid0(SALU_CYCLE_1)
	s_add_u32 s8, s16, s2
	s_addc_u32 s9, s17, s3
	s_add_u32 s22, s18, s2
	s_addc_u32 s23, s19, s3
	;; [unrolled: 2-line block ×3, first 2 shown]
	s_cmp_lg_u64 s[4:5], s[10:11]
	s_cbranch_scc0 .LBB463_40
; %bb.4:
	v_lshlrev_b32_e32 v1, 2, v0
	s_clause 0x7
	global_load_b32 v6, v1, s[8:9]
	global_load_b32 v7, v1, s[8:9] offset:1024
	global_load_b32 v8, v1, s[8:9] offset:2048
	;; [unrolled: 1-line block ×5, first 2 shown]
	global_load_b32 v12, v1, s[22:23]
	global_load_b32 v13, v1, s[8:9] offset:3072
	v_add_co_u32 v3, s2, s8, v1
	s_delay_alu instid0(VALU_DEP_1) | instskip(SKIP_1) | instid1(VALU_DEP_1)
	v_add_co_ci_u32_e64 v4, null, s9, 0, s2
	v_add_co_u32 v2, s2, s22, v1
	v_add_co_ci_u32_e64 v5, null, s23, 0, s2
	s_delay_alu instid0(VALU_DEP_2) | instskip(NEXT) | instid1(VALU_DEP_2)
	v_add_co_u32 v1, vcc_lo, 0x1000, v2
	v_add_co_ci_u32_e32 v2, vcc_lo, 0, v5, vcc_lo
	v_add_co_u32 v3, vcc_lo, 0x1000, v3
	v_add_co_ci_u32_e32 v4, vcc_lo, 0, v4, vcc_lo
	global_load_b32 v5, v[1:2], off
	s_clause 0x1
	global_load_b32 v14, v[3:4], off
	global_load_b32 v15, v[3:4], off offset:1024
	s_clause 0x1
	global_load_b32 v16, v[1:2], off offset:1024
	global_load_b32 v17, v[1:2], off offset:2048
	s_clause 0x1
	global_load_b32 v18, v[3:4], off offset:2048
	global_load_b32 v3, v[3:4], off offset:3072
	;; [unrolled: 1-line block ×3, first 2 shown]
	v_mov_b32_e32 v2, 0x100
	v_mov_b32_e32 v4, 0x300
	s_waitcnt vmcnt(12)
	v_cmp_neq_f32_e32 vcc_lo, v7, v9
	s_waitcnt vmcnt(11)
	v_cmp_neq_f32_e64 s3, v8, v10
	s_waitcnt vmcnt(9)
	v_cmp_neq_f32_e64 s2, v6, v12
	;; [unrolled: 2-line block ×3, first 2 shown]
	v_cndmask_b32_e32 v2, 0x200, v2, vcc_lo
	v_mov_b32_e32 v6, 0x500
	s_delay_alu instid0(VALU_DEP_3) | instskip(NEXT) | instid1(VALU_DEP_3)
	v_cndmask_b32_e64 v4, 0x400, v4, s4
	v_cndmask_b32_e64 v2, v2, 0, s2
	s_or_b32 s2, s2, vcc_lo
	s_delay_alu instid0(SALU_CYCLE_1) | instskip(NEXT) | instid1(SALU_CYCLE_1)
	s_or_b32 s2, s2, s3
	s_or_b32 s4, s2, s4
	s_delay_alu instid0(VALU_DEP_1)
	v_cndmask_b32_e64 v2, v4, v2, s2
	s_waitcnt vmcnt(6)
	v_cmp_neq_f32_e32 vcc_lo, v14, v5
	s_waitcnt vmcnt(4)
	v_cmp_neq_f32_e64 s3, v15, v16
	s_waitcnt vmcnt(2)
	v_cmp_neq_f32_e64 s2, v18, v17
	s_or_b32 vcc_lo, s4, vcc_lo
	s_waitcnt vmcnt(0)
	v_cmp_neq_f32_e64 s4, v3, v1
	v_cndmask_b32_e64 v4, 0x600, v6, s3
	s_or_b32 s3, vcc_lo, s3
	s_delay_alu instid0(VALU_DEP_1) | instskip(SKIP_1) | instid1(SALU_CYCLE_1)
	v_cndmask_b32_e32 v2, v4, v2, vcc_lo
	s_or_b32 vcc_lo, s3, s2
	s_or_b32 s3, vcc_lo, s4
	s_mov_b32 s4, exec_lo
	s_delay_alu instid0(VALU_DEP_1) | instskip(SKIP_3) | instid1(VALU_DEP_3)
	v_cndmask_b32_e32 v1, 0x700, v2, vcc_lo
	v_add_co_u32 v2, s2, s26, v0
	v_cndmask_b32_e64 v5, 0, 1, s3
	v_add_co_ci_u32_e64 v3, null, s28, 0, s2
	v_add_co_u32 v1, vcc_lo, v2, v1
	s_delay_alu instid0(VALU_DEP_3) | instskip(NEXT) | instid1(VALU_DEP_3)
	v_mov_b32_dpp v6, v5 quad_perm:[1,0,3,2] row_mask:0xf bank_mask:0xf
	v_add_co_ci_u32_e32 v2, vcc_lo, 0, v3, vcc_lo
	s_delay_alu instid0(VALU_DEP_3) | instskip(NEXT) | instid1(VALU_DEP_3)
	v_mov_b32_dpp v3, v1 quad_perm:[1,0,3,2] row_mask:0xf bank_mask:0xf
	v_and_b32_e32 v7, 1, v6
	s_delay_alu instid0(VALU_DEP_3) | instskip(NEXT) | instid1(VALU_DEP_2)
	v_mov_b32_dpp v4, v2 quad_perm:[1,0,3,2] row_mask:0xf bank_mask:0xf
	v_cmpx_eq_u32_e32 1, v7
; %bb.5:
	v_cndmask_b32_e64 v5, v6, 1, s3
	s_delay_alu instid0(VALU_DEP_3) | instskip(NEXT) | instid1(VALU_DEP_2)
	v_cmp_lt_i64_e32 vcc_lo, v[1:2], v[3:4]
	v_and_b32_e32 v6, 1, v5
	v_and_b32_e32 v5, 0xff, v5
	s_and_b32 vcc_lo, s3, vcc_lo
	s_and_not1_b32 s3, s3, exec_lo
	v_dual_cndmask_b32 v2, v4, v2 :: v_dual_cndmask_b32 v1, v3, v1
	v_cmp_eq_u32_e64 s2, 1, v6
	s_delay_alu instid0(VALU_DEP_1) | instskip(NEXT) | instid1(SALU_CYCLE_1)
	s_and_b32 s2, s2, exec_lo
	s_or_b32 s3, s3, s2
; %bb.6:
	s_or_b32 exec_lo, exec_lo, s4
	v_mov_b32_dpp v6, v5 quad_perm:[2,3,0,1] row_mask:0xf bank_mask:0xf
	v_mov_b32_dpp v3, v1 quad_perm:[2,3,0,1] row_mask:0xf bank_mask:0xf
	;; [unrolled: 1-line block ×3, first 2 shown]
	s_mov_b32 s4, exec_lo
	s_delay_alu instid0(VALU_DEP_3) | instskip(NEXT) | instid1(VALU_DEP_1)
	v_and_b32_e32 v7, 1, v6
	v_cmpx_eq_u32_e32 1, v7
; %bb.7:
	v_cndmask_b32_e64 v5, v6, 1, s3
	v_cmp_lt_i64_e32 vcc_lo, v[1:2], v[3:4]
	s_delay_alu instid0(VALU_DEP_2)
	v_and_b32_e32 v6, 1, v5
	v_and_b32_e32 v5, 0xff, v5
	s_and_b32 vcc_lo, s3, vcc_lo
	s_and_not1_b32 s3, s3, exec_lo
	v_dual_cndmask_b32 v2, v4, v2 :: v_dual_cndmask_b32 v1, v3, v1
	v_cmp_eq_u32_e64 s2, 1, v6
	s_delay_alu instid0(VALU_DEP_1) | instskip(NEXT) | instid1(SALU_CYCLE_1)
	s_and_b32 s2, s2, exec_lo
	s_or_b32 s3, s3, s2
; %bb.8:
	s_or_b32 exec_lo, exec_lo, s4
	v_mov_b32_dpp v6, v5 row_ror:4 row_mask:0xf bank_mask:0xf
	v_mov_b32_dpp v3, v1 row_ror:4 row_mask:0xf bank_mask:0xf
	;; [unrolled: 1-line block ×3, first 2 shown]
	s_mov_b32 s4, exec_lo
	s_delay_alu instid0(VALU_DEP_3) | instskip(NEXT) | instid1(VALU_DEP_1)
	v_and_b32_e32 v7, 1, v6
	v_cmpx_eq_u32_e32 1, v7
; %bb.9:
	v_cndmask_b32_e64 v5, v6, 1, s3
	v_cmp_lt_i64_e32 vcc_lo, v[1:2], v[3:4]
	s_delay_alu instid0(VALU_DEP_2)
	v_and_b32_e32 v6, 1, v5
	v_and_b32_e32 v5, 0xff, v5
	s_and_b32 vcc_lo, s3, vcc_lo
	s_and_not1_b32 s3, s3, exec_lo
	v_dual_cndmask_b32 v2, v4, v2 :: v_dual_cndmask_b32 v1, v3, v1
	v_cmp_eq_u32_e64 s2, 1, v6
	s_delay_alu instid0(VALU_DEP_1) | instskip(NEXT) | instid1(SALU_CYCLE_1)
	s_and_b32 s2, s2, exec_lo
	s_or_b32 s3, s3, s2
; %bb.10:
	s_or_b32 exec_lo, exec_lo, s4
	v_mov_b32_dpp v6, v5 row_ror:8 row_mask:0xf bank_mask:0xf
	v_mov_b32_dpp v3, v1 row_ror:8 row_mask:0xf bank_mask:0xf
	;; [unrolled: 1-line block ×3, first 2 shown]
	s_mov_b32 s4, exec_lo
	s_delay_alu instid0(VALU_DEP_3) | instskip(NEXT) | instid1(VALU_DEP_1)
	v_and_b32_e32 v7, 1, v6
	v_cmpx_eq_u32_e32 1, v7
; %bb.11:
	v_cndmask_b32_e64 v5, v6, 1, s3
	v_cmp_lt_i64_e32 vcc_lo, v[1:2], v[3:4]
	s_delay_alu instid0(VALU_DEP_2)
	v_and_b32_e32 v6, 1, v5
	v_and_b32_e32 v5, 0xff, v5
	s_and_b32 vcc_lo, s3, vcc_lo
	s_and_not1_b32 s3, s3, exec_lo
	v_dual_cndmask_b32 v2, v4, v2 :: v_dual_cndmask_b32 v1, v3, v1
	v_cmp_eq_u32_e64 s2, 1, v6
	s_delay_alu instid0(VALU_DEP_1) | instskip(NEXT) | instid1(SALU_CYCLE_1)
	s_and_b32 s2, s2, exec_lo
	s_or_b32 s3, s3, s2
; %bb.12:
	s_or_b32 exec_lo, exec_lo, s4
	ds_swizzle_b32 v6, v5 offset:swizzle(BROADCAST,32,15)
	ds_swizzle_b32 v3, v1 offset:swizzle(BROADCAST,32,15)
	;; [unrolled: 1-line block ×3, first 2 shown]
	s_mov_b32 s2, exec_lo
	s_waitcnt lgkmcnt(2)
	v_and_b32_e32 v7, 1, v6
	s_delay_alu instid0(VALU_DEP_1)
	v_cmpx_eq_u32_e32 1, v7
	s_cbranch_execz .LBB463_14
; %bb.13:
	s_waitcnt lgkmcnt(0)
	v_cmp_lt_i64_e32 vcc_lo, v[1:2], v[3:4]
	v_and_b32_e32 v5, 0xff, v6
	s_delay_alu instid0(VALU_DEP_1)
	v_cndmask_b32_e64 v5, v5, 1, s3
	s_and_b32 vcc_lo, s3, vcc_lo
	v_dual_cndmask_b32 v1, v3, v1 :: v_dual_cndmask_b32 v2, v4, v2
.LBB463_14:
	s_or_b32 exec_lo, exec_lo, s2
	s_waitcnt lgkmcnt(1)
	v_mov_b32_e32 v3, 0
	s_mov_b32 s2, exec_lo
	ds_bpermute_b32 v6, v3, v5 offset:124
	ds_bpermute_b32 v1, v3, v1 offset:124
	;; [unrolled: 1-line block ×3, first 2 shown]
	v_mbcnt_lo_u32_b32 v3, -1, 0
	s_delay_alu instid0(VALU_DEP_1)
	v_cmpx_eq_u32_e32 0, v3
	s_cbranch_execz .LBB463_16
; %bb.15:
	s_waitcnt lgkmcnt(3)
	v_lshrrev_b32_e32 v4, 1, v0
	s_delay_alu instid0(VALU_DEP_1)
	v_and_b32_e32 v4, 0x70, v4
	s_waitcnt lgkmcnt(2)
	ds_store_b8 v4, v6 offset:384
	s_waitcnt lgkmcnt(1)
	ds_store_b64 v4, v[1:2] offset:392
.LBB463_16:
	s_or_b32 exec_lo, exec_lo, s2
	s_delay_alu instid0(SALU_CYCLE_1)
	s_mov_b32 s4, exec_lo
	s_waitcnt lgkmcnt(0)
	s_barrier
	buffer_gl0_inv
	v_cmpx_gt_u32_e32 32, v0
	s_cbranch_execz .LBB463_18
; %bb.17:
	v_and_b32_e32 v6, 7, v3
	s_delay_alu instid0(VALU_DEP_1)
	v_lshlrev_b32_e32 v1, 4, v6
	v_cmp_ne_u32_e32 vcc_lo, 7, v6
	ds_load_u8 v7, v1 offset:384
	ds_load_b64 v[1:2], v1 offset:392
	v_add_co_ci_u32_e32 v4, vcc_lo, 0, v3, vcc_lo
	v_cmp_gt_u32_e32 vcc_lo, 6, v6
	s_delay_alu instid0(VALU_DEP_2)
	v_lshlrev_b32_e32 v5, 2, v4
	v_cndmask_b32_e64 v10, 0, 1, vcc_lo
	s_waitcnt lgkmcnt(1)
	v_and_b32_e32 v4, 0xff, v7
	v_and_b32_e32 v11, 1, v7
	ds_bpermute_b32 v8, v5, v4
	s_waitcnt lgkmcnt(1)
	ds_bpermute_b32 v4, v5, v1
	ds_bpermute_b32 v5, v5, v2
	v_cmp_eq_u32_e64 s3, 1, v11
	s_waitcnt lgkmcnt(2)
	v_and_b32_e32 v9, 1, v8
	s_waitcnt lgkmcnt(0)
	v_cmp_lt_i64_e64 s2, v[4:5], v[1:2]
	s_delay_alu instid0(VALU_DEP_2) | instskip(SKIP_2) | instid1(VALU_DEP_4)
	v_cmp_eq_u32_e32 vcc_lo, 1, v9
	v_lshlrev_b32_e32 v9, 1, v10
	v_cndmask_b32_e64 v7, v7, 1, vcc_lo
	s_and_b32 vcc_lo, vcc_lo, s2
	v_dual_cndmask_b32 v1, v1, v4 :: v_dual_cndmask_b32 v2, v2, v5
	s_delay_alu instid0(VALU_DEP_2) | instskip(SKIP_2) | instid1(VALU_DEP_4)
	v_cndmask_b32_e64 v7, v8, v7, s3
	v_add_lshl_u32 v8, v9, v3, 2
	v_cmp_gt_u32_e32 vcc_lo, 4, v6
	v_cndmask_b32_e64 v1, v4, v1, s3
	v_cndmask_b32_e64 v2, v5, v2, s3
	v_and_b32_e32 v9, 0xff, v7
	v_and_b32_e32 v10, 1, v7
	v_cndmask_b32_e64 v6, 0, 1, vcc_lo
	ds_bpermute_b32 v4, v8, v1
	ds_bpermute_b32 v5, v8, v2
	;; [unrolled: 1-line block ×3, first 2 shown]
	v_cmp_eq_u32_e64 s3, 1, v10
	s_waitcnt lgkmcnt(1)
	v_cmp_lt_i64_e64 s2, v[4:5], v[1:2]
	s_waitcnt lgkmcnt(0)
	v_and_b32_e32 v8, 1, v9
	s_delay_alu instid0(VALU_DEP_1) | instskip(SKIP_1) | instid1(VALU_DEP_4)
	v_cmp_eq_u32_e32 vcc_lo, 1, v8
	v_cndmask_b32_e64 v7, v7, 1, vcc_lo
	s_and_b32 vcc_lo, vcc_lo, s2
	v_dual_cndmask_b32 v1, v1, v4 :: v_dual_cndmask_b32 v2, v2, v5
	s_delay_alu instid0(VALU_DEP_2) | instskip(NEXT) | instid1(VALU_DEP_2)
	v_cndmask_b32_e64 v7, v9, v7, s3
	v_cndmask_b32_e64 v1, v4, v1, s3
	v_lshlrev_b32_e32 v6, 2, v6
	s_delay_alu instid0(VALU_DEP_4) | instskip(NEXT) | instid1(VALU_DEP_2)
	v_cndmask_b32_e64 v2, v5, v2, s3
	v_add_lshl_u32 v6, v6, v3, 2
	v_and_b32_e32 v3, 0xff, v7
	ds_bpermute_b32 v4, v6, v2
	ds_bpermute_b32 v5, v6, v3
	;; [unrolled: 1-line block ×3, first 2 shown]
	s_waitcnt lgkmcnt(1)
	v_and_b32_e32 v6, 1, v5
	s_waitcnt lgkmcnt(0)
	v_cmp_lt_i64_e32 vcc_lo, v[3:4], v[1:2]
	s_delay_alu instid0(VALU_DEP_2) | instskip(SKIP_1) | instid1(VALU_DEP_2)
	v_cmp_eq_u32_e64 s2, 1, v6
	v_and_b32_e32 v6, 1, v7
	v_cndmask_b32_e64 v7, v7, 1, s2
	s_and_b32 vcc_lo, s2, vcc_lo
	s_delay_alu instid0(VALU_DEP_2) | instskip(SKIP_1) | instid1(VALU_DEP_2)
	v_cmp_eq_u32_e64 s2, 1, v6
	v_dual_cndmask_b32 v1, v1, v3 :: v_dual_cndmask_b32 v2, v2, v4
	v_cndmask_b32_e64 v5, v5, v7, s2
	s_delay_alu instid0(VALU_DEP_2) | instskip(NEXT) | instid1(VALU_DEP_3)
	v_cndmask_b32_e64 v1, v3, v1, s2
	v_cndmask_b32_e64 v2, v4, v2, s2
	s_delay_alu instid0(VALU_DEP_3)
	v_and_b32_e32 v6, 0xff, v5
.LBB463_18:
	s_or_b32 exec_lo, exec_lo, s4
	s_branch .LBB463_85
.LBB463_19:
	s_mov_b32 s26, 0
                                        ; implicit-def: $vgpr3_vgpr4
                                        ; implicit-def: $vgpr5
	s_cbranch_execnz .LBB463_129
	s_branch .LBB463_200
.LBB463_20:
	s_mov_b32 s27, -1
.LBB463_21:
	s_mov_b32 s26, 0
                                        ; implicit-def: $vgpr3_vgpr4
                                        ; implicit-def: $vgpr5
	s_and_b32 vcc_lo, exec_lo, s27
	s_cbranch_vccz .LBB463_90
.LBB463_22:
	s_cmp_eq_u32 s25, 4
	s_cbranch_scc0 .LBB463_39
; %bb.23:
	s_mov_b32 s11, 0
	s_lshl_b32 s22, s10, 10
	s_mov_b32 s23, s11
	s_lshr_b64 s[28:29], s[14:15], 10
	s_lshl_b64 s[2:3], s[22:23], 2
	s_delay_alu instid0(SALU_CYCLE_1)
	s_add_u32 s6, s16, s2
	s_addc_u32 s7, s17, s3
	s_add_u32 s8, s18, s2
	s_addc_u32 s9, s19, s3
	s_add_u32 s5, s12, s22
	s_addc_u32 s23, s13, 0
	s_cmp_lg_u64 s[28:29], s[10:11]
	s_cbranch_scc0 .LBB463_91
; %bb.24:
	v_mov_b32_e32 v9, 0x100
	v_lshlrev_b32_e32 v1, 2, v0
	global_load_b32 v2, v1, s[8:9] offset:1024
	s_waitcnt lgkmcnt(1)
	global_load_b32 v3, v1, s[6:7] offset:1024
	s_waitcnt lgkmcnt(0)
	s_clause 0x5
	global_load_b32 v4, v1, s[6:7]
	global_load_b32 v5, v1, s[8:9]
	global_load_b32 v6, v1, s[6:7] offset:2048
	global_load_b32 v7, v1, s[8:9] offset:2048
	global_load_b32 v8, v1, s[8:9] offset:3072
	global_load_b32 v1, v1, s[6:7] offset:3072
	s_waitcnt vmcnt(6)
	v_cmp_neq_f32_e32 vcc_lo, v3, v2
	s_waitcnt vmcnt(4)
	v_cmp_neq_f32_e64 s2, v4, v5
	s_waitcnt vmcnt(2)
	v_cmp_neq_f32_e64 s3, v6, v7
	v_cndmask_b32_e32 v2, 0x200, v9, vcc_lo
	s_waitcnt vmcnt(0)
	v_cmp_neq_f32_e64 s4, v1, v8
	s_delay_alu instid0(VALU_DEP_2) | instskip(SKIP_1) | instid1(SALU_CYCLE_1)
	v_cndmask_b32_e64 v2, v2, 0, s2
	s_or_b32 s2, s2, vcc_lo
	s_or_b32 vcc_lo, s2, s3
	s_delay_alu instid0(VALU_DEP_1) | instskip(SKIP_4) | instid1(VALU_DEP_3)
	v_cndmask_b32_e32 v1, 0x300, v2, vcc_lo
	s_or_b32 s3, vcc_lo, s4
	v_add_co_u32 v2, s2, s5, v0
	v_cndmask_b32_e64 v5, 0, 1, s3
	v_add_co_ci_u32_e64 v3, null, s23, 0, s2
	v_add_co_u32 v1, vcc_lo, v2, v1
	s_delay_alu instid0(VALU_DEP_3) | instskip(NEXT) | instid1(VALU_DEP_3)
	v_mov_b32_dpp v6, v5 quad_perm:[1,0,3,2] row_mask:0xf bank_mask:0xf
	v_add_co_ci_u32_e32 v2, vcc_lo, 0, v3, vcc_lo
	s_delay_alu instid0(VALU_DEP_3) | instskip(SKIP_1) | instid1(VALU_DEP_3)
	v_mov_b32_dpp v3, v1 quad_perm:[1,0,3,2] row_mask:0xf bank_mask:0xf
	s_mov_b32 s4, exec_lo
	v_and_b32_e32 v7, 1, v6
	s_delay_alu instid0(VALU_DEP_3) | instskip(NEXT) | instid1(VALU_DEP_2)
	v_mov_b32_dpp v4, v2 quad_perm:[1,0,3,2] row_mask:0xf bank_mask:0xf
	v_cmpx_eq_u32_e32 1, v7
; %bb.25:
	v_cndmask_b32_e64 v5, v6, 1, s3
	s_delay_alu instid0(VALU_DEP_3) | instskip(NEXT) | instid1(VALU_DEP_2)
	v_cmp_lt_i64_e32 vcc_lo, v[1:2], v[3:4]
	v_and_b32_e32 v6, 1, v5
	v_and_b32_e32 v5, 0xff, v5
	s_and_b32 vcc_lo, s3, vcc_lo
	s_and_not1_b32 s3, s3, exec_lo
	v_dual_cndmask_b32 v2, v4, v2 :: v_dual_cndmask_b32 v1, v3, v1
	v_cmp_eq_u32_e64 s2, 1, v6
	s_delay_alu instid0(VALU_DEP_1) | instskip(NEXT) | instid1(SALU_CYCLE_1)
	s_and_b32 s2, s2, exec_lo
	s_or_b32 s3, s3, s2
; %bb.26:
	s_or_b32 exec_lo, exec_lo, s4
	v_mov_b32_dpp v6, v5 quad_perm:[2,3,0,1] row_mask:0xf bank_mask:0xf
	v_mov_b32_dpp v3, v1 quad_perm:[2,3,0,1] row_mask:0xf bank_mask:0xf
	;; [unrolled: 1-line block ×3, first 2 shown]
	s_mov_b32 s4, exec_lo
	s_delay_alu instid0(VALU_DEP_3) | instskip(NEXT) | instid1(VALU_DEP_1)
	v_and_b32_e32 v7, 1, v6
	v_cmpx_eq_u32_e32 1, v7
; %bb.27:
	v_cndmask_b32_e64 v5, v6, 1, s3
	v_cmp_lt_i64_e32 vcc_lo, v[1:2], v[3:4]
	s_delay_alu instid0(VALU_DEP_2)
	v_and_b32_e32 v6, 1, v5
	v_and_b32_e32 v5, 0xff, v5
	s_and_b32 vcc_lo, s3, vcc_lo
	s_and_not1_b32 s3, s3, exec_lo
	v_dual_cndmask_b32 v2, v4, v2 :: v_dual_cndmask_b32 v1, v3, v1
	v_cmp_eq_u32_e64 s2, 1, v6
	s_delay_alu instid0(VALU_DEP_1) | instskip(NEXT) | instid1(SALU_CYCLE_1)
	s_and_b32 s2, s2, exec_lo
	s_or_b32 s3, s3, s2
; %bb.28:
	s_or_b32 exec_lo, exec_lo, s4
	v_mov_b32_dpp v6, v5 row_ror:4 row_mask:0xf bank_mask:0xf
	v_mov_b32_dpp v3, v1 row_ror:4 row_mask:0xf bank_mask:0xf
	;; [unrolled: 1-line block ×3, first 2 shown]
	s_mov_b32 s4, exec_lo
	s_delay_alu instid0(VALU_DEP_3) | instskip(NEXT) | instid1(VALU_DEP_1)
	v_and_b32_e32 v7, 1, v6
	v_cmpx_eq_u32_e32 1, v7
; %bb.29:
	v_cndmask_b32_e64 v5, v6, 1, s3
	v_cmp_lt_i64_e32 vcc_lo, v[1:2], v[3:4]
	s_delay_alu instid0(VALU_DEP_2)
	v_and_b32_e32 v6, 1, v5
	v_and_b32_e32 v5, 0xff, v5
	s_and_b32 vcc_lo, s3, vcc_lo
	s_and_not1_b32 s3, s3, exec_lo
	v_dual_cndmask_b32 v2, v4, v2 :: v_dual_cndmask_b32 v1, v3, v1
	v_cmp_eq_u32_e64 s2, 1, v6
	s_delay_alu instid0(VALU_DEP_1) | instskip(NEXT) | instid1(SALU_CYCLE_1)
	s_and_b32 s2, s2, exec_lo
	s_or_b32 s3, s3, s2
; %bb.30:
	s_or_b32 exec_lo, exec_lo, s4
	v_mov_b32_dpp v6, v5 row_ror:8 row_mask:0xf bank_mask:0xf
	v_mov_b32_dpp v3, v1 row_ror:8 row_mask:0xf bank_mask:0xf
	;; [unrolled: 1-line block ×3, first 2 shown]
	s_mov_b32 s4, exec_lo
	s_delay_alu instid0(VALU_DEP_3) | instskip(NEXT) | instid1(VALU_DEP_1)
	v_and_b32_e32 v7, 1, v6
	v_cmpx_eq_u32_e32 1, v7
; %bb.31:
	v_cndmask_b32_e64 v5, v6, 1, s3
	v_cmp_lt_i64_e32 vcc_lo, v[1:2], v[3:4]
	s_delay_alu instid0(VALU_DEP_2)
	v_and_b32_e32 v6, 1, v5
	v_and_b32_e32 v5, 0xff, v5
	s_and_b32 vcc_lo, s3, vcc_lo
	s_and_not1_b32 s3, s3, exec_lo
	v_dual_cndmask_b32 v2, v4, v2 :: v_dual_cndmask_b32 v1, v3, v1
	v_cmp_eq_u32_e64 s2, 1, v6
	s_delay_alu instid0(VALU_DEP_1) | instskip(NEXT) | instid1(SALU_CYCLE_1)
	s_and_b32 s2, s2, exec_lo
	s_or_b32 s3, s3, s2
; %bb.32:
	s_or_b32 exec_lo, exec_lo, s4
	ds_swizzle_b32 v6, v5 offset:swizzle(BROADCAST,32,15)
	ds_swizzle_b32 v3, v1 offset:swizzle(BROADCAST,32,15)
	;; [unrolled: 1-line block ×3, first 2 shown]
	s_mov_b32 s2, exec_lo
	s_waitcnt lgkmcnt(2)
	v_and_b32_e32 v7, 1, v6
	s_delay_alu instid0(VALU_DEP_1)
	v_cmpx_eq_u32_e32 1, v7
	s_cbranch_execz .LBB463_34
; %bb.33:
	s_waitcnt lgkmcnt(0)
	v_cmp_lt_i64_e32 vcc_lo, v[1:2], v[3:4]
	v_and_b32_e32 v5, 0xff, v6
	s_delay_alu instid0(VALU_DEP_1)
	v_cndmask_b32_e64 v5, v5, 1, s3
	s_and_b32 vcc_lo, s3, vcc_lo
	v_dual_cndmask_b32 v1, v3, v1 :: v_dual_cndmask_b32 v2, v4, v2
.LBB463_34:
	s_or_b32 exec_lo, exec_lo, s2
	s_waitcnt lgkmcnt(1)
	v_mov_b32_e32 v3, 0
	s_mov_b32 s2, exec_lo
	ds_bpermute_b32 v6, v3, v5 offset:124
	ds_bpermute_b32 v1, v3, v1 offset:124
	ds_bpermute_b32 v2, v3, v2 offset:124
	v_mbcnt_lo_u32_b32 v3, -1, 0
	s_delay_alu instid0(VALU_DEP_1)
	v_cmpx_eq_u32_e32 0, v3
	s_cbranch_execz .LBB463_36
; %bb.35:
	s_waitcnt lgkmcnt(3)
	v_lshrrev_b32_e32 v4, 1, v0
	s_delay_alu instid0(VALU_DEP_1)
	v_and_b32_e32 v4, 0x70, v4
	s_waitcnt lgkmcnt(2)
	ds_store_b8 v4, v6 offset:256
	s_waitcnt lgkmcnt(1)
	ds_store_b64 v4, v[1:2] offset:264
.LBB463_36:
	s_or_b32 exec_lo, exec_lo, s2
	s_delay_alu instid0(SALU_CYCLE_1)
	s_mov_b32 s4, exec_lo
	s_waitcnt lgkmcnt(0)
	s_barrier
	buffer_gl0_inv
	v_cmpx_gt_u32_e32 32, v0
	s_cbranch_execz .LBB463_38
; %bb.37:
	v_and_b32_e32 v6, 7, v3
	s_delay_alu instid0(VALU_DEP_1)
	v_lshlrev_b32_e32 v1, 4, v6
	v_cmp_ne_u32_e32 vcc_lo, 7, v6
	ds_load_u8 v7, v1 offset:256
	ds_load_b64 v[1:2], v1 offset:264
	v_add_co_ci_u32_e32 v4, vcc_lo, 0, v3, vcc_lo
	v_cmp_gt_u32_e32 vcc_lo, 6, v6
	s_delay_alu instid0(VALU_DEP_2)
	v_lshlrev_b32_e32 v5, 2, v4
	v_cndmask_b32_e64 v10, 0, 1, vcc_lo
	s_waitcnt lgkmcnt(1)
	v_and_b32_e32 v4, 0xff, v7
	v_and_b32_e32 v11, 1, v7
	ds_bpermute_b32 v8, v5, v4
	s_waitcnt lgkmcnt(1)
	ds_bpermute_b32 v4, v5, v1
	ds_bpermute_b32 v5, v5, v2
	v_cmp_eq_u32_e64 s3, 1, v11
	s_waitcnt lgkmcnt(2)
	v_and_b32_e32 v9, 1, v8
	s_waitcnt lgkmcnt(0)
	v_cmp_lt_i64_e64 s2, v[4:5], v[1:2]
	s_delay_alu instid0(VALU_DEP_2) | instskip(SKIP_2) | instid1(VALU_DEP_4)
	v_cmp_eq_u32_e32 vcc_lo, 1, v9
	v_lshlrev_b32_e32 v9, 1, v10
	v_cndmask_b32_e64 v7, v7, 1, vcc_lo
	s_and_b32 vcc_lo, vcc_lo, s2
	v_dual_cndmask_b32 v1, v1, v4 :: v_dual_cndmask_b32 v2, v2, v5
	s_delay_alu instid0(VALU_DEP_2) | instskip(SKIP_2) | instid1(VALU_DEP_4)
	v_cndmask_b32_e64 v7, v8, v7, s3
	v_add_lshl_u32 v8, v9, v3, 2
	v_cmp_gt_u32_e32 vcc_lo, 4, v6
	v_cndmask_b32_e64 v1, v4, v1, s3
	v_cndmask_b32_e64 v2, v5, v2, s3
	v_and_b32_e32 v9, 0xff, v7
	v_and_b32_e32 v10, 1, v7
	v_cndmask_b32_e64 v6, 0, 1, vcc_lo
	ds_bpermute_b32 v4, v8, v1
	ds_bpermute_b32 v5, v8, v2
	;; [unrolled: 1-line block ×3, first 2 shown]
	v_cmp_eq_u32_e64 s3, 1, v10
	s_waitcnt lgkmcnt(1)
	v_cmp_lt_i64_e64 s2, v[4:5], v[1:2]
	s_waitcnt lgkmcnt(0)
	v_and_b32_e32 v8, 1, v9
	s_delay_alu instid0(VALU_DEP_1) | instskip(SKIP_1) | instid1(VALU_DEP_4)
	v_cmp_eq_u32_e32 vcc_lo, 1, v8
	v_cndmask_b32_e64 v7, v7, 1, vcc_lo
	s_and_b32 vcc_lo, vcc_lo, s2
	v_dual_cndmask_b32 v1, v1, v4 :: v_dual_cndmask_b32 v2, v2, v5
	s_delay_alu instid0(VALU_DEP_2) | instskip(NEXT) | instid1(VALU_DEP_2)
	v_cndmask_b32_e64 v7, v9, v7, s3
	v_cndmask_b32_e64 v1, v4, v1, s3
	v_lshlrev_b32_e32 v6, 2, v6
	s_delay_alu instid0(VALU_DEP_4) | instskip(NEXT) | instid1(VALU_DEP_2)
	v_cndmask_b32_e64 v2, v5, v2, s3
	v_add_lshl_u32 v6, v6, v3, 2
	v_and_b32_e32 v3, 0xff, v7
	ds_bpermute_b32 v4, v6, v2
	ds_bpermute_b32 v5, v6, v3
	;; [unrolled: 1-line block ×3, first 2 shown]
	s_waitcnt lgkmcnt(1)
	v_and_b32_e32 v6, 1, v5
	s_waitcnt lgkmcnt(0)
	v_cmp_lt_i64_e32 vcc_lo, v[3:4], v[1:2]
	s_delay_alu instid0(VALU_DEP_2) | instskip(SKIP_1) | instid1(VALU_DEP_2)
	v_cmp_eq_u32_e64 s2, 1, v6
	v_and_b32_e32 v6, 1, v7
	v_cndmask_b32_e64 v7, v7, 1, s2
	s_and_b32 vcc_lo, s2, vcc_lo
	s_delay_alu instid0(VALU_DEP_2) | instskip(SKIP_1) | instid1(VALU_DEP_2)
	v_cmp_eq_u32_e64 s2, 1, v6
	v_dual_cndmask_b32 v1, v1, v3 :: v_dual_cndmask_b32 v2, v2, v4
	v_cndmask_b32_e64 v5, v5, v7, s2
	s_delay_alu instid0(VALU_DEP_2) | instskip(NEXT) | instid1(VALU_DEP_3)
	v_cndmask_b32_e64 v1, v3, v1, s2
	v_cndmask_b32_e64 v2, v4, v2, s2
	s_delay_alu instid0(VALU_DEP_3)
	v_and_b32_e32 v6, 0xff, v5
.LBB463_38:
	s_or_b32 exec_lo, exec_lo, s4
	s_branch .LBB463_124
.LBB463_39:
                                        ; implicit-def: $vgpr3_vgpr4
                                        ; implicit-def: $vgpr5
	s_branch .LBB463_200
.LBB463_40:
                                        ; implicit-def: $vgpr1_vgpr2
                                        ; implicit-def: $vgpr6
	s_cbranch_execz .LBB463_85
; %bb.41:
	v_mov_b32_e32 v9, 0
	v_dual_mov_b32 v10, 0 :: v_dual_mov_b32 v21, 0
	s_delay_alu instid0(VALU_DEP_2) | instskip(SKIP_2) | instid1(VALU_DEP_3)
	v_mov_b32_e32 v1, v9
	v_mov_b32_e32 v17, 0
	s_sub_i32 s29, s14, s6
	v_mov_b32_e32 v2, v10
	s_mov_b32 s2, exec_lo
	v_cmpx_gt_u32_e64 s29, v0
	s_cbranch_execz .LBB463_43
; %bb.42:
	v_lshlrev_b32_e32 v1, 2, v0
	s_clause 0x1
	global_load_b32 v3, v1, s[8:9]
	global_load_b32 v4, v1, s[22:23]
	v_add_co_u32 v1, s3, s26, v0
	s_delay_alu instid0(VALU_DEP_1)
	v_add_co_ci_u32_e64 v2, null, s28, 0, s3
	s_waitcnt vmcnt(0)
	v_cmp_neq_f32_e32 vcc_lo, v3, v4
	v_cndmask_b32_e64 v17, 0, 1, vcc_lo
.LBB463_43:
	s_or_b32 exec_lo, exec_lo, s2
	v_or_b32_e32 v3, 0x100, v0
	s_delay_alu instid0(VALU_DEP_1) | instskip(NEXT) | instid1(VALU_DEP_1)
	v_cmp_gt_u32_e64 s7, s29, v3
	s_and_saveexec_b32 s2, s7
	s_cbranch_execz .LBB463_45
; %bb.44:
	v_lshlrev_b32_e32 v4, 2, v0
	v_add_co_u32 v9, s3, s26, v3
	s_delay_alu instid0(VALU_DEP_1)
	v_add_co_ci_u32_e64 v10, null, s28, 0, s3
	s_clause 0x1
	global_load_b32 v5, v4, s[8:9] offset:1024
	global_load_b32 v4, v4, s[22:23] offset:1024
	s_waitcnt vmcnt(0)
	v_cmp_neq_f32_e32 vcc_lo, v5, v4
	v_cndmask_b32_e64 v21, 0, 1, vcc_lo
.LBB463_45:
	s_or_b32 exec_lo, exec_lo, s2
	v_dual_mov_b32 v7, 0 :: v_dual_mov_b32 v20, 0
	v_mov_b32_e32 v8, 0
	v_or_b32_e32 v3, 0x200, v0
	v_mov_b32_e32 v24, 0
	s_delay_alu instid0(VALU_DEP_3) | instskip(NEXT) | instid1(VALU_DEP_3)
	v_dual_mov_b32 v16, v8 :: v_dual_mov_b32 v15, v7
	v_cmp_gt_u32_e64 s6, s29, v3
	s_delay_alu instid0(VALU_DEP_1)
	s_and_saveexec_b32 s2, s6
	s_cbranch_execz .LBB463_47
; %bb.46:
	v_lshlrev_b32_e32 v4, 2, v0
	v_add_co_u32 v15, s3, s26, v3
	s_delay_alu instid0(VALU_DEP_1)
	v_add_co_ci_u32_e64 v16, null, s28, 0, s3
	s_clause 0x1
	global_load_b32 v5, v4, s[8:9] offset:2048
	global_load_b32 v4, v4, s[22:23] offset:2048
	s_waitcnt vmcnt(0)
	v_cmp_neq_f32_e32 vcc_lo, v5, v4
	v_cndmask_b32_e64 v24, 0, 1, vcc_lo
.LBB463_47:
	s_or_b32 exec_lo, exec_lo, s2
	v_or_b32_e32 v3, 0x300, v0
	s_delay_alu instid0(VALU_DEP_1) | instskip(NEXT) | instid1(VALU_DEP_1)
	v_cmp_gt_u32_e64 s5, s29, v3
	s_and_saveexec_b32 s2, s5
	s_cbranch_execz .LBB463_49
; %bb.48:
	v_lshlrev_b32_e32 v4, 2, v0
	v_add_co_u32 v7, s3, s26, v3
	s_delay_alu instid0(VALU_DEP_1)
	v_add_co_ci_u32_e64 v8, null, s28, 0, s3
	s_clause 0x1
	global_load_b32 v5, v4, s[8:9] offset:3072
	global_load_b32 v4, v4, s[22:23] offset:3072
	s_waitcnt vmcnt(0)
	v_cmp_neq_f32_e32 vcc_lo, v5, v4
	v_cndmask_b32_e64 v20, 0, 1, vcc_lo
.LBB463_49:
	s_or_b32 exec_lo, exec_lo, s2
	v_mov_b32_e32 v5, 0
	v_dual_mov_b32 v6, 0 :: v_dual_mov_b32 v19, 0
	v_or_b32_e32 v3, 0x400, v0
	s_delay_alu instid0(VALU_DEP_2) | instskip(NEXT) | instid1(VALU_DEP_4)
	v_dual_mov_b32 v23, 0 :: v_dual_mov_b32 v14, v6
	v_mov_b32_e32 v13, v5
	s_delay_alu instid0(VALU_DEP_3) | instskip(NEXT) | instid1(VALU_DEP_1)
	v_cmp_gt_u32_e64 s4, s29, v3
	s_and_saveexec_b32 s2, s4
	s_cbranch_execz .LBB463_51
; %bb.50:
	v_lshlrev_b32_e32 v4, 2, v3
	v_add_co_u32 v13, s3, s26, v3
	s_delay_alu instid0(VALU_DEP_1)
	v_add_co_ci_u32_e64 v14, null, s28, 0, s3
	s_clause 0x1
	global_load_b32 v11, v4, s[8:9]
	global_load_b32 v4, v4, s[22:23]
	s_waitcnt vmcnt(0)
	v_cmp_neq_f32_e32 vcc_lo, v11, v4
	v_cndmask_b32_e64 v23, 0, 1, vcc_lo
.LBB463_51:
	s_or_b32 exec_lo, exec_lo, s2
	v_or_b32_e32 v3, 0x500, v0
	s_delay_alu instid0(VALU_DEP_1) | instskip(NEXT) | instid1(VALU_DEP_1)
	v_cmp_gt_u32_e64 s3, s29, v3
	s_and_saveexec_b32 s2, s3
	s_cbranch_execz .LBB463_53
; %bb.52:
	v_lshlrev_b32_e32 v4, 2, v3
	v_add_co_u32 v5, s30, s26, v3
	s_delay_alu instid0(VALU_DEP_1)
	v_add_co_ci_u32_e64 v6, null, s28, 0, s30
	s_clause 0x1
	global_load_b32 v11, v4, s[8:9]
	global_load_b32 v4, v4, s[22:23]
	s_waitcnt vmcnt(0)
	v_cmp_neq_f32_e32 vcc_lo, v11, v4
	v_cndmask_b32_e64 v19, 0, 1, vcc_lo
.LBB463_53:
	s_or_b32 exec_lo, exec_lo, s2
	v_dual_mov_b32 v3, 0 :: v_dual_mov_b32 v18, 0
	v_mov_b32_e32 v4, 0
	v_or_b32_e32 v25, 0x600, v0
	v_mov_b32_e32 v22, 0
	s_delay_alu instid0(VALU_DEP_3) | instskip(NEXT) | instid1(VALU_DEP_3)
	v_dual_mov_b32 v12, v4 :: v_dual_mov_b32 v11, v3
	v_cmp_gt_u32_e64 s2, s29, v25
	s_delay_alu instid0(VALU_DEP_1)
	s_and_saveexec_b32 s30, s2
	s_cbranch_execz .LBB463_55
; %bb.54:
	v_lshlrev_b32_e32 v11, 2, v25
	s_clause 0x1
	global_load_b32 v22, v11, s[8:9]
	global_load_b32 v26, v11, s[22:23]
	v_add_co_u32 v11, s31, s26, v25
	s_delay_alu instid0(VALU_DEP_1)
	v_add_co_ci_u32_e64 v12, null, s28, 0, s31
	s_waitcnt vmcnt(0)
	v_cmp_neq_f32_e32 vcc_lo, v22, v26
	v_cndmask_b32_e64 v22, 0, 1, vcc_lo
.LBB463_55:
	s_or_b32 exec_lo, exec_lo, s30
	v_or_b32_e32 v25, 0x700, v0
	s_delay_alu instid0(VALU_DEP_1)
	v_cmp_gt_u32_e32 vcc_lo, s29, v25
	s_and_saveexec_b32 s30, vcc_lo
	s_cbranch_execnz .LBB463_232
; %bb.56:
	s_or_b32 exec_lo, exec_lo, s30
	s_and_saveexec_b32 s9, s7
	s_cbranch_execnz .LBB463_233
.LBB463_57:
	s_or_b32 exec_lo, exec_lo, s9
	s_and_saveexec_b32 s8, s6
	s_cbranch_execnz .LBB463_234
.LBB463_58:
	s_or_b32 exec_lo, exec_lo, s8
	s_and_saveexec_b32 s7, s5
	s_cbranch_execnz .LBB463_235
.LBB463_59:
	s_or_b32 exec_lo, exec_lo, s7
	s_and_saveexec_b32 s6, s4
	s_cbranch_execnz .LBB463_236
.LBB463_60:
	s_or_b32 exec_lo, exec_lo, s6
	s_and_saveexec_b32 s5, s3
	s_cbranch_execnz .LBB463_237
.LBB463_61:
	s_or_b32 exec_lo, exec_lo, s5
	s_and_saveexec_b32 s4, s2
	s_cbranch_execnz .LBB463_238
.LBB463_62:
	s_or_b32 exec_lo, exec_lo, s4
	s_and_saveexec_b32 s3, vcc_lo
.LBB463_63:
	v_and_b32_e32 v5, 1, v18
	v_cmp_lt_i64_e32 vcc_lo, v[3:4], v[1:2]
	s_delay_alu instid0(VALU_DEP_2) | instskip(NEXT) | instid1(VALU_DEP_1)
	v_cmp_eq_u32_e64 s2, 1, v5
	s_and_b32 vcc_lo, s2, vcc_lo
	v_cndmask_b32_e64 v6, v17, 1, s2
	v_dual_cndmask_b32 v2, v2, v4 :: v_dual_and_b32 v5, 1, v17
	v_cndmask_b32_e32 v1, v1, v3, vcc_lo
	s_delay_alu instid0(VALU_DEP_2) | instskip(NEXT) | instid1(VALU_DEP_3)
	v_cmp_eq_u32_e32 vcc_lo, 1, v5
	v_cndmask_b32_e32 v2, v4, v2, vcc_lo
	v_cndmask_b32_e32 v17, v18, v6, vcc_lo
	s_delay_alu instid0(VALU_DEP_4)
	v_cndmask_b32_e32 v1, v3, v1, vcc_lo
.LBB463_64:
	s_or_b32 exec_lo, exec_lo, s3
	v_mbcnt_lo_u32_b32 v5, -1, 0
	v_and_b32_e32 v7, 0xe0, v0
	s_min_u32 s3, s29, 0x100
	v_and_b32_e32 v6, 0xffff, v17
	s_delay_alu instid0(VALU_DEP_3) | instskip(NEXT) | instid1(VALU_DEP_3)
	v_cmp_ne_u32_e32 vcc_lo, 31, v5
	v_sub_nc_u32_e64 v8, s3, v7 clamp
	v_add_nc_u32_e32 v7, 1, v5
	v_add_co_ci_u32_e32 v3, vcc_lo, 0, v5, vcc_lo
	s_delay_alu instid0(VALU_DEP_2) | instskip(NEXT) | instid1(VALU_DEP_2)
	v_cmp_lt_u32_e32 vcc_lo, v7, v8
	v_dual_mov_b32 v7, v6 :: v_dual_lshlrev_b32 v4, 2, v3
	ds_bpermute_b32 v9, v4, v6
	ds_bpermute_b32 v3, v4, v1
	ds_bpermute_b32 v4, v4, v2
	s_and_saveexec_b32 s2, vcc_lo
	s_delay_alu instid0(SALU_CYCLE_1)
	s_xor_b32 s4, exec_lo, s2
	s_cbranch_execz .LBB463_66
; %bb.65:
	s_waitcnt lgkmcnt(2)
	v_and_b32_e32 v7, 1, v9
	s_waitcnt lgkmcnt(0)
	v_cmp_lt_i64_e32 vcc_lo, v[3:4], v[1:2]
	s_delay_alu instid0(VALU_DEP_2) | instskip(SKIP_1) | instid1(VALU_DEP_2)
	v_cmp_eq_u32_e64 s2, 1, v7
	v_and_b32_e32 v7, 1, v17
	v_cndmask_b32_e64 v6, v6, 1, s2
	s_and_b32 vcc_lo, s2, vcc_lo
	s_delay_alu instid0(VALU_DEP_2) | instskip(SKIP_1) | instid1(VALU_DEP_2)
	v_cmp_eq_u32_e64 s2, 1, v7
	v_dual_cndmask_b32 v2, v2, v4 :: v_dual_cndmask_b32 v1, v1, v3
	v_cndmask_b32_e64 v7, v9, v6, s2
	s_delay_alu instid0(VALU_DEP_2) | instskip(NEXT) | instid1(VALU_DEP_3)
	v_cndmask_b32_e64 v2, v4, v2, s2
	v_cndmask_b32_e64 v1, v3, v1, s2
	s_delay_alu instid0(VALU_DEP_3)
	v_and_b32_e32 v6, 0xff, v7
.LBB463_66:
	s_or_b32 exec_lo, exec_lo, s4
	v_cmp_gt_u32_e32 vcc_lo, 30, v5
	v_add_nc_u32_e32 v10, 2, v5
	s_mov_b32 s4, exec_lo
	s_waitcnt lgkmcnt(1)
	v_cndmask_b32_e64 v3, 0, 1, vcc_lo
	s_delay_alu instid0(VALU_DEP_1) | instskip(SKIP_1) | instid1(VALU_DEP_1)
	v_lshlrev_b32_e32 v3, 1, v3
	s_waitcnt lgkmcnt(0)
	v_add_lshl_u32 v4, v3, v5, 2
	ds_bpermute_b32 v9, v4, v6
	ds_bpermute_b32 v3, v4, v1
	ds_bpermute_b32 v4, v4, v2
	v_cmpx_lt_u32_e64 v10, v8
	s_cbranch_execz .LBB463_68
; %bb.67:
	s_waitcnt lgkmcnt(2)
	v_and_b32_e32 v6, 1, v9
	s_waitcnt lgkmcnt(0)
	v_cmp_lt_i64_e32 vcc_lo, v[3:4], v[1:2]
	s_delay_alu instid0(VALU_DEP_2) | instskip(SKIP_1) | instid1(VALU_DEP_2)
	v_cmp_eq_u32_e64 s2, 1, v6
	v_and_b32_e32 v6, 1, v7
	v_cndmask_b32_e64 v7, v7, 1, s2
	s_and_b32 vcc_lo, s2, vcc_lo
	s_delay_alu instid0(VALU_DEP_2) | instskip(SKIP_1) | instid1(VALU_DEP_2)
	v_cmp_eq_u32_e64 s2, 1, v6
	v_dual_cndmask_b32 v1, v1, v3 :: v_dual_cndmask_b32 v2, v2, v4
	v_cndmask_b32_e64 v7, v9, v7, s2
	s_delay_alu instid0(VALU_DEP_2) | instskip(NEXT) | instid1(VALU_DEP_3)
	v_cndmask_b32_e64 v1, v3, v1, s2
	v_cndmask_b32_e64 v2, v4, v2, s2
	s_delay_alu instid0(VALU_DEP_3)
	v_and_b32_e32 v6, 0xff, v7
.LBB463_68:
	s_or_b32 exec_lo, exec_lo, s4
	v_cmp_gt_u32_e32 vcc_lo, 28, v5
	v_add_nc_u32_e32 v10, 4, v5
	s_mov_b32 s4, exec_lo
	s_waitcnt lgkmcnt(1)
	v_cndmask_b32_e64 v3, 0, 1, vcc_lo
	s_delay_alu instid0(VALU_DEP_1) | instskip(SKIP_1) | instid1(VALU_DEP_1)
	v_lshlrev_b32_e32 v3, 2, v3
	s_waitcnt lgkmcnt(0)
	v_add_lshl_u32 v4, v3, v5, 2
	ds_bpermute_b32 v9, v4, v6
	ds_bpermute_b32 v3, v4, v1
	ds_bpermute_b32 v4, v4, v2
	v_cmpx_lt_u32_e64 v10, v8
	;; [unrolled: 35-line block ×4, first 2 shown]
	s_cbranch_execz .LBB463_74
; %bb.73:
	s_waitcnt lgkmcnt(2)
	v_and_b32_e32 v6, 1, v9
	s_waitcnt lgkmcnt(0)
	v_cmp_lt_i64_e32 vcc_lo, v[3:4], v[1:2]
	s_delay_alu instid0(VALU_DEP_2) | instskip(SKIP_1) | instid1(VALU_DEP_2)
	v_cmp_eq_u32_e64 s2, 1, v6
	v_and_b32_e32 v6, 1, v7
	v_cndmask_b32_e64 v7, v7, 1, s2
	s_and_b32 vcc_lo, s2, vcc_lo
	s_delay_alu instid0(VALU_DEP_2) | instskip(SKIP_1) | instid1(VALU_DEP_2)
	v_cmp_eq_u32_e64 s2, 1, v6
	v_dual_cndmask_b32 v1, v1, v3 :: v_dual_cndmask_b32 v2, v2, v4
	v_cndmask_b32_e64 v7, v9, v7, s2
	s_delay_alu instid0(VALU_DEP_2) | instskip(NEXT) | instid1(VALU_DEP_3)
	v_cndmask_b32_e64 v1, v3, v1, s2
	v_cndmask_b32_e64 v2, v4, v2, s2
	s_delay_alu instid0(VALU_DEP_3)
	v_and_b32_e32 v6, 0xff, v7
.LBB463_74:
	s_or_b32 exec_lo, exec_lo, s4
	s_delay_alu instid0(SALU_CYCLE_1)
	s_mov_b32 s2, exec_lo
	v_cmpx_eq_u32_e32 0, v5
	s_cbranch_execz .LBB463_76
; %bb.75:
	s_waitcnt lgkmcnt(1)
	v_lshrrev_b32_e32 v3, 1, v0
	s_delay_alu instid0(VALU_DEP_1)
	v_and_b32_e32 v3, 0x70, v3
	ds_store_b8 v3, v7 offset:512
	ds_store_b64 v3, v[1:2] offset:520
.LBB463_76:
	s_or_b32 exec_lo, exec_lo, s2
	s_delay_alu instid0(SALU_CYCLE_1)
	s_mov_b32 s4, exec_lo
	s_waitcnt lgkmcnt(0)
	s_barrier
	buffer_gl0_inv
	v_cmpx_gt_u32_e32 8, v0
	s_cbranch_execz .LBB463_84
; %bb.77:
	v_lshlrev_b32_e32 v1, 4, v5
	v_and_b32_e32 v8, 7, v5
	s_add_i32 s3, s3, 31
	s_mov_b32 s5, exec_lo
	s_lshr_b32 s3, s3, 5
	ds_load_u8 v7, v1 offset:512
	ds_load_b64 v[1:2], v1 offset:520
	v_cmp_ne_u32_e32 vcc_lo, 7, v8
	v_add_nc_u32_e32 v10, 1, v8
	v_add_co_ci_u32_e32 v3, vcc_lo, 0, v5, vcc_lo
	s_delay_alu instid0(VALU_DEP_1)
	v_lshlrev_b32_e32 v4, 2, v3
	s_waitcnt lgkmcnt(1)
	v_and_b32_e32 v6, 0xff, v7
	s_waitcnt lgkmcnt(0)
	ds_bpermute_b32 v3, v4, v1
	ds_bpermute_b32 v9, v4, v6
	;; [unrolled: 1-line block ×3, first 2 shown]
	v_cmpx_gt_u32_e64 s3, v10
	s_cbranch_execz .LBB463_79
; %bb.78:
	s_waitcnt lgkmcnt(1)
	v_and_b32_e32 v6, 1, v9
	s_waitcnt lgkmcnt(0)
	v_cmp_lt_i64_e32 vcc_lo, v[3:4], v[1:2]
	s_delay_alu instid0(VALU_DEP_2) | instskip(SKIP_1) | instid1(VALU_DEP_2)
	v_cmp_eq_u32_e64 s2, 1, v6
	v_and_b32_e32 v6, 1, v7
	v_cndmask_b32_e64 v7, v7, 1, s2
	s_and_b32 vcc_lo, s2, vcc_lo
	s_delay_alu instid0(VALU_DEP_2) | instskip(SKIP_1) | instid1(VALU_DEP_2)
	v_cmp_eq_u32_e64 s2, 1, v6
	v_dual_cndmask_b32 v1, v1, v3 :: v_dual_cndmask_b32 v2, v2, v4
	v_cndmask_b32_e64 v7, v9, v7, s2
	s_delay_alu instid0(VALU_DEP_2) | instskip(NEXT) | instid1(VALU_DEP_3)
	v_cndmask_b32_e64 v1, v3, v1, s2
	v_cndmask_b32_e64 v2, v4, v2, s2
	s_delay_alu instid0(VALU_DEP_3)
	v_and_b32_e32 v6, 0xff, v7
.LBB463_79:
	s_or_b32 exec_lo, exec_lo, s5
	v_cmp_gt_u32_e32 vcc_lo, 6, v8
	v_add_nc_u32_e32 v10, 2, v8
	s_mov_b32 s5, exec_lo
	s_waitcnt lgkmcnt(2)
	v_cndmask_b32_e64 v3, 0, 1, vcc_lo
	s_delay_alu instid0(VALU_DEP_1) | instskip(SKIP_1) | instid1(VALU_DEP_1)
	v_lshlrev_b32_e32 v3, 1, v3
	s_waitcnt lgkmcnt(0)
	v_add_lshl_u32 v4, v3, v5, 2
	ds_bpermute_b32 v9, v4, v6
	ds_bpermute_b32 v3, v4, v1
	;; [unrolled: 1-line block ×3, first 2 shown]
	v_cmpx_gt_u32_e64 s3, v10
	s_cbranch_execz .LBB463_81
; %bb.80:
	s_waitcnt lgkmcnt(2)
	v_and_b32_e32 v6, 1, v9
	s_waitcnt lgkmcnt(0)
	v_cmp_lt_i64_e32 vcc_lo, v[3:4], v[1:2]
	s_delay_alu instid0(VALU_DEP_2) | instskip(SKIP_1) | instid1(VALU_DEP_2)
	v_cmp_eq_u32_e64 s2, 1, v6
	v_and_b32_e32 v6, 1, v7
	v_cndmask_b32_e64 v7, v7, 1, s2
	s_and_b32 vcc_lo, s2, vcc_lo
	s_delay_alu instid0(VALU_DEP_2) | instskip(SKIP_1) | instid1(VALU_DEP_2)
	v_cmp_eq_u32_e64 s2, 1, v6
	v_dual_cndmask_b32 v1, v1, v3 :: v_dual_cndmask_b32 v2, v2, v4
	v_cndmask_b32_e64 v7, v9, v7, s2
	s_delay_alu instid0(VALU_DEP_2) | instskip(NEXT) | instid1(VALU_DEP_3)
	v_cndmask_b32_e64 v1, v3, v1, s2
	v_cndmask_b32_e64 v2, v4, v2, s2
	s_delay_alu instid0(VALU_DEP_3)
	v_and_b32_e32 v6, 0xff, v7
.LBB463_81:
	s_or_b32 exec_lo, exec_lo, s5
	v_cmp_gt_u32_e32 vcc_lo, 4, v8
	v_add_nc_u32_e32 v8, 4, v8
	s_waitcnt lgkmcnt(1)
	v_cndmask_b32_e64 v3, 0, 1, vcc_lo
	s_delay_alu instid0(VALU_DEP_2) | instskip(NEXT) | instid1(VALU_DEP_2)
	v_cmp_gt_u32_e32 vcc_lo, s3, v8
	v_lshlrev_b32_e32 v3, 2, v3
	s_waitcnt lgkmcnt(0)
	s_delay_alu instid0(VALU_DEP_1)
	v_add_lshl_u32 v4, v3, v5, 2
	ds_bpermute_b32 v5, v4, v6
	ds_bpermute_b32 v3, v4, v1
	;; [unrolled: 1-line block ×3, first 2 shown]
	s_and_saveexec_b32 s3, vcc_lo
	s_cbranch_execz .LBB463_83
; %bb.82:
	s_waitcnt lgkmcnt(2)
	v_and_b32_e32 v6, 1, v5
	s_waitcnt lgkmcnt(0)
	v_cmp_lt_i64_e32 vcc_lo, v[3:4], v[1:2]
	s_delay_alu instid0(VALU_DEP_2) | instskip(SKIP_1) | instid1(VALU_DEP_2)
	v_cmp_eq_u32_e64 s2, 1, v6
	v_and_b32_e32 v6, 1, v7
	v_cndmask_b32_e64 v7, v7, 1, s2
	s_and_b32 vcc_lo, s2, vcc_lo
	s_delay_alu instid0(VALU_DEP_2) | instskip(SKIP_1) | instid1(VALU_DEP_2)
	v_cmp_eq_u32_e64 s2, 1, v6
	v_dual_cndmask_b32 v1, v1, v3 :: v_dual_cndmask_b32 v2, v2, v4
	v_cndmask_b32_e64 v5, v5, v7, s2
	s_delay_alu instid0(VALU_DEP_2) | instskip(NEXT) | instid1(VALU_DEP_3)
	v_cndmask_b32_e64 v1, v3, v1, s2
	v_cndmask_b32_e64 v2, v4, v2, s2
	s_delay_alu instid0(VALU_DEP_3)
	v_and_b32_e32 v6, 0xff, v5
.LBB463_83:
	s_or_b32 exec_lo, exec_lo, s3
.LBB463_84:
	s_delay_alu instid0(SALU_CYCLE_1)
	s_or_b32 exec_lo, exec_lo, s4
.LBB463_85:
	s_mov_b32 s26, 0
                                        ; implicit-def: $vgpr3_vgpr4
                                        ; implicit-def: $vgpr5
	s_mov_b32 s2, exec_lo
	v_cmpx_eq_u32_e32 0, v0
	s_xor_b32 s4, exec_lo, s2
	s_cbranch_execz .LBB463_89
; %bb.86:
	s_waitcnt lgkmcnt(0)
	v_dual_mov_b32 v3, s20 :: v_dual_mov_b32 v4, s21
	v_mov_b32_e32 v5, s24
	s_cmp_eq_u64 s[14:15], 0
	s_cbranch_scc1 .LBB463_88
; %bb.87:
	v_and_b32_e32 v3, 1, v6
	v_cmp_gt_i64_e32 vcc_lo, s[20:21], v[1:2]
	s_bitcmp1_b32 s24, 0
	s_cselect_b32 s3, -1, 0
	s_delay_alu instid0(VALU_DEP_2) | instskip(NEXT) | instid1(VALU_DEP_1)
	v_cmp_eq_u32_e64 s2, 1, v3
	s_and_b32 vcc_lo, s2, vcc_lo
	v_cndmask_b32_e64 v3, s24, 1, s2
	v_cndmask_b32_e32 v7, s20, v1, vcc_lo
	v_cndmask_b32_e32 v4, s21, v2, vcc_lo
	s_delay_alu instid0(VALU_DEP_3) | instskip(NEXT) | instid1(VALU_DEP_3)
	v_cndmask_b32_e64 v5, v6, v3, s3
	v_cndmask_b32_e64 v3, v1, v7, s3
	s_delay_alu instid0(VALU_DEP_3)
	v_cndmask_b32_e64 v4, v2, v4, s3
.LBB463_88:
	s_mov_b32 s26, exec_lo
.LBB463_89:
	s_or_b32 exec_lo, exec_lo, s4
	s_delay_alu instid0(SALU_CYCLE_1)
	s_and_b32 vcc_lo, exec_lo, s27
	s_cbranch_vccnz .LBB463_22
.LBB463_90:
	s_branch .LBB463_200
.LBB463_91:
                                        ; implicit-def: $vgpr1_vgpr2
                                        ; implicit-def: $vgpr6
	s_cbranch_execz .LBB463_124
; %bb.92:
	s_waitcnt lgkmcnt(2)
	v_mov_b32_e32 v5, 0
	v_dual_mov_b32 v6, 0 :: v_dual_mov_b32 v11, 0
	s_delay_alu instid0(VALU_DEP_2) | instskip(SKIP_2) | instid1(VALU_DEP_3)
	v_mov_b32_e32 v1, v5
	v_mov_b32_e32 v9, 0
	s_sub_i32 s22, s14, s22
	v_mov_b32_e32 v2, v6
	s_mov_b32 s2, exec_lo
	v_cmpx_gt_u32_e64 s22, v0
	s_cbranch_execz .LBB463_94
; %bb.93:
	v_lshlrev_b32_e32 v1, 2, v0
	s_waitcnt lgkmcnt(1)
	global_load_b32 v3, v1, s[6:7]
	s_waitcnt lgkmcnt(0)
	global_load_b32 v4, v1, s[8:9]
	v_add_co_u32 v1, s3, s5, v0
	s_delay_alu instid0(VALU_DEP_1)
	v_add_co_ci_u32_e64 v2, null, s23, 0, s3
	s_waitcnt vmcnt(0)
	v_cmp_neq_f32_e32 vcc_lo, v3, v4
	v_cndmask_b32_e64 v9, 0, 1, vcc_lo
.LBB463_94:
	s_or_b32 exec_lo, exec_lo, s2
	s_waitcnt lgkmcnt(1)
	v_or_b32_e32 v3, 0x100, v0
	s_delay_alu instid0(VALU_DEP_1) | instskip(NEXT) | instid1(VALU_DEP_1)
	v_cmp_gt_u32_e64 s3, s22, v3
	s_and_saveexec_b32 s2, s3
	s_cbranch_execz .LBB463_96
; %bb.95:
	s_waitcnt lgkmcnt(0)
	v_lshlrev_b32_e32 v4, 2, v0
	v_add_co_u32 v5, s4, s5, v3
	s_delay_alu instid0(VALU_DEP_1)
	v_add_co_ci_u32_e64 v6, null, s23, 0, s4
	s_clause 0x1
	global_load_b32 v7, v4, s[6:7] offset:1024
	global_load_b32 v4, v4, s[8:9] offset:1024
	s_waitcnt vmcnt(0)
	v_cmp_neq_f32_e32 vcc_lo, v7, v4
	v_cndmask_b32_e64 v11, 0, 1, vcc_lo
.LBB463_96:
	s_or_b32 exec_lo, exec_lo, s2
	s_waitcnt lgkmcnt(0)
	v_dual_mov_b32 v3, 0 :: v_dual_mov_b32 v10, 0
	v_mov_b32_e32 v4, 0
	v_or_b32_e32 v13, 0x200, v0
	v_mov_b32_e32 v12, 0
	s_delay_alu instid0(VALU_DEP_3) | instskip(NEXT) | instid1(VALU_DEP_3)
	v_dual_mov_b32 v8, v4 :: v_dual_mov_b32 v7, v3
	v_cmp_gt_u32_e64 s2, s22, v13
	s_delay_alu instid0(VALU_DEP_1)
	s_and_saveexec_b32 s4, s2
	s_cbranch_execz .LBB463_98
; %bb.97:
	v_lshlrev_b32_e32 v7, 2, v0
	s_clause 0x1
	global_load_b32 v12, v7, s[6:7] offset:2048
	global_load_b32 v14, v7, s[8:9] offset:2048
	v_add_co_u32 v7, s27, s5, v13
	s_delay_alu instid0(VALU_DEP_1)
	v_add_co_ci_u32_e64 v8, null, s23, 0, s27
	s_waitcnt vmcnt(0)
	v_cmp_neq_f32_e32 vcc_lo, v12, v14
	v_cndmask_b32_e64 v12, 0, 1, vcc_lo
.LBB463_98:
	s_or_b32 exec_lo, exec_lo, s4
	v_or_b32_e32 v13, 0x300, v0
	s_delay_alu instid0(VALU_DEP_1)
	v_cmp_gt_u32_e32 vcc_lo, s22, v13
	s_and_saveexec_b32 s27, vcc_lo
	s_cbranch_execnz .LBB463_239
; %bb.99:
	s_or_b32 exec_lo, exec_lo, s27
	s_and_saveexec_b32 s5, s3
	s_cbranch_execnz .LBB463_240
.LBB463_100:
	s_or_b32 exec_lo, exec_lo, s5
	s_and_saveexec_b32 s4, s2
	s_cbranch_execnz .LBB463_241
.LBB463_101:
	s_or_b32 exec_lo, exec_lo, s4
	s_and_saveexec_b32 s3, vcc_lo
.LBB463_102:
	v_and_b32_e32 v5, 1, v10
	v_cmp_lt_i64_e32 vcc_lo, v[3:4], v[1:2]
	s_delay_alu instid0(VALU_DEP_2) | instskip(NEXT) | instid1(VALU_DEP_1)
	v_cmp_eq_u32_e64 s2, 1, v5
	s_and_b32 vcc_lo, s2, vcc_lo
	v_cndmask_b32_e64 v6, v9, 1, s2
	v_dual_cndmask_b32 v2, v2, v4 :: v_dual_and_b32 v5, 1, v9
	v_cndmask_b32_e32 v1, v1, v3, vcc_lo
	s_delay_alu instid0(VALU_DEP_2) | instskip(NEXT) | instid1(VALU_DEP_3)
	v_cmp_eq_u32_e32 vcc_lo, 1, v5
	v_cndmask_b32_e32 v2, v4, v2, vcc_lo
	v_cndmask_b32_e32 v9, v10, v6, vcc_lo
	s_delay_alu instid0(VALU_DEP_4)
	v_cndmask_b32_e32 v1, v3, v1, vcc_lo
.LBB463_103:
	s_or_b32 exec_lo, exec_lo, s3
	v_mbcnt_lo_u32_b32 v5, -1, 0
	v_and_b32_e32 v7, 0xe0, v0
	s_min_u32 s3, s22, 0x100
	v_and_b32_e32 v6, 0xffff, v9
	s_delay_alu instid0(VALU_DEP_3) | instskip(NEXT) | instid1(VALU_DEP_3)
	v_cmp_ne_u32_e32 vcc_lo, 31, v5
	v_sub_nc_u32_e64 v8, s3, v7 clamp
	v_add_nc_u32_e32 v7, 1, v5
	v_add_co_ci_u32_e32 v3, vcc_lo, 0, v5, vcc_lo
	s_delay_alu instid0(VALU_DEP_2) | instskip(NEXT) | instid1(VALU_DEP_2)
	v_cmp_lt_u32_e32 vcc_lo, v7, v8
	v_dual_mov_b32 v7, v6 :: v_dual_lshlrev_b32 v4, 2, v3
	ds_bpermute_b32 v10, v4, v6
	ds_bpermute_b32 v3, v4, v1
	;; [unrolled: 1-line block ×3, first 2 shown]
	s_and_saveexec_b32 s2, vcc_lo
	s_delay_alu instid0(SALU_CYCLE_1)
	s_xor_b32 s4, exec_lo, s2
	s_cbranch_execz .LBB463_105
; %bb.104:
	s_waitcnt lgkmcnt(2)
	v_and_b32_e32 v7, 1, v10
	s_waitcnt lgkmcnt(0)
	v_cmp_lt_i64_e32 vcc_lo, v[3:4], v[1:2]
	s_delay_alu instid0(VALU_DEP_2) | instskip(SKIP_1) | instid1(VALU_DEP_2)
	v_cmp_eq_u32_e64 s2, 1, v7
	v_and_b32_e32 v7, 1, v9
	v_cndmask_b32_e64 v6, v6, 1, s2
	s_and_b32 vcc_lo, s2, vcc_lo
	s_delay_alu instid0(VALU_DEP_2) | instskip(SKIP_1) | instid1(VALU_DEP_2)
	v_cmp_eq_u32_e64 s2, 1, v7
	v_dual_cndmask_b32 v2, v2, v4 :: v_dual_cndmask_b32 v1, v1, v3
	v_cndmask_b32_e64 v7, v10, v6, s2
	s_delay_alu instid0(VALU_DEP_2) | instskip(NEXT) | instid1(VALU_DEP_3)
	v_cndmask_b32_e64 v2, v4, v2, s2
	v_cndmask_b32_e64 v1, v3, v1, s2
	s_delay_alu instid0(VALU_DEP_3)
	v_and_b32_e32 v6, 0xff, v7
.LBB463_105:
	s_or_b32 exec_lo, exec_lo, s4
	v_cmp_gt_u32_e32 vcc_lo, 30, v5
	s_waitcnt lgkmcnt(2)
	v_add_nc_u32_e32 v10, 2, v5
	s_mov_b32 s4, exec_lo
	s_waitcnt lgkmcnt(1)
	v_cndmask_b32_e64 v3, 0, 1, vcc_lo
	s_delay_alu instid0(VALU_DEP_1) | instskip(SKIP_1) | instid1(VALU_DEP_1)
	v_lshlrev_b32_e32 v3, 1, v3
	s_waitcnt lgkmcnt(0)
	v_add_lshl_u32 v4, v3, v5, 2
	ds_bpermute_b32 v9, v4, v6
	ds_bpermute_b32 v3, v4, v1
	ds_bpermute_b32 v4, v4, v2
	v_cmpx_lt_u32_e64 v10, v8
	s_cbranch_execz .LBB463_107
; %bb.106:
	s_waitcnt lgkmcnt(2)
	v_and_b32_e32 v6, 1, v9
	s_waitcnt lgkmcnt(0)
	v_cmp_lt_i64_e32 vcc_lo, v[3:4], v[1:2]
	s_delay_alu instid0(VALU_DEP_2) | instskip(SKIP_1) | instid1(VALU_DEP_2)
	v_cmp_eq_u32_e64 s2, 1, v6
	v_and_b32_e32 v6, 1, v7
	v_cndmask_b32_e64 v7, v7, 1, s2
	s_and_b32 vcc_lo, s2, vcc_lo
	s_delay_alu instid0(VALU_DEP_2) | instskip(SKIP_1) | instid1(VALU_DEP_2)
	v_cmp_eq_u32_e64 s2, 1, v6
	v_dual_cndmask_b32 v1, v1, v3 :: v_dual_cndmask_b32 v2, v2, v4
	v_cndmask_b32_e64 v7, v9, v7, s2
	s_delay_alu instid0(VALU_DEP_2) | instskip(NEXT) | instid1(VALU_DEP_3)
	v_cndmask_b32_e64 v1, v3, v1, s2
	v_cndmask_b32_e64 v2, v4, v2, s2
	s_delay_alu instid0(VALU_DEP_3)
	v_and_b32_e32 v6, 0xff, v7
.LBB463_107:
	s_or_b32 exec_lo, exec_lo, s4
	v_cmp_gt_u32_e32 vcc_lo, 28, v5
	v_add_nc_u32_e32 v10, 4, v5
	s_mov_b32 s4, exec_lo
	s_waitcnt lgkmcnt(1)
	v_cndmask_b32_e64 v3, 0, 1, vcc_lo
	s_delay_alu instid0(VALU_DEP_1) | instskip(SKIP_1) | instid1(VALU_DEP_1)
	v_lshlrev_b32_e32 v3, 2, v3
	s_waitcnt lgkmcnt(0)
	v_add_lshl_u32 v4, v3, v5, 2
	ds_bpermute_b32 v9, v4, v6
	ds_bpermute_b32 v3, v4, v1
	ds_bpermute_b32 v4, v4, v2
	v_cmpx_lt_u32_e64 v10, v8
	s_cbranch_execz .LBB463_109
; %bb.108:
	s_waitcnt lgkmcnt(2)
	v_and_b32_e32 v6, 1, v9
	s_waitcnt lgkmcnt(0)
	v_cmp_lt_i64_e32 vcc_lo, v[3:4], v[1:2]
	s_delay_alu instid0(VALU_DEP_2) | instskip(SKIP_1) | instid1(VALU_DEP_2)
	v_cmp_eq_u32_e64 s2, 1, v6
	v_and_b32_e32 v6, 1, v7
	v_cndmask_b32_e64 v7, v7, 1, s2
	s_and_b32 vcc_lo, s2, vcc_lo
	s_delay_alu instid0(VALU_DEP_2) | instskip(SKIP_1) | instid1(VALU_DEP_2)
	v_cmp_eq_u32_e64 s2, 1, v6
	v_dual_cndmask_b32 v1, v1, v3 :: v_dual_cndmask_b32 v2, v2, v4
	v_cndmask_b32_e64 v7, v9, v7, s2
	s_delay_alu instid0(VALU_DEP_2) | instskip(NEXT) | instid1(VALU_DEP_3)
	v_cndmask_b32_e64 v1, v3, v1, s2
	v_cndmask_b32_e64 v2, v4, v2, s2
	s_delay_alu instid0(VALU_DEP_3)
	v_and_b32_e32 v6, 0xff, v7
.LBB463_109:
	s_or_b32 exec_lo, exec_lo, s4
	v_cmp_gt_u32_e32 vcc_lo, 24, v5
	;; [unrolled: 35-line block ×3, first 2 shown]
	v_add_nc_u32_e32 v10, 16, v5
	s_mov_b32 s4, exec_lo
	s_waitcnt lgkmcnt(1)
	v_cndmask_b32_e64 v3, 0, 1, vcc_lo
	s_delay_alu instid0(VALU_DEP_1) | instskip(SKIP_1) | instid1(VALU_DEP_1)
	v_lshlrev_b32_e32 v3, 4, v3
	s_waitcnt lgkmcnt(0)
	v_add_lshl_u32 v4, v3, v5, 2
	ds_bpermute_b32 v9, v4, v6
	ds_bpermute_b32 v3, v4, v1
	;; [unrolled: 1-line block ×3, first 2 shown]
	v_cmpx_lt_u32_e64 v10, v8
	s_cbranch_execz .LBB463_113
; %bb.112:
	s_waitcnt lgkmcnt(2)
	v_and_b32_e32 v6, 1, v9
	s_waitcnt lgkmcnt(0)
	v_cmp_lt_i64_e32 vcc_lo, v[3:4], v[1:2]
	s_delay_alu instid0(VALU_DEP_2) | instskip(SKIP_1) | instid1(VALU_DEP_2)
	v_cmp_eq_u32_e64 s2, 1, v6
	v_and_b32_e32 v6, 1, v7
	v_cndmask_b32_e64 v7, v7, 1, s2
	s_and_b32 vcc_lo, s2, vcc_lo
	s_delay_alu instid0(VALU_DEP_2) | instskip(SKIP_1) | instid1(VALU_DEP_2)
	v_cmp_eq_u32_e64 s2, 1, v6
	v_dual_cndmask_b32 v1, v1, v3 :: v_dual_cndmask_b32 v2, v2, v4
	v_cndmask_b32_e64 v7, v9, v7, s2
	s_delay_alu instid0(VALU_DEP_2) | instskip(NEXT) | instid1(VALU_DEP_3)
	v_cndmask_b32_e64 v1, v3, v1, s2
	v_cndmask_b32_e64 v2, v4, v2, s2
	s_delay_alu instid0(VALU_DEP_3)
	v_and_b32_e32 v6, 0xff, v7
.LBB463_113:
	s_or_b32 exec_lo, exec_lo, s4
	s_delay_alu instid0(SALU_CYCLE_1)
	s_mov_b32 s2, exec_lo
	v_cmpx_eq_u32_e32 0, v5
	s_cbranch_execz .LBB463_115
; %bb.114:
	s_waitcnt lgkmcnt(1)
	v_lshrrev_b32_e32 v3, 1, v0
	s_delay_alu instid0(VALU_DEP_1)
	v_and_b32_e32 v3, 0x70, v3
	ds_store_b8 v3, v7 offset:512
	ds_store_b64 v3, v[1:2] offset:520
.LBB463_115:
	s_or_b32 exec_lo, exec_lo, s2
	s_delay_alu instid0(SALU_CYCLE_1)
	s_mov_b32 s4, exec_lo
	s_waitcnt lgkmcnt(0)
	s_barrier
	buffer_gl0_inv
	v_cmpx_gt_u32_e32 8, v0
	s_cbranch_execz .LBB463_123
; %bb.116:
	v_lshlrev_b32_e32 v1, 4, v5
	v_and_b32_e32 v8, 7, v5
	s_add_i32 s3, s3, 31
	s_mov_b32 s5, exec_lo
	s_lshr_b32 s3, s3, 5
	ds_load_u8 v7, v1 offset:512
	ds_load_b64 v[1:2], v1 offset:520
	v_cmp_ne_u32_e32 vcc_lo, 7, v8
	v_add_nc_u32_e32 v10, 1, v8
	v_add_co_ci_u32_e32 v3, vcc_lo, 0, v5, vcc_lo
	s_delay_alu instid0(VALU_DEP_1)
	v_lshlrev_b32_e32 v4, 2, v3
	s_waitcnt lgkmcnt(1)
	v_and_b32_e32 v6, 0xff, v7
	s_waitcnt lgkmcnt(0)
	ds_bpermute_b32 v3, v4, v1
	ds_bpermute_b32 v9, v4, v6
	;; [unrolled: 1-line block ×3, first 2 shown]
	v_cmpx_gt_u32_e64 s3, v10
	s_cbranch_execz .LBB463_118
; %bb.117:
	s_waitcnt lgkmcnt(1)
	v_and_b32_e32 v6, 1, v9
	s_waitcnt lgkmcnt(0)
	v_cmp_lt_i64_e32 vcc_lo, v[3:4], v[1:2]
	s_delay_alu instid0(VALU_DEP_2) | instskip(SKIP_1) | instid1(VALU_DEP_2)
	v_cmp_eq_u32_e64 s2, 1, v6
	v_and_b32_e32 v6, 1, v7
	v_cndmask_b32_e64 v7, v7, 1, s2
	s_and_b32 vcc_lo, s2, vcc_lo
	s_delay_alu instid0(VALU_DEP_2) | instskip(SKIP_1) | instid1(VALU_DEP_2)
	v_cmp_eq_u32_e64 s2, 1, v6
	v_dual_cndmask_b32 v1, v1, v3 :: v_dual_cndmask_b32 v2, v2, v4
	v_cndmask_b32_e64 v7, v9, v7, s2
	s_delay_alu instid0(VALU_DEP_2) | instskip(NEXT) | instid1(VALU_DEP_3)
	v_cndmask_b32_e64 v1, v3, v1, s2
	v_cndmask_b32_e64 v2, v4, v2, s2
	s_delay_alu instid0(VALU_DEP_3)
	v_and_b32_e32 v6, 0xff, v7
.LBB463_118:
	s_or_b32 exec_lo, exec_lo, s5
	v_cmp_gt_u32_e32 vcc_lo, 6, v8
	v_add_nc_u32_e32 v10, 2, v8
	s_mov_b32 s5, exec_lo
	s_waitcnt lgkmcnt(2)
	v_cndmask_b32_e64 v3, 0, 1, vcc_lo
	s_delay_alu instid0(VALU_DEP_1) | instskip(SKIP_1) | instid1(VALU_DEP_1)
	v_lshlrev_b32_e32 v3, 1, v3
	s_waitcnt lgkmcnt(0)
	v_add_lshl_u32 v4, v3, v5, 2
	ds_bpermute_b32 v9, v4, v6
	ds_bpermute_b32 v3, v4, v1
	;; [unrolled: 1-line block ×3, first 2 shown]
	v_cmpx_gt_u32_e64 s3, v10
	s_cbranch_execz .LBB463_120
; %bb.119:
	s_waitcnt lgkmcnt(2)
	v_and_b32_e32 v6, 1, v9
	s_waitcnt lgkmcnt(0)
	v_cmp_lt_i64_e32 vcc_lo, v[3:4], v[1:2]
	s_delay_alu instid0(VALU_DEP_2) | instskip(SKIP_1) | instid1(VALU_DEP_2)
	v_cmp_eq_u32_e64 s2, 1, v6
	v_and_b32_e32 v6, 1, v7
	v_cndmask_b32_e64 v7, v7, 1, s2
	s_and_b32 vcc_lo, s2, vcc_lo
	s_delay_alu instid0(VALU_DEP_2) | instskip(SKIP_1) | instid1(VALU_DEP_2)
	v_cmp_eq_u32_e64 s2, 1, v6
	v_dual_cndmask_b32 v1, v1, v3 :: v_dual_cndmask_b32 v2, v2, v4
	v_cndmask_b32_e64 v7, v9, v7, s2
	s_delay_alu instid0(VALU_DEP_2) | instskip(NEXT) | instid1(VALU_DEP_3)
	v_cndmask_b32_e64 v1, v3, v1, s2
	v_cndmask_b32_e64 v2, v4, v2, s2
	s_delay_alu instid0(VALU_DEP_3)
	v_and_b32_e32 v6, 0xff, v7
.LBB463_120:
	s_or_b32 exec_lo, exec_lo, s5
	v_cmp_gt_u32_e32 vcc_lo, 4, v8
	v_add_nc_u32_e32 v8, 4, v8
	s_waitcnt lgkmcnt(1)
	v_cndmask_b32_e64 v3, 0, 1, vcc_lo
	s_delay_alu instid0(VALU_DEP_2) | instskip(NEXT) | instid1(VALU_DEP_2)
	v_cmp_gt_u32_e32 vcc_lo, s3, v8
	v_lshlrev_b32_e32 v3, 2, v3
	s_waitcnt lgkmcnt(0)
	s_delay_alu instid0(VALU_DEP_1)
	v_add_lshl_u32 v4, v3, v5, 2
	ds_bpermute_b32 v5, v4, v6
	ds_bpermute_b32 v3, v4, v1
	;; [unrolled: 1-line block ×3, first 2 shown]
	s_and_saveexec_b32 s3, vcc_lo
	s_cbranch_execz .LBB463_122
; %bb.121:
	s_waitcnt lgkmcnt(2)
	v_and_b32_e32 v6, 1, v5
	s_waitcnt lgkmcnt(0)
	v_cmp_lt_i64_e32 vcc_lo, v[3:4], v[1:2]
	s_delay_alu instid0(VALU_DEP_2) | instskip(SKIP_1) | instid1(VALU_DEP_2)
	v_cmp_eq_u32_e64 s2, 1, v6
	v_and_b32_e32 v6, 1, v7
	v_cndmask_b32_e64 v7, v7, 1, s2
	s_and_b32 vcc_lo, s2, vcc_lo
	s_delay_alu instid0(VALU_DEP_2) | instskip(SKIP_1) | instid1(VALU_DEP_2)
	v_cmp_eq_u32_e64 s2, 1, v6
	v_dual_cndmask_b32 v1, v1, v3 :: v_dual_cndmask_b32 v2, v2, v4
	v_cndmask_b32_e64 v5, v5, v7, s2
	s_delay_alu instid0(VALU_DEP_2) | instskip(NEXT) | instid1(VALU_DEP_3)
	v_cndmask_b32_e64 v1, v3, v1, s2
	v_cndmask_b32_e64 v2, v4, v2, s2
	s_delay_alu instid0(VALU_DEP_3)
	v_and_b32_e32 v6, 0xff, v5
.LBB463_122:
	s_or_b32 exec_lo, exec_lo, s3
.LBB463_123:
	s_delay_alu instid0(SALU_CYCLE_1)
	s_or_b32 exec_lo, exec_lo, s4
.LBB463_124:
                                        ; implicit-def: $vgpr3_vgpr4
                                        ; implicit-def: $vgpr5
	s_delay_alu instid0(SALU_CYCLE_1)
	s_mov_b32 s2, exec_lo
	v_cmpx_eq_u32_e32 0, v0
	s_xor_b32 s4, exec_lo, s2
	s_cbranch_execz .LBB463_128
; %bb.125:
	s_waitcnt lgkmcnt(0)
	v_dual_mov_b32 v3, s20 :: v_dual_mov_b32 v4, s21
	v_mov_b32_e32 v5, s24
	s_cmp_eq_u64 s[14:15], 0
	s_cbranch_scc1 .LBB463_127
; %bb.126:
	v_and_b32_e32 v3, 1, v6
	v_cmp_gt_i64_e32 vcc_lo, s[20:21], v[1:2]
	s_bitcmp1_b32 s24, 0
	s_cselect_b32 s3, -1, 0
	s_delay_alu instid0(VALU_DEP_2) | instskip(NEXT) | instid1(VALU_DEP_1)
	v_cmp_eq_u32_e64 s2, 1, v3
	s_and_b32 vcc_lo, s2, vcc_lo
	v_cndmask_b32_e64 v3, s24, 1, s2
	v_cndmask_b32_e32 v7, s20, v1, vcc_lo
	v_cndmask_b32_e32 v4, s21, v2, vcc_lo
	s_delay_alu instid0(VALU_DEP_3) | instskip(NEXT) | instid1(VALU_DEP_3)
	v_cndmask_b32_e64 v5, v6, v3, s3
	v_cndmask_b32_e64 v3, v1, v7, s3
	s_delay_alu instid0(VALU_DEP_3)
	v_cndmask_b32_e64 v4, v2, v4, s3
.LBB463_127:
	s_or_b32 s26, s26, exec_lo
.LBB463_128:
	s_or_b32 exec_lo, exec_lo, s4
	s_branch .LBB463_200
.LBB463_129:
	s_cmp_gt_i32 s25, 1
	s_cbranch_scc0 .LBB463_147
; %bb.130:
	s_cmp_eq_u32 s25, 2
	s_cbranch_scc0 .LBB463_148
; %bb.131:
	s_mov_b32 s11, 0
	s_lshl_b32 s8, s10, 9
	s_mov_b32 s9, s11
	s_lshr_b64 s[28:29], s[14:15], 9
	s_lshl_b64 s[2:3], s[8:9], 2
	s_delay_alu instid0(SALU_CYCLE_1)
	s_add_u32 s4, s16, s2
	s_addc_u32 s5, s17, s3
	s_add_u32 s6, s18, s2
	s_addc_u32 s7, s19, s3
	;; [unrolled: 2-line block ×3, first 2 shown]
	s_cmp_lg_u64 s[28:29], s[10:11]
	s_cbranch_scc0 .LBB463_149
; %bb.132:
	v_lshlrev_b32_e32 v1, 2, v0
	v_add_co_u32 v7, s2, s9, v0
	s_waitcnt lgkmcnt(2)
	v_add_co_ci_u32_e64 v5, null, s22, 0, s2
	global_load_b32 v2, v1, s[6:7] offset:1024
	s_waitcnt lgkmcnt(1)
	global_load_b32 v3, v1, s[6:7]
	s_waitcnt lgkmcnt(0)
	s_clause 0x1
	global_load_b32 v4, v1, s[4:5] offset:1024
	global_load_b32 v1, v1, s[4:5]
	v_add_co_u32 v8, vcc_lo, 0x100, v7
	v_add_co_ci_u32_e32 v6, vcc_lo, 0, v5, vcc_lo
	s_mov_b32 s23, exec_lo
	s_waitcnt vmcnt(1)
	v_cmp_neq_f32_e32 vcc_lo, v4, v2
	s_waitcnt vmcnt(0)
	v_cmp_neq_f32_e64 s2, v1, v3
	s_delay_alu instid0(VALU_DEP_1) | instskip(SKIP_3) | instid1(VALU_DEP_3)
	s_or_b32 s3, s2, vcc_lo
	v_cndmask_b32_e64 v2, v6, v5, s2
	v_cndmask_b32_e64 v5, 0, 1, s3
	;; [unrolled: 1-line block ×3, first 2 shown]
	v_mov_b32_dpp v4, v2 quad_perm:[1,0,3,2] row_mask:0xf bank_mask:0xf
	s_delay_alu instid0(VALU_DEP_3) | instskip(NEXT) | instid1(VALU_DEP_3)
	v_mov_b32_dpp v6, v5 quad_perm:[1,0,3,2] row_mask:0xf bank_mask:0xf
	v_mov_b32_dpp v3, v1 quad_perm:[1,0,3,2] row_mask:0xf bank_mask:0xf
	s_delay_alu instid0(VALU_DEP_2) | instskip(NEXT) | instid1(VALU_DEP_1)
	v_and_b32_e32 v7, 1, v6
	v_cmpx_eq_u32_e32 1, v7
; %bb.133:
	v_cndmask_b32_e64 v5, v6, 1, s3
	s_delay_alu instid0(VALU_DEP_4) | instskip(NEXT) | instid1(VALU_DEP_2)
	v_cmp_lt_i64_e32 vcc_lo, v[1:2], v[3:4]
	v_and_b32_e32 v6, 1, v5
	v_and_b32_e32 v5, 0xff, v5
	s_and_b32 vcc_lo, s3, vcc_lo
	s_and_not1_b32 s3, s3, exec_lo
	v_dual_cndmask_b32 v2, v4, v2 :: v_dual_cndmask_b32 v1, v3, v1
	v_cmp_eq_u32_e64 s2, 1, v6
	s_delay_alu instid0(VALU_DEP_1) | instskip(NEXT) | instid1(SALU_CYCLE_1)
	s_and_b32 s2, s2, exec_lo
	s_or_b32 s3, s3, s2
; %bb.134:
	s_or_b32 exec_lo, exec_lo, s23
	v_mov_b32_dpp v6, v5 quad_perm:[2,3,0,1] row_mask:0xf bank_mask:0xf
	v_mov_b32_dpp v3, v1 quad_perm:[2,3,0,1] row_mask:0xf bank_mask:0xf
	;; [unrolled: 1-line block ×3, first 2 shown]
	s_mov_b32 s23, exec_lo
	s_delay_alu instid0(VALU_DEP_3) | instskip(NEXT) | instid1(VALU_DEP_1)
	v_and_b32_e32 v7, 1, v6
	v_cmpx_eq_u32_e32 1, v7
; %bb.135:
	v_cndmask_b32_e64 v5, v6, 1, s3
	v_cmp_lt_i64_e32 vcc_lo, v[1:2], v[3:4]
	s_delay_alu instid0(VALU_DEP_2)
	v_and_b32_e32 v6, 1, v5
	v_and_b32_e32 v5, 0xff, v5
	s_and_b32 vcc_lo, s3, vcc_lo
	s_and_not1_b32 s3, s3, exec_lo
	v_dual_cndmask_b32 v2, v4, v2 :: v_dual_cndmask_b32 v1, v3, v1
	v_cmp_eq_u32_e64 s2, 1, v6
	s_delay_alu instid0(VALU_DEP_1) | instskip(NEXT) | instid1(SALU_CYCLE_1)
	s_and_b32 s2, s2, exec_lo
	s_or_b32 s3, s3, s2
; %bb.136:
	s_or_b32 exec_lo, exec_lo, s23
	v_mov_b32_dpp v6, v5 row_ror:4 row_mask:0xf bank_mask:0xf
	v_mov_b32_dpp v3, v1 row_ror:4 row_mask:0xf bank_mask:0xf
	;; [unrolled: 1-line block ×3, first 2 shown]
	s_mov_b32 s23, exec_lo
	s_delay_alu instid0(VALU_DEP_3) | instskip(NEXT) | instid1(VALU_DEP_1)
	v_and_b32_e32 v7, 1, v6
	v_cmpx_eq_u32_e32 1, v7
; %bb.137:
	v_cndmask_b32_e64 v5, v6, 1, s3
	v_cmp_lt_i64_e32 vcc_lo, v[1:2], v[3:4]
	s_delay_alu instid0(VALU_DEP_2)
	v_and_b32_e32 v6, 1, v5
	v_and_b32_e32 v5, 0xff, v5
	s_and_b32 vcc_lo, s3, vcc_lo
	s_and_not1_b32 s3, s3, exec_lo
	v_dual_cndmask_b32 v2, v4, v2 :: v_dual_cndmask_b32 v1, v3, v1
	v_cmp_eq_u32_e64 s2, 1, v6
	s_delay_alu instid0(VALU_DEP_1) | instskip(NEXT) | instid1(SALU_CYCLE_1)
	s_and_b32 s2, s2, exec_lo
	s_or_b32 s3, s3, s2
; %bb.138:
	s_or_b32 exec_lo, exec_lo, s23
	v_mov_b32_dpp v6, v5 row_ror:8 row_mask:0xf bank_mask:0xf
	v_mov_b32_dpp v3, v1 row_ror:8 row_mask:0xf bank_mask:0xf
	;; [unrolled: 1-line block ×3, first 2 shown]
	s_mov_b32 s23, exec_lo
	s_delay_alu instid0(VALU_DEP_3) | instskip(NEXT) | instid1(VALU_DEP_1)
	v_and_b32_e32 v7, 1, v6
	v_cmpx_eq_u32_e32 1, v7
; %bb.139:
	v_cndmask_b32_e64 v5, v6, 1, s3
	v_cmp_lt_i64_e32 vcc_lo, v[1:2], v[3:4]
	s_delay_alu instid0(VALU_DEP_2)
	v_and_b32_e32 v6, 1, v5
	v_and_b32_e32 v5, 0xff, v5
	s_and_b32 vcc_lo, s3, vcc_lo
	s_and_not1_b32 s3, s3, exec_lo
	v_dual_cndmask_b32 v2, v4, v2 :: v_dual_cndmask_b32 v1, v3, v1
	v_cmp_eq_u32_e64 s2, 1, v6
	s_delay_alu instid0(VALU_DEP_1) | instskip(NEXT) | instid1(SALU_CYCLE_1)
	s_and_b32 s2, s2, exec_lo
	s_or_b32 s3, s3, s2
; %bb.140:
	s_or_b32 exec_lo, exec_lo, s23
	ds_swizzle_b32 v6, v5 offset:swizzle(BROADCAST,32,15)
	ds_swizzle_b32 v3, v1 offset:swizzle(BROADCAST,32,15)
	;; [unrolled: 1-line block ×3, first 2 shown]
	s_mov_b32 s2, exec_lo
	s_waitcnt lgkmcnt(2)
	v_and_b32_e32 v7, 1, v6
	s_delay_alu instid0(VALU_DEP_1)
	v_cmpx_eq_u32_e32 1, v7
	s_cbranch_execz .LBB463_142
; %bb.141:
	s_waitcnt lgkmcnt(0)
	v_cmp_lt_i64_e32 vcc_lo, v[1:2], v[3:4]
	v_and_b32_e32 v5, 0xff, v6
	s_delay_alu instid0(VALU_DEP_1)
	v_cndmask_b32_e64 v5, v5, 1, s3
	s_and_b32 vcc_lo, s3, vcc_lo
	v_dual_cndmask_b32 v1, v3, v1 :: v_dual_cndmask_b32 v2, v4, v2
.LBB463_142:
	s_or_b32 exec_lo, exec_lo, s2
	s_waitcnt lgkmcnt(1)
	v_mov_b32_e32 v3, 0
	s_mov_b32 s2, exec_lo
	ds_bpermute_b32 v6, v3, v5 offset:124
	ds_bpermute_b32 v1, v3, v1 offset:124
	;; [unrolled: 1-line block ×3, first 2 shown]
	v_mbcnt_lo_u32_b32 v3, -1, 0
	s_delay_alu instid0(VALU_DEP_1)
	v_cmpx_eq_u32_e32 0, v3
	s_cbranch_execz .LBB463_144
; %bb.143:
	s_waitcnt lgkmcnt(3)
	v_lshrrev_b32_e32 v4, 1, v0
	s_delay_alu instid0(VALU_DEP_1)
	v_and_b32_e32 v4, 0x70, v4
	s_waitcnt lgkmcnt(2)
	ds_store_b8 v4, v6 offset:128
	s_waitcnt lgkmcnt(1)
	ds_store_b64 v4, v[1:2] offset:136
.LBB463_144:
	s_or_b32 exec_lo, exec_lo, s2
	s_delay_alu instid0(SALU_CYCLE_1)
	s_mov_b32 s23, exec_lo
	s_waitcnt lgkmcnt(0)
	s_barrier
	buffer_gl0_inv
	v_cmpx_gt_u32_e32 32, v0
	s_cbranch_execz .LBB463_146
; %bb.145:
	v_and_b32_e32 v6, 7, v3
	s_delay_alu instid0(VALU_DEP_1)
	v_lshlrev_b32_e32 v1, 4, v6
	v_cmp_ne_u32_e32 vcc_lo, 7, v6
	ds_load_u8 v7, v1 offset:128
	ds_load_b64 v[1:2], v1 offset:136
	v_add_co_ci_u32_e32 v4, vcc_lo, 0, v3, vcc_lo
	v_cmp_gt_u32_e32 vcc_lo, 6, v6
	s_delay_alu instid0(VALU_DEP_2)
	v_lshlrev_b32_e32 v5, 2, v4
	v_cndmask_b32_e64 v10, 0, 1, vcc_lo
	s_waitcnt lgkmcnt(1)
	v_and_b32_e32 v4, 0xff, v7
	v_and_b32_e32 v11, 1, v7
	ds_bpermute_b32 v8, v5, v4
	s_waitcnt lgkmcnt(1)
	ds_bpermute_b32 v4, v5, v1
	ds_bpermute_b32 v5, v5, v2
	v_cmp_eq_u32_e64 s3, 1, v11
	s_waitcnt lgkmcnt(2)
	v_and_b32_e32 v9, 1, v8
	s_waitcnt lgkmcnt(0)
	v_cmp_lt_i64_e64 s2, v[4:5], v[1:2]
	s_delay_alu instid0(VALU_DEP_2) | instskip(SKIP_2) | instid1(VALU_DEP_4)
	v_cmp_eq_u32_e32 vcc_lo, 1, v9
	v_lshlrev_b32_e32 v9, 1, v10
	v_cndmask_b32_e64 v7, v7, 1, vcc_lo
	s_and_b32 vcc_lo, vcc_lo, s2
	v_dual_cndmask_b32 v1, v1, v4 :: v_dual_cndmask_b32 v2, v2, v5
	s_delay_alu instid0(VALU_DEP_2) | instskip(SKIP_2) | instid1(VALU_DEP_4)
	v_cndmask_b32_e64 v7, v8, v7, s3
	v_add_lshl_u32 v8, v9, v3, 2
	v_cmp_gt_u32_e32 vcc_lo, 4, v6
	v_cndmask_b32_e64 v1, v4, v1, s3
	v_cndmask_b32_e64 v2, v5, v2, s3
	v_and_b32_e32 v9, 0xff, v7
	v_and_b32_e32 v10, 1, v7
	v_cndmask_b32_e64 v6, 0, 1, vcc_lo
	ds_bpermute_b32 v4, v8, v1
	ds_bpermute_b32 v5, v8, v2
	;; [unrolled: 1-line block ×3, first 2 shown]
	v_cmp_eq_u32_e64 s3, 1, v10
	s_waitcnt lgkmcnt(1)
	v_cmp_lt_i64_e64 s2, v[4:5], v[1:2]
	s_waitcnt lgkmcnt(0)
	v_and_b32_e32 v8, 1, v9
	s_delay_alu instid0(VALU_DEP_1) | instskip(SKIP_1) | instid1(VALU_DEP_4)
	v_cmp_eq_u32_e32 vcc_lo, 1, v8
	v_cndmask_b32_e64 v7, v7, 1, vcc_lo
	s_and_b32 vcc_lo, vcc_lo, s2
	v_dual_cndmask_b32 v1, v1, v4 :: v_dual_cndmask_b32 v2, v2, v5
	s_delay_alu instid0(VALU_DEP_2) | instskip(NEXT) | instid1(VALU_DEP_2)
	v_cndmask_b32_e64 v7, v9, v7, s3
	v_cndmask_b32_e64 v1, v4, v1, s3
	v_lshlrev_b32_e32 v6, 2, v6
	s_delay_alu instid0(VALU_DEP_4) | instskip(NEXT) | instid1(VALU_DEP_2)
	v_cndmask_b32_e64 v2, v5, v2, s3
	v_add_lshl_u32 v6, v6, v3, 2
	v_and_b32_e32 v3, 0xff, v7
	ds_bpermute_b32 v4, v6, v2
	ds_bpermute_b32 v5, v6, v3
	;; [unrolled: 1-line block ×3, first 2 shown]
	s_waitcnt lgkmcnt(1)
	v_and_b32_e32 v6, 1, v5
	s_waitcnt lgkmcnt(0)
	v_cmp_lt_i64_e32 vcc_lo, v[3:4], v[1:2]
	s_delay_alu instid0(VALU_DEP_2) | instskip(SKIP_1) | instid1(VALU_DEP_2)
	v_cmp_eq_u32_e64 s2, 1, v6
	v_and_b32_e32 v6, 1, v7
	v_cndmask_b32_e64 v7, v7, 1, s2
	s_and_b32 vcc_lo, s2, vcc_lo
	s_delay_alu instid0(VALU_DEP_2) | instskip(SKIP_1) | instid1(VALU_DEP_2)
	v_cmp_eq_u32_e64 s2, 1, v6
	v_dual_cndmask_b32 v1, v1, v3 :: v_dual_cndmask_b32 v2, v2, v4
	v_cndmask_b32_e64 v5, v5, v7, s2
	s_delay_alu instid0(VALU_DEP_2) | instskip(NEXT) | instid1(VALU_DEP_3)
	v_cndmask_b32_e64 v1, v3, v1, s2
	v_cndmask_b32_e64 v2, v4, v2, s2
	s_delay_alu instid0(VALU_DEP_3)
	v_and_b32_e32 v6, 0xff, v5
.LBB463_146:
	s_or_b32 exec_lo, exec_lo, s23
	s_branch .LBB463_177
.LBB463_147:
                                        ; implicit-def: $vgpr3_vgpr4
                                        ; implicit-def: $vgpr5
	s_cbranch_execnz .LBB463_182
	s_branch .LBB463_200
.LBB463_148:
                                        ; implicit-def: $vgpr3_vgpr4
                                        ; implicit-def: $vgpr5
	s_branch .LBB463_200
.LBB463_149:
                                        ; implicit-def: $vgpr1_vgpr2
                                        ; implicit-def: $vgpr6
	s_cbranch_execz .LBB463_177
; %bb.150:
	s_waitcnt lgkmcnt(0)
	v_mov_b32_e32 v3, 0
	v_dual_mov_b32 v4, 0 :: v_dual_mov_b32 v5, 0
	s_delay_alu instid0(VALU_DEP_2) | instskip(SKIP_2) | instid1(VALU_DEP_3)
	v_mov_b32_e32 v1, v3
	v_mov_b32_e32 v7, 0
	s_sub_i32 s3, s14, s8
	v_mov_b32_e32 v2, v4
	s_mov_b32 s2, exec_lo
	v_cmpx_gt_u32_e64 s3, v0
	s_cbranch_execz .LBB463_152
; %bb.151:
	v_lshlrev_b32_e32 v1, 2, v0
	s_clause 0x1
	global_load_b32 v6, v1, s[4:5]
	global_load_b32 v7, v1, s[6:7]
	v_add_co_u32 v1, s8, s9, v0
	s_delay_alu instid0(VALU_DEP_1)
	v_add_co_ci_u32_e64 v2, null, s22, 0, s8
	s_waitcnt vmcnt(0)
	v_cmp_neq_f32_e32 vcc_lo, v6, v7
	v_cndmask_b32_e64 v7, 0, 1, vcc_lo
.LBB463_152:
	s_or_b32 exec_lo, exec_lo, s2
	v_or_b32_e32 v6, 0x100, v0
	s_delay_alu instid0(VALU_DEP_1)
	v_cmp_gt_u32_e32 vcc_lo, s3, v6
	s_and_saveexec_b32 s8, vcc_lo
	s_cbranch_execz .LBB463_154
; %bb.153:
	v_lshlrev_b32_e32 v3, 2, v0
	s_clause 0x1
	global_load_b32 v5, v3, s[4:5] offset:1024
	global_load_b32 v8, v3, s[6:7] offset:1024
	v_add_co_u32 v3, s2, s9, v6
	s_delay_alu instid0(VALU_DEP_1) | instskip(SKIP_2) | instid1(VALU_DEP_1)
	v_add_co_ci_u32_e64 v4, null, s22, 0, s2
	s_waitcnt vmcnt(0)
	v_cmp_neq_f32_e64 s2, v5, v8
	v_cndmask_b32_e64 v5, 0, 1, s2
.LBB463_154:
	s_or_b32 exec_lo, exec_lo, s8
	s_and_saveexec_b32 s4, vcc_lo
; %bb.155:
	s_delay_alu instid0(VALU_DEP_1) | instskip(SKIP_1) | instid1(VALU_DEP_2)
	v_and_b32_e32 v6, 1, v5
	v_cmp_lt_i64_e32 vcc_lo, v[3:4], v[1:2]
	v_cmp_eq_u32_e64 s2, 1, v6
	s_delay_alu instid0(VALU_DEP_1) | instskip(SKIP_4) | instid1(VALU_DEP_3)
	s_and_b32 vcc_lo, s2, vcc_lo
	v_cndmask_b32_e32 v1, v1, v3, vcc_lo
	v_and_b32_e32 v6, 1, v7
	v_cndmask_b32_e64 v7, v7, 1, s2
	v_cndmask_b32_e32 v2, v2, v4, vcc_lo
	v_cmp_eq_u32_e32 vcc_lo, 1, v6
	s_delay_alu instid0(VALU_DEP_2)
	v_dual_cndmask_b32 v7, v5, v7 :: v_dual_cndmask_b32 v2, v4, v2
	v_cndmask_b32_e32 v1, v3, v1, vcc_lo
; %bb.156:
	s_or_b32 exec_lo, exec_lo, s4
	v_mbcnt_lo_u32_b32 v5, -1, 0
	s_delay_alu instid0(VALU_DEP_3)
	v_and_b32_e32 v6, 0xffff, v7
	v_and_b32_e32 v8, 0xe0, v0
	s_min_u32 s3, s3, 0x100
	s_mov_b32 s4, exec_lo
	v_cmp_ne_u32_e32 vcc_lo, 31, v5
	v_add_nc_u32_e32 v10, 1, v5
	v_sub_nc_u32_e64 v8, s3, v8 clamp
	v_add_co_ci_u32_e32 v3, vcc_lo, 0, v5, vcc_lo
	s_delay_alu instid0(VALU_DEP_1)
	v_lshlrev_b32_e32 v4, 2, v3
	ds_bpermute_b32 v9, v4, v6
	ds_bpermute_b32 v3, v4, v1
	ds_bpermute_b32 v4, v4, v2
	v_cmpx_lt_u32_e64 v10, v8
	s_cbranch_execz .LBB463_158
; %bb.157:
	s_waitcnt lgkmcnt(2)
	v_and_b32_e32 v6, 1, v9
	s_waitcnt lgkmcnt(0)
	v_cmp_lt_i64_e32 vcc_lo, v[3:4], v[1:2]
	s_delay_alu instid0(VALU_DEP_2) | instskip(SKIP_1) | instid1(VALU_DEP_2)
	v_cmp_eq_u32_e64 s2, 1, v6
	v_and_b32_e32 v6, 1, v7
	v_cndmask_b32_e64 v7, v7, 1, s2
	s_and_b32 vcc_lo, s2, vcc_lo
	s_delay_alu instid0(VALU_DEP_2) | instskip(SKIP_1) | instid1(VALU_DEP_2)
	v_cmp_eq_u32_e64 s2, 1, v6
	v_dual_cndmask_b32 v1, v1, v3 :: v_dual_cndmask_b32 v2, v2, v4
	v_cndmask_b32_e64 v7, v9, v7, s2
	s_delay_alu instid0(VALU_DEP_2) | instskip(NEXT) | instid1(VALU_DEP_3)
	v_cndmask_b32_e64 v1, v3, v1, s2
	v_cndmask_b32_e64 v2, v4, v2, s2
	s_delay_alu instid0(VALU_DEP_3)
	v_and_b32_e32 v6, 0xff, v7
.LBB463_158:
	s_or_b32 exec_lo, exec_lo, s4
	v_cmp_gt_u32_e32 vcc_lo, 30, v5
	v_add_nc_u32_e32 v10, 2, v5
	s_mov_b32 s4, exec_lo
	s_waitcnt lgkmcnt(1)
	v_cndmask_b32_e64 v3, 0, 1, vcc_lo
	s_delay_alu instid0(VALU_DEP_1) | instskip(SKIP_1) | instid1(VALU_DEP_1)
	v_lshlrev_b32_e32 v3, 1, v3
	s_waitcnt lgkmcnt(0)
	v_add_lshl_u32 v4, v3, v5, 2
	ds_bpermute_b32 v9, v4, v6
	ds_bpermute_b32 v3, v4, v1
	ds_bpermute_b32 v4, v4, v2
	v_cmpx_lt_u32_e64 v10, v8
	s_cbranch_execz .LBB463_160
; %bb.159:
	s_waitcnt lgkmcnt(2)
	v_and_b32_e32 v6, 1, v9
	s_waitcnt lgkmcnt(0)
	v_cmp_lt_i64_e32 vcc_lo, v[3:4], v[1:2]
	s_delay_alu instid0(VALU_DEP_2) | instskip(SKIP_1) | instid1(VALU_DEP_2)
	v_cmp_eq_u32_e64 s2, 1, v6
	v_and_b32_e32 v6, 1, v7
	v_cndmask_b32_e64 v7, v7, 1, s2
	s_and_b32 vcc_lo, s2, vcc_lo
	s_delay_alu instid0(VALU_DEP_2) | instskip(SKIP_1) | instid1(VALU_DEP_2)
	v_cmp_eq_u32_e64 s2, 1, v6
	v_dual_cndmask_b32 v1, v1, v3 :: v_dual_cndmask_b32 v2, v2, v4
	v_cndmask_b32_e64 v7, v9, v7, s2
	s_delay_alu instid0(VALU_DEP_2) | instskip(NEXT) | instid1(VALU_DEP_3)
	v_cndmask_b32_e64 v1, v3, v1, s2
	v_cndmask_b32_e64 v2, v4, v2, s2
	s_delay_alu instid0(VALU_DEP_3)
	v_and_b32_e32 v6, 0xff, v7
.LBB463_160:
	s_or_b32 exec_lo, exec_lo, s4
	v_cmp_gt_u32_e32 vcc_lo, 28, v5
	v_add_nc_u32_e32 v10, 4, v5
	s_mov_b32 s4, exec_lo
	s_waitcnt lgkmcnt(1)
	v_cndmask_b32_e64 v3, 0, 1, vcc_lo
	s_delay_alu instid0(VALU_DEP_1) | instskip(SKIP_1) | instid1(VALU_DEP_1)
	v_lshlrev_b32_e32 v3, 2, v3
	s_waitcnt lgkmcnt(0)
	v_add_lshl_u32 v4, v3, v5, 2
	;; [unrolled: 35-line block ×4, first 2 shown]
	ds_bpermute_b32 v9, v4, v6
	ds_bpermute_b32 v3, v4, v1
	;; [unrolled: 1-line block ×3, first 2 shown]
	v_cmpx_lt_u32_e64 v10, v8
	s_cbranch_execz .LBB463_166
; %bb.165:
	s_waitcnt lgkmcnt(2)
	v_and_b32_e32 v6, 1, v9
	s_waitcnt lgkmcnt(0)
	v_cmp_lt_i64_e32 vcc_lo, v[3:4], v[1:2]
	s_delay_alu instid0(VALU_DEP_2) | instskip(SKIP_1) | instid1(VALU_DEP_2)
	v_cmp_eq_u32_e64 s2, 1, v6
	v_and_b32_e32 v6, 1, v7
	v_cndmask_b32_e64 v7, v7, 1, s2
	s_and_b32 vcc_lo, s2, vcc_lo
	s_delay_alu instid0(VALU_DEP_2) | instskip(SKIP_1) | instid1(VALU_DEP_2)
	v_cmp_eq_u32_e64 s2, 1, v6
	v_dual_cndmask_b32 v1, v1, v3 :: v_dual_cndmask_b32 v2, v2, v4
	v_cndmask_b32_e64 v7, v9, v7, s2
	s_delay_alu instid0(VALU_DEP_2) | instskip(NEXT) | instid1(VALU_DEP_3)
	v_cndmask_b32_e64 v1, v3, v1, s2
	v_cndmask_b32_e64 v2, v4, v2, s2
	s_delay_alu instid0(VALU_DEP_3)
	v_and_b32_e32 v6, 0xff, v7
.LBB463_166:
	s_or_b32 exec_lo, exec_lo, s4
	s_delay_alu instid0(SALU_CYCLE_1)
	s_mov_b32 s2, exec_lo
	v_cmpx_eq_u32_e32 0, v5
	s_cbranch_execz .LBB463_168
; %bb.167:
	s_waitcnt lgkmcnt(1)
	v_lshrrev_b32_e32 v3, 1, v0
	s_delay_alu instid0(VALU_DEP_1)
	v_and_b32_e32 v3, 0x70, v3
	ds_store_b8 v3, v7 offset:512
	ds_store_b64 v3, v[1:2] offset:520
.LBB463_168:
	s_or_b32 exec_lo, exec_lo, s2
	s_delay_alu instid0(SALU_CYCLE_1)
	s_mov_b32 s4, exec_lo
	s_waitcnt lgkmcnt(0)
	s_barrier
	buffer_gl0_inv
	v_cmpx_gt_u32_e32 8, v0
	s_cbranch_execz .LBB463_176
; %bb.169:
	v_lshlrev_b32_e32 v1, 4, v5
	v_and_b32_e32 v8, 7, v5
	s_add_i32 s3, s3, 31
	s_mov_b32 s5, exec_lo
	s_lshr_b32 s3, s3, 5
	ds_load_u8 v7, v1 offset:512
	ds_load_b64 v[1:2], v1 offset:520
	v_cmp_ne_u32_e32 vcc_lo, 7, v8
	v_add_nc_u32_e32 v10, 1, v8
	v_add_co_ci_u32_e32 v3, vcc_lo, 0, v5, vcc_lo
	s_delay_alu instid0(VALU_DEP_1)
	v_lshlrev_b32_e32 v4, 2, v3
	s_waitcnt lgkmcnt(1)
	v_and_b32_e32 v6, 0xff, v7
	s_waitcnt lgkmcnt(0)
	ds_bpermute_b32 v3, v4, v1
	ds_bpermute_b32 v9, v4, v6
	;; [unrolled: 1-line block ×3, first 2 shown]
	v_cmpx_gt_u32_e64 s3, v10
	s_cbranch_execz .LBB463_171
; %bb.170:
	s_waitcnt lgkmcnt(1)
	v_and_b32_e32 v6, 1, v9
	s_waitcnt lgkmcnt(0)
	v_cmp_lt_i64_e32 vcc_lo, v[3:4], v[1:2]
	s_delay_alu instid0(VALU_DEP_2) | instskip(SKIP_1) | instid1(VALU_DEP_2)
	v_cmp_eq_u32_e64 s2, 1, v6
	v_and_b32_e32 v6, 1, v7
	v_cndmask_b32_e64 v7, v7, 1, s2
	s_and_b32 vcc_lo, s2, vcc_lo
	s_delay_alu instid0(VALU_DEP_2) | instskip(SKIP_1) | instid1(VALU_DEP_2)
	v_cmp_eq_u32_e64 s2, 1, v6
	v_dual_cndmask_b32 v1, v1, v3 :: v_dual_cndmask_b32 v2, v2, v4
	v_cndmask_b32_e64 v7, v9, v7, s2
	s_delay_alu instid0(VALU_DEP_2) | instskip(NEXT) | instid1(VALU_DEP_3)
	v_cndmask_b32_e64 v1, v3, v1, s2
	v_cndmask_b32_e64 v2, v4, v2, s2
	s_delay_alu instid0(VALU_DEP_3)
	v_and_b32_e32 v6, 0xff, v7
.LBB463_171:
	s_or_b32 exec_lo, exec_lo, s5
	v_cmp_gt_u32_e32 vcc_lo, 6, v8
	v_add_nc_u32_e32 v10, 2, v8
	s_mov_b32 s5, exec_lo
	s_waitcnt lgkmcnt(2)
	v_cndmask_b32_e64 v3, 0, 1, vcc_lo
	s_delay_alu instid0(VALU_DEP_1) | instskip(SKIP_1) | instid1(VALU_DEP_1)
	v_lshlrev_b32_e32 v3, 1, v3
	s_waitcnt lgkmcnt(0)
	v_add_lshl_u32 v4, v3, v5, 2
	ds_bpermute_b32 v9, v4, v6
	ds_bpermute_b32 v3, v4, v1
	;; [unrolled: 1-line block ×3, first 2 shown]
	v_cmpx_gt_u32_e64 s3, v10
	s_cbranch_execz .LBB463_173
; %bb.172:
	s_waitcnt lgkmcnt(2)
	v_and_b32_e32 v6, 1, v9
	s_waitcnt lgkmcnt(0)
	v_cmp_lt_i64_e32 vcc_lo, v[3:4], v[1:2]
	s_delay_alu instid0(VALU_DEP_2) | instskip(SKIP_1) | instid1(VALU_DEP_2)
	v_cmp_eq_u32_e64 s2, 1, v6
	v_and_b32_e32 v6, 1, v7
	v_cndmask_b32_e64 v7, v7, 1, s2
	s_and_b32 vcc_lo, s2, vcc_lo
	s_delay_alu instid0(VALU_DEP_2) | instskip(SKIP_1) | instid1(VALU_DEP_2)
	v_cmp_eq_u32_e64 s2, 1, v6
	v_dual_cndmask_b32 v1, v1, v3 :: v_dual_cndmask_b32 v2, v2, v4
	v_cndmask_b32_e64 v7, v9, v7, s2
	s_delay_alu instid0(VALU_DEP_2) | instskip(NEXT) | instid1(VALU_DEP_3)
	v_cndmask_b32_e64 v1, v3, v1, s2
	v_cndmask_b32_e64 v2, v4, v2, s2
	s_delay_alu instid0(VALU_DEP_3)
	v_and_b32_e32 v6, 0xff, v7
.LBB463_173:
	s_or_b32 exec_lo, exec_lo, s5
	v_cmp_gt_u32_e32 vcc_lo, 4, v8
	v_add_nc_u32_e32 v8, 4, v8
	s_waitcnt lgkmcnt(1)
	v_cndmask_b32_e64 v3, 0, 1, vcc_lo
	s_delay_alu instid0(VALU_DEP_2) | instskip(NEXT) | instid1(VALU_DEP_2)
	v_cmp_gt_u32_e32 vcc_lo, s3, v8
	v_lshlrev_b32_e32 v3, 2, v3
	s_waitcnt lgkmcnt(0)
	s_delay_alu instid0(VALU_DEP_1)
	v_add_lshl_u32 v4, v3, v5, 2
	ds_bpermute_b32 v5, v4, v6
	ds_bpermute_b32 v3, v4, v1
	;; [unrolled: 1-line block ×3, first 2 shown]
	s_and_saveexec_b32 s3, vcc_lo
	s_cbranch_execz .LBB463_175
; %bb.174:
	s_waitcnt lgkmcnt(2)
	v_and_b32_e32 v6, 1, v5
	s_waitcnt lgkmcnt(0)
	v_cmp_lt_i64_e32 vcc_lo, v[3:4], v[1:2]
	s_delay_alu instid0(VALU_DEP_2) | instskip(SKIP_1) | instid1(VALU_DEP_2)
	v_cmp_eq_u32_e64 s2, 1, v6
	v_and_b32_e32 v6, 1, v7
	v_cndmask_b32_e64 v7, v7, 1, s2
	s_and_b32 vcc_lo, s2, vcc_lo
	s_delay_alu instid0(VALU_DEP_2) | instskip(SKIP_1) | instid1(VALU_DEP_2)
	v_cmp_eq_u32_e64 s2, 1, v6
	v_dual_cndmask_b32 v1, v1, v3 :: v_dual_cndmask_b32 v2, v2, v4
	v_cndmask_b32_e64 v5, v5, v7, s2
	s_delay_alu instid0(VALU_DEP_2) | instskip(NEXT) | instid1(VALU_DEP_3)
	v_cndmask_b32_e64 v1, v3, v1, s2
	v_cndmask_b32_e64 v2, v4, v2, s2
	s_delay_alu instid0(VALU_DEP_3)
	v_and_b32_e32 v6, 0xff, v5
.LBB463_175:
	s_or_b32 exec_lo, exec_lo, s3
.LBB463_176:
	s_delay_alu instid0(SALU_CYCLE_1)
	s_or_b32 exec_lo, exec_lo, s4
.LBB463_177:
                                        ; implicit-def: $vgpr3_vgpr4
                                        ; implicit-def: $vgpr5
	s_delay_alu instid0(SALU_CYCLE_1)
	s_mov_b32 s2, exec_lo
	v_cmpx_eq_u32_e32 0, v0
	s_xor_b32 s4, exec_lo, s2
	s_cbranch_execz .LBB463_181
; %bb.178:
	s_waitcnt lgkmcnt(0)
	v_dual_mov_b32 v3, s20 :: v_dual_mov_b32 v4, s21
	v_mov_b32_e32 v5, s24
	s_cmp_eq_u64 s[14:15], 0
	s_cbranch_scc1 .LBB463_180
; %bb.179:
	v_and_b32_e32 v3, 1, v6
	v_cmp_gt_i64_e32 vcc_lo, s[20:21], v[1:2]
	s_bitcmp1_b32 s24, 0
	s_cselect_b32 s3, -1, 0
	s_delay_alu instid0(VALU_DEP_2) | instskip(NEXT) | instid1(VALU_DEP_1)
	v_cmp_eq_u32_e64 s2, 1, v3
	s_and_b32 vcc_lo, s2, vcc_lo
	v_cndmask_b32_e64 v3, s24, 1, s2
	v_cndmask_b32_e32 v7, s20, v1, vcc_lo
	v_cndmask_b32_e32 v4, s21, v2, vcc_lo
	s_delay_alu instid0(VALU_DEP_3) | instskip(NEXT) | instid1(VALU_DEP_3)
	v_cndmask_b32_e64 v5, v6, v3, s3
	v_cndmask_b32_e64 v3, v1, v7, s3
	s_delay_alu instid0(VALU_DEP_3)
	v_cndmask_b32_e64 v4, v2, v4, s3
.LBB463_180:
	s_or_b32 s26, s26, exec_lo
.LBB463_181:
	s_or_b32 exec_lo, exec_lo, s4
	s_branch .LBB463_200
.LBB463_182:
	s_cmp_eq_u32 s25, 1
	s_cbranch_scc0 .LBB463_199
; %bb.183:
	s_mov_b32 s5, 0
	s_lshr_b64 s[2:3], s[14:15], 8
	s_mov_b32 s11, s5
	s_lshl_b32 s4, s10, 8
	s_cmp_lg_u64 s[2:3], s[10:11]
	s_cbranch_scc0 .LBB463_203
; %bb.184:
	s_lshl_b64 s[2:3], s[4:5], 2
	v_lshlrev_b32_e32 v1, 2, v0
	s_add_u32 s6, s16, s2
	s_addc_u32 s7, s17, s3
	s_add_u32 s2, s18, s2
	s_addc_u32 s3, s19, s3
	s_clause 0x1
	global_load_b32 v2, v1, s[6:7]
	global_load_b32 v1, v1, s[2:3]
	s_add_u32 s2, s12, s4
	s_addc_u32 s3, s13, 0
	s_waitcnt vmcnt(0)
	v_cmp_neq_f32_e32 vcc_lo, v2, v1
	v_cndmask_b32_e64 v1, 0, 1, vcc_lo
	v_cndmask_b32_e64 v6, 0, 1, vcc_lo
	s_waitcnt lgkmcnt(2)
	s_delay_alu instid0(VALU_DEP_2) | instskip(SKIP_1) | instid1(VALU_DEP_1)
	v_mov_b32_dpp v5, v1 quad_perm:[1,0,3,2] row_mask:0xf bank_mask:0xf
	v_add_co_u32 v1, s2, s2, v0
	v_add_co_ci_u32_e64 v2, null, s3, 0, s2
	s_delay_alu instid0(VALU_DEP_3) | instskip(SKIP_1) | instid1(VALU_DEP_3)
	v_and_b32_e32 v7, 1, v5
	s_waitcnt lgkmcnt(1)
	v_mov_b32_dpp v3, v1 quad_perm:[1,0,3,2] row_mask:0xf bank_mask:0xf
	s_mov_b32 s3, exec_lo
	s_waitcnt lgkmcnt(0)
	v_mov_b32_dpp v4, v2 quad_perm:[1,0,3,2] row_mask:0xf bank_mask:0xf
	v_cmpx_eq_u32_e32 1, v7
; %bb.185:
	s_delay_alu instid0(VALU_DEP_2) | instskip(SKIP_1) | instid1(VALU_DEP_2)
	v_cmp_lt_i64_e64 s2, v[1:2], v[3:4]
	v_cndmask_b32_e64 v6, v5, 1, vcc_lo
	s_and_b32 vcc_lo, vcc_lo, s2
	v_dual_cndmask_b32 v2, v4, v2 :: v_dual_cndmask_b32 v1, v3, v1
; %bb.186:
	s_or_b32 exec_lo, exec_lo, s3
	s_delay_alu instid0(VALU_DEP_2) | instskip(SKIP_1) | instid1(VALU_DEP_3)
	v_and_b32_e32 v5, 0xff, v6
	v_and_b32_e32 v6, 1, v6
	v_mov_b32_dpp v3, v1 quad_perm:[2,3,0,1] row_mask:0xf bank_mask:0xf
	v_mov_b32_dpp v4, v2 quad_perm:[2,3,0,1] row_mask:0xf bank_mask:0xf
	s_mov_b32 s6, exec_lo
	v_mov_b32_dpp v7, v5 quad_perm:[2,3,0,1] row_mask:0xf bank_mask:0xf
	v_cmp_eq_u32_e64 s3, 1, v6
	s_delay_alu instid0(VALU_DEP_2) | instskip(NEXT) | instid1(VALU_DEP_1)
	v_and_b32_e32 v8, 1, v7
	v_cmpx_eq_u32_e32 1, v8
; %bb.187:
	s_delay_alu instid0(VALU_DEP_3) | instskip(SKIP_1) | instid1(VALU_DEP_2)
	v_cndmask_b32_e64 v5, v7, 1, s3
	v_cmp_lt_i64_e32 vcc_lo, v[1:2], v[3:4]
	v_and_b32_e32 v6, 1, v5
	v_and_b32_e32 v5, 0xff, v5
	s_and_b32 vcc_lo, s3, vcc_lo
	s_and_not1_b32 s3, s3, exec_lo
	v_dual_cndmask_b32 v2, v4, v2 :: v_dual_cndmask_b32 v1, v3, v1
	v_cmp_eq_u32_e64 s2, 1, v6
	s_delay_alu instid0(VALU_DEP_1) | instskip(NEXT) | instid1(SALU_CYCLE_1)
	s_and_b32 s2, s2, exec_lo
	s_or_b32 s3, s3, s2
; %bb.188:
	s_or_b32 exec_lo, exec_lo, s6
	v_mov_b32_dpp v6, v5 row_ror:4 row_mask:0xf bank_mask:0xf
	v_mov_b32_dpp v3, v1 row_ror:4 row_mask:0xf bank_mask:0xf
	;; [unrolled: 1-line block ×3, first 2 shown]
	s_mov_b32 s6, exec_lo
	s_delay_alu instid0(VALU_DEP_3) | instskip(NEXT) | instid1(VALU_DEP_1)
	v_and_b32_e32 v7, 1, v6
	v_cmpx_eq_u32_e32 1, v7
; %bb.189:
	v_cndmask_b32_e64 v5, v6, 1, s3
	v_cmp_lt_i64_e32 vcc_lo, v[1:2], v[3:4]
	s_delay_alu instid0(VALU_DEP_2)
	v_and_b32_e32 v6, 1, v5
	v_and_b32_e32 v5, 0xff, v5
	s_and_b32 vcc_lo, s3, vcc_lo
	s_and_not1_b32 s3, s3, exec_lo
	v_dual_cndmask_b32 v2, v4, v2 :: v_dual_cndmask_b32 v1, v3, v1
	v_cmp_eq_u32_e64 s2, 1, v6
	s_delay_alu instid0(VALU_DEP_1) | instskip(NEXT) | instid1(SALU_CYCLE_1)
	s_and_b32 s2, s2, exec_lo
	s_or_b32 s3, s3, s2
; %bb.190:
	s_or_b32 exec_lo, exec_lo, s6
	v_mov_b32_dpp v6, v5 row_ror:8 row_mask:0xf bank_mask:0xf
	v_mov_b32_dpp v3, v1 row_ror:8 row_mask:0xf bank_mask:0xf
	;; [unrolled: 1-line block ×3, first 2 shown]
	s_mov_b32 s6, exec_lo
	s_delay_alu instid0(VALU_DEP_3) | instskip(NEXT) | instid1(VALU_DEP_1)
	v_and_b32_e32 v7, 1, v6
	v_cmpx_eq_u32_e32 1, v7
; %bb.191:
	v_cndmask_b32_e64 v5, v6, 1, s3
	v_cmp_lt_i64_e32 vcc_lo, v[1:2], v[3:4]
	s_delay_alu instid0(VALU_DEP_2)
	v_and_b32_e32 v6, 1, v5
	v_and_b32_e32 v5, 0xff, v5
	s_and_b32 vcc_lo, s3, vcc_lo
	s_and_not1_b32 s3, s3, exec_lo
	v_dual_cndmask_b32 v2, v4, v2 :: v_dual_cndmask_b32 v1, v3, v1
	v_cmp_eq_u32_e64 s2, 1, v6
	s_delay_alu instid0(VALU_DEP_1) | instskip(NEXT) | instid1(SALU_CYCLE_1)
	s_and_b32 s2, s2, exec_lo
	s_or_b32 s3, s3, s2
; %bb.192:
	s_or_b32 exec_lo, exec_lo, s6
	ds_swizzle_b32 v6, v5 offset:swizzle(BROADCAST,32,15)
	ds_swizzle_b32 v3, v1 offset:swizzle(BROADCAST,32,15)
	;; [unrolled: 1-line block ×3, first 2 shown]
	s_mov_b32 s2, exec_lo
	s_waitcnt lgkmcnt(2)
	v_and_b32_e32 v7, 1, v6
	s_delay_alu instid0(VALU_DEP_1)
	v_cmpx_eq_u32_e32 1, v7
	s_cbranch_execz .LBB463_194
; %bb.193:
	s_waitcnt lgkmcnt(0)
	v_cmp_lt_i64_e32 vcc_lo, v[1:2], v[3:4]
	v_and_b32_e32 v5, 0xff, v6
	s_delay_alu instid0(VALU_DEP_1)
	v_cndmask_b32_e64 v5, v5, 1, s3
	s_and_b32 vcc_lo, s3, vcc_lo
	v_dual_cndmask_b32 v1, v3, v1 :: v_dual_cndmask_b32 v2, v4, v2
.LBB463_194:
	s_or_b32 exec_lo, exec_lo, s2
	s_waitcnt lgkmcnt(1)
	v_mov_b32_e32 v3, 0
	s_mov_b32 s2, exec_lo
	ds_bpermute_b32 v6, v3, v5 offset:124
	ds_bpermute_b32 v1, v3, v1 offset:124
	;; [unrolled: 1-line block ×3, first 2 shown]
	v_mbcnt_lo_u32_b32 v3, -1, 0
	s_delay_alu instid0(VALU_DEP_1)
	v_cmpx_eq_u32_e32 0, v3
	s_cbranch_execz .LBB463_196
; %bb.195:
	s_waitcnt lgkmcnt(3)
	v_lshrrev_b32_e32 v4, 1, v0
	s_delay_alu instid0(VALU_DEP_1)
	v_and_b32_e32 v4, 0x70, v4
	s_waitcnt lgkmcnt(2)
	ds_store_b8 v4, v6
	s_waitcnt lgkmcnt(1)
	ds_store_b64 v4, v[1:2] offset:8
.LBB463_196:
	s_or_b32 exec_lo, exec_lo, s2
	s_delay_alu instid0(SALU_CYCLE_1)
	s_mov_b32 s6, exec_lo
	s_waitcnt lgkmcnt(0)
	s_barrier
	buffer_gl0_inv
	v_cmpx_gt_u32_e32 32, v0
	s_cbranch_execz .LBB463_198
; %bb.197:
	v_and_b32_e32 v6, 7, v3
	s_delay_alu instid0(VALU_DEP_1)
	v_lshlrev_b32_e32 v1, 4, v6
	v_cmp_ne_u32_e32 vcc_lo, 7, v6
	ds_load_u8 v7, v1
	ds_load_b64 v[1:2], v1 offset:8
	v_add_co_ci_u32_e32 v4, vcc_lo, 0, v3, vcc_lo
	v_cmp_gt_u32_e32 vcc_lo, 6, v6
	s_delay_alu instid0(VALU_DEP_2)
	v_lshlrev_b32_e32 v5, 2, v4
	v_cndmask_b32_e64 v10, 0, 1, vcc_lo
	s_waitcnt lgkmcnt(1)
	v_and_b32_e32 v4, 0xff, v7
	v_and_b32_e32 v11, 1, v7
	ds_bpermute_b32 v8, v5, v4
	s_waitcnt lgkmcnt(1)
	ds_bpermute_b32 v4, v5, v1
	ds_bpermute_b32 v5, v5, v2
	v_cmp_eq_u32_e64 s3, 1, v11
	s_waitcnt lgkmcnt(2)
	v_and_b32_e32 v9, 1, v8
	s_waitcnt lgkmcnt(0)
	v_cmp_lt_i64_e64 s2, v[4:5], v[1:2]
	s_delay_alu instid0(VALU_DEP_2) | instskip(SKIP_2) | instid1(VALU_DEP_4)
	v_cmp_eq_u32_e32 vcc_lo, 1, v9
	v_lshlrev_b32_e32 v9, 1, v10
	v_cndmask_b32_e64 v7, v7, 1, vcc_lo
	s_and_b32 vcc_lo, vcc_lo, s2
	v_dual_cndmask_b32 v1, v1, v4 :: v_dual_cndmask_b32 v2, v2, v5
	s_delay_alu instid0(VALU_DEP_2) | instskip(SKIP_2) | instid1(VALU_DEP_4)
	v_cndmask_b32_e64 v7, v8, v7, s3
	v_add_lshl_u32 v8, v9, v3, 2
	v_cmp_gt_u32_e32 vcc_lo, 4, v6
	v_cndmask_b32_e64 v1, v4, v1, s3
	v_cndmask_b32_e64 v2, v5, v2, s3
	v_and_b32_e32 v9, 0xff, v7
	v_and_b32_e32 v10, 1, v7
	v_cndmask_b32_e64 v6, 0, 1, vcc_lo
	ds_bpermute_b32 v4, v8, v1
	ds_bpermute_b32 v5, v8, v2
	;; [unrolled: 1-line block ×3, first 2 shown]
	v_cmp_eq_u32_e64 s3, 1, v10
	s_waitcnt lgkmcnt(1)
	v_cmp_lt_i64_e64 s2, v[4:5], v[1:2]
	s_waitcnt lgkmcnt(0)
	v_and_b32_e32 v8, 1, v9
	s_delay_alu instid0(VALU_DEP_1) | instskip(SKIP_1) | instid1(VALU_DEP_4)
	v_cmp_eq_u32_e32 vcc_lo, 1, v8
	v_cndmask_b32_e64 v7, v7, 1, vcc_lo
	s_and_b32 vcc_lo, vcc_lo, s2
	v_dual_cndmask_b32 v1, v1, v4 :: v_dual_cndmask_b32 v2, v2, v5
	s_delay_alu instid0(VALU_DEP_2) | instskip(NEXT) | instid1(VALU_DEP_2)
	v_cndmask_b32_e64 v7, v9, v7, s3
	v_cndmask_b32_e64 v1, v4, v1, s3
	v_lshlrev_b32_e32 v6, 2, v6
	s_delay_alu instid0(VALU_DEP_4) | instskip(NEXT) | instid1(VALU_DEP_2)
	v_cndmask_b32_e64 v2, v5, v2, s3
	v_add_lshl_u32 v6, v6, v3, 2
	v_and_b32_e32 v3, 0xff, v7
	ds_bpermute_b32 v4, v6, v2
	ds_bpermute_b32 v5, v6, v3
	;; [unrolled: 1-line block ×3, first 2 shown]
	s_waitcnt lgkmcnt(1)
	v_and_b32_e32 v6, 1, v5
	s_waitcnt lgkmcnt(0)
	v_cmp_lt_i64_e32 vcc_lo, v[3:4], v[1:2]
	s_delay_alu instid0(VALU_DEP_2) | instskip(SKIP_1) | instid1(VALU_DEP_2)
	v_cmp_eq_u32_e64 s2, 1, v6
	v_and_b32_e32 v6, 1, v7
	v_cndmask_b32_e64 v7, v7, 1, s2
	s_and_b32 vcc_lo, s2, vcc_lo
	s_delay_alu instid0(VALU_DEP_2) | instskip(SKIP_1) | instid1(VALU_DEP_2)
	v_cmp_eq_u32_e64 s2, 1, v6
	v_dual_cndmask_b32 v1, v1, v3 :: v_dual_cndmask_b32 v2, v2, v4
	v_cndmask_b32_e64 v5, v5, v7, s2
	s_delay_alu instid0(VALU_DEP_2) | instskip(NEXT) | instid1(VALU_DEP_3)
	v_cndmask_b32_e64 v1, v3, v1, s2
	v_cndmask_b32_e64 v2, v4, v2, s2
	s_delay_alu instid0(VALU_DEP_3)
	v_and_b32_e32 v6, 0xff, v5
.LBB463_198:
	s_or_b32 exec_lo, exec_lo, s6
	s_branch .LBB463_227
.LBB463_199:
                                        ; implicit-def: $vgpr3_vgpr4
                                        ; implicit-def: $vgpr5
                                        ; implicit-def: $sgpr10_sgpr11
.LBB463_200:
	s_and_saveexec_b32 s2, s26
	s_cbranch_execz .LBB463_202
.LBB463_201:
	s_load_b64 s[0:1], s[0:1], 0x38
	s_lshl_b64 s[2:3], s[10:11], 4
	v_mov_b32_e32 v0, 0
	s_waitcnt lgkmcnt(0)
	s_add_u32 s0, s0, s2
	s_addc_u32 s1, s1, s3
	s_clause 0x1
	global_store_b8 v0, v5, s[0:1]
	global_store_b64 v0, v[3:4], s[0:1] offset:8
.LBB463_202:
	s_nop 0
	s_sendmsg sendmsg(MSG_DEALLOC_VGPRS)
	s_endpgm
.LBB463_203:
                                        ; implicit-def: $vgpr1_vgpr2
                                        ; implicit-def: $vgpr6
	s_cbranch_execz .LBB463_227
; %bb.204:
	v_mov_b32_e32 v1, 0
	v_dual_mov_b32 v2, 0 :: v_dual_mov_b32 v7, 0
	s_sub_i32 s2, s14, s4
	s_mov_b32 s3, exec_lo
	v_cmpx_gt_u32_e64 s2, v0
	s_cbranch_execz .LBB463_206
; %bb.205:
	s_lshl_b64 s[6:7], s[4:5], 2
	v_lshlrev_b32_e32 v1, 2, v0
	s_add_u32 s8, s18, s6
	s_addc_u32 s9, s19, s7
	s_add_u32 s6, s16, s6
	s_addc_u32 s7, s17, s7
	s_add_u32 s4, s12, s4
	s_waitcnt lgkmcnt(1)
	global_load_b32 v3, v1, s[6:7]
	s_waitcnt lgkmcnt(0)
	global_load_b32 v4, v1, s[8:9]
	s_addc_u32 s5, s13, 0
	v_add_co_u32 v1, s4, s4, v0
	s_delay_alu instid0(VALU_DEP_1)
	v_add_co_ci_u32_e64 v2, null, s5, 0, s4
	s_waitcnt vmcnt(0)
	v_cmp_neq_f32_e32 vcc_lo, v3, v4
	v_cndmask_b32_e64 v7, 0, 1, vcc_lo
.LBB463_206:
	s_or_b32 exec_lo, exec_lo, s3
	s_waitcnt lgkmcnt(2)
	v_mbcnt_lo_u32_b32 v5, -1, 0
	s_delay_alu instid0(VALU_DEP_2)
	v_and_b32_e32 v6, 0xffff, v7
	v_and_b32_e32 v8, 0xe0, v0
	s_min_u32 s3, s2, 0x100
	s_mov_b32 s4, exec_lo
	v_cmp_ne_u32_e32 vcc_lo, 31, v5
	v_add_nc_u32_e32 v10, 1, v5
	v_sub_nc_u32_e64 v8, s3, v8 clamp
	s_waitcnt lgkmcnt(1)
	v_add_co_ci_u32_e32 v3, vcc_lo, 0, v5, vcc_lo
	s_waitcnt lgkmcnt(0)
	s_delay_alu instid0(VALU_DEP_1)
	v_lshlrev_b32_e32 v4, 2, v3
	ds_bpermute_b32 v9, v4, v6
	ds_bpermute_b32 v3, v4, v1
	ds_bpermute_b32 v4, v4, v2
	v_cmpx_lt_u32_e64 v10, v8
	s_cbranch_execz .LBB463_208
; %bb.207:
	s_waitcnt lgkmcnt(2)
	v_and_b32_e32 v6, 1, v9
	s_waitcnt lgkmcnt(0)
	v_cmp_lt_i64_e32 vcc_lo, v[3:4], v[1:2]
	s_delay_alu instid0(VALU_DEP_2) | instskip(SKIP_1) | instid1(VALU_DEP_2)
	v_cmp_eq_u32_e64 s2, 1, v6
	v_and_b32_e32 v6, 1, v7
	v_cndmask_b32_e64 v7, v7, 1, s2
	s_and_b32 vcc_lo, s2, vcc_lo
	s_delay_alu instid0(VALU_DEP_2) | instskip(SKIP_1) | instid1(VALU_DEP_2)
	v_cmp_eq_u32_e64 s2, 1, v6
	v_dual_cndmask_b32 v1, v1, v3 :: v_dual_cndmask_b32 v2, v2, v4
	v_cndmask_b32_e64 v7, v9, v7, s2
	s_delay_alu instid0(VALU_DEP_2) | instskip(NEXT) | instid1(VALU_DEP_3)
	v_cndmask_b32_e64 v1, v3, v1, s2
	v_cndmask_b32_e64 v2, v4, v2, s2
	s_delay_alu instid0(VALU_DEP_3)
	v_and_b32_e32 v6, 0xff, v7
.LBB463_208:
	s_or_b32 exec_lo, exec_lo, s4
	v_cmp_gt_u32_e32 vcc_lo, 30, v5
	v_add_nc_u32_e32 v10, 2, v5
	s_mov_b32 s4, exec_lo
	s_waitcnt lgkmcnt(1)
	v_cndmask_b32_e64 v3, 0, 1, vcc_lo
	s_delay_alu instid0(VALU_DEP_1) | instskip(SKIP_1) | instid1(VALU_DEP_1)
	v_lshlrev_b32_e32 v3, 1, v3
	s_waitcnt lgkmcnt(0)
	v_add_lshl_u32 v4, v3, v5, 2
	ds_bpermute_b32 v9, v4, v6
	ds_bpermute_b32 v3, v4, v1
	ds_bpermute_b32 v4, v4, v2
	v_cmpx_lt_u32_e64 v10, v8
	s_cbranch_execz .LBB463_210
; %bb.209:
	s_waitcnt lgkmcnt(2)
	v_and_b32_e32 v6, 1, v9
	s_waitcnt lgkmcnt(0)
	v_cmp_lt_i64_e32 vcc_lo, v[3:4], v[1:2]
	s_delay_alu instid0(VALU_DEP_2) | instskip(SKIP_1) | instid1(VALU_DEP_2)
	v_cmp_eq_u32_e64 s2, 1, v6
	v_and_b32_e32 v6, 1, v7
	v_cndmask_b32_e64 v7, v7, 1, s2
	s_and_b32 vcc_lo, s2, vcc_lo
	s_delay_alu instid0(VALU_DEP_2) | instskip(SKIP_1) | instid1(VALU_DEP_2)
	v_cmp_eq_u32_e64 s2, 1, v6
	v_dual_cndmask_b32 v1, v1, v3 :: v_dual_cndmask_b32 v2, v2, v4
	v_cndmask_b32_e64 v7, v9, v7, s2
	s_delay_alu instid0(VALU_DEP_2) | instskip(NEXT) | instid1(VALU_DEP_3)
	v_cndmask_b32_e64 v1, v3, v1, s2
	v_cndmask_b32_e64 v2, v4, v2, s2
	s_delay_alu instid0(VALU_DEP_3)
	v_and_b32_e32 v6, 0xff, v7
.LBB463_210:
	s_or_b32 exec_lo, exec_lo, s4
	v_cmp_gt_u32_e32 vcc_lo, 28, v5
	v_add_nc_u32_e32 v10, 4, v5
	s_mov_b32 s4, exec_lo
	s_waitcnt lgkmcnt(1)
	v_cndmask_b32_e64 v3, 0, 1, vcc_lo
	s_delay_alu instid0(VALU_DEP_1) | instskip(SKIP_1) | instid1(VALU_DEP_1)
	v_lshlrev_b32_e32 v3, 2, v3
	s_waitcnt lgkmcnt(0)
	v_add_lshl_u32 v4, v3, v5, 2
	;; [unrolled: 35-line block ×4, first 2 shown]
	ds_bpermute_b32 v9, v4, v6
	ds_bpermute_b32 v3, v4, v1
	;; [unrolled: 1-line block ×3, first 2 shown]
	v_cmpx_lt_u32_e64 v10, v8
	s_cbranch_execz .LBB463_216
; %bb.215:
	s_waitcnt lgkmcnt(2)
	v_and_b32_e32 v6, 1, v9
	s_waitcnt lgkmcnt(0)
	v_cmp_lt_i64_e32 vcc_lo, v[3:4], v[1:2]
	s_delay_alu instid0(VALU_DEP_2) | instskip(SKIP_1) | instid1(VALU_DEP_2)
	v_cmp_eq_u32_e64 s2, 1, v6
	v_and_b32_e32 v6, 1, v7
	v_cndmask_b32_e64 v7, v7, 1, s2
	s_and_b32 vcc_lo, s2, vcc_lo
	s_delay_alu instid0(VALU_DEP_2) | instskip(SKIP_1) | instid1(VALU_DEP_2)
	v_cmp_eq_u32_e64 s2, 1, v6
	v_dual_cndmask_b32 v1, v1, v3 :: v_dual_cndmask_b32 v2, v2, v4
	v_cndmask_b32_e64 v7, v9, v7, s2
	s_delay_alu instid0(VALU_DEP_2) | instskip(NEXT) | instid1(VALU_DEP_3)
	v_cndmask_b32_e64 v1, v3, v1, s2
	v_cndmask_b32_e64 v2, v4, v2, s2
	s_delay_alu instid0(VALU_DEP_3)
	v_and_b32_e32 v6, 0xff, v7
.LBB463_216:
	s_or_b32 exec_lo, exec_lo, s4
	s_delay_alu instid0(SALU_CYCLE_1)
	s_mov_b32 s2, exec_lo
	v_cmpx_eq_u32_e32 0, v5
	s_cbranch_execz .LBB463_218
; %bb.217:
	s_waitcnt lgkmcnt(1)
	v_lshrrev_b32_e32 v3, 1, v0
	s_delay_alu instid0(VALU_DEP_1)
	v_and_b32_e32 v3, 0x70, v3
	ds_store_b8 v3, v7 offset:512
	ds_store_b64 v3, v[1:2] offset:520
.LBB463_218:
	s_or_b32 exec_lo, exec_lo, s2
	s_delay_alu instid0(SALU_CYCLE_1)
	s_mov_b32 s4, exec_lo
	s_waitcnt lgkmcnt(0)
	s_barrier
	buffer_gl0_inv
	v_cmpx_gt_u32_e32 8, v0
	s_cbranch_execz .LBB463_226
; %bb.219:
	v_lshlrev_b32_e32 v1, 4, v5
	v_and_b32_e32 v8, 7, v5
	s_add_i32 s3, s3, 31
	s_mov_b32 s5, exec_lo
	s_lshr_b32 s3, s3, 5
	ds_load_u8 v7, v1 offset:512
	ds_load_b64 v[1:2], v1 offset:520
	v_cmp_ne_u32_e32 vcc_lo, 7, v8
	v_add_nc_u32_e32 v10, 1, v8
	v_add_co_ci_u32_e32 v3, vcc_lo, 0, v5, vcc_lo
	s_delay_alu instid0(VALU_DEP_1)
	v_lshlrev_b32_e32 v4, 2, v3
	s_waitcnt lgkmcnt(1)
	v_and_b32_e32 v6, 0xff, v7
	s_waitcnt lgkmcnt(0)
	ds_bpermute_b32 v3, v4, v1
	ds_bpermute_b32 v9, v4, v6
	;; [unrolled: 1-line block ×3, first 2 shown]
	v_cmpx_gt_u32_e64 s3, v10
	s_cbranch_execz .LBB463_221
; %bb.220:
	s_waitcnt lgkmcnt(1)
	v_and_b32_e32 v6, 1, v9
	s_waitcnt lgkmcnt(0)
	v_cmp_lt_i64_e32 vcc_lo, v[3:4], v[1:2]
	s_delay_alu instid0(VALU_DEP_2) | instskip(SKIP_1) | instid1(VALU_DEP_2)
	v_cmp_eq_u32_e64 s2, 1, v6
	v_and_b32_e32 v6, 1, v7
	v_cndmask_b32_e64 v7, v7, 1, s2
	s_and_b32 vcc_lo, s2, vcc_lo
	s_delay_alu instid0(VALU_DEP_2) | instskip(SKIP_1) | instid1(VALU_DEP_2)
	v_cmp_eq_u32_e64 s2, 1, v6
	v_dual_cndmask_b32 v1, v1, v3 :: v_dual_cndmask_b32 v2, v2, v4
	v_cndmask_b32_e64 v7, v9, v7, s2
	s_delay_alu instid0(VALU_DEP_2) | instskip(NEXT) | instid1(VALU_DEP_3)
	v_cndmask_b32_e64 v1, v3, v1, s2
	v_cndmask_b32_e64 v2, v4, v2, s2
	s_delay_alu instid0(VALU_DEP_3)
	v_and_b32_e32 v6, 0xff, v7
.LBB463_221:
	s_or_b32 exec_lo, exec_lo, s5
	v_cmp_gt_u32_e32 vcc_lo, 6, v8
	v_add_nc_u32_e32 v10, 2, v8
	s_mov_b32 s5, exec_lo
	s_waitcnt lgkmcnt(2)
	v_cndmask_b32_e64 v3, 0, 1, vcc_lo
	s_delay_alu instid0(VALU_DEP_1) | instskip(SKIP_1) | instid1(VALU_DEP_1)
	v_lshlrev_b32_e32 v3, 1, v3
	s_waitcnt lgkmcnt(0)
	v_add_lshl_u32 v4, v3, v5, 2
	ds_bpermute_b32 v9, v4, v6
	ds_bpermute_b32 v3, v4, v1
	;; [unrolled: 1-line block ×3, first 2 shown]
	v_cmpx_gt_u32_e64 s3, v10
	s_cbranch_execz .LBB463_223
; %bb.222:
	s_waitcnt lgkmcnt(2)
	v_and_b32_e32 v6, 1, v9
	s_waitcnt lgkmcnt(0)
	v_cmp_lt_i64_e32 vcc_lo, v[3:4], v[1:2]
	s_delay_alu instid0(VALU_DEP_2) | instskip(SKIP_1) | instid1(VALU_DEP_2)
	v_cmp_eq_u32_e64 s2, 1, v6
	v_and_b32_e32 v6, 1, v7
	v_cndmask_b32_e64 v7, v7, 1, s2
	s_and_b32 vcc_lo, s2, vcc_lo
	s_delay_alu instid0(VALU_DEP_2) | instskip(SKIP_1) | instid1(VALU_DEP_2)
	v_cmp_eq_u32_e64 s2, 1, v6
	v_dual_cndmask_b32 v1, v1, v3 :: v_dual_cndmask_b32 v2, v2, v4
	v_cndmask_b32_e64 v7, v9, v7, s2
	s_delay_alu instid0(VALU_DEP_2) | instskip(NEXT) | instid1(VALU_DEP_3)
	v_cndmask_b32_e64 v1, v3, v1, s2
	v_cndmask_b32_e64 v2, v4, v2, s2
	s_delay_alu instid0(VALU_DEP_3)
	v_and_b32_e32 v6, 0xff, v7
.LBB463_223:
	s_or_b32 exec_lo, exec_lo, s5
	v_cmp_gt_u32_e32 vcc_lo, 4, v8
	v_add_nc_u32_e32 v8, 4, v8
	s_waitcnt lgkmcnt(1)
	v_cndmask_b32_e64 v3, 0, 1, vcc_lo
	s_delay_alu instid0(VALU_DEP_2) | instskip(NEXT) | instid1(VALU_DEP_2)
	v_cmp_gt_u32_e32 vcc_lo, s3, v8
	v_lshlrev_b32_e32 v3, 2, v3
	s_waitcnt lgkmcnt(0)
	s_delay_alu instid0(VALU_DEP_1)
	v_add_lshl_u32 v4, v3, v5, 2
	ds_bpermute_b32 v5, v4, v6
	ds_bpermute_b32 v3, v4, v1
	;; [unrolled: 1-line block ×3, first 2 shown]
	s_and_saveexec_b32 s3, vcc_lo
	s_cbranch_execz .LBB463_225
; %bb.224:
	s_waitcnt lgkmcnt(2)
	v_and_b32_e32 v6, 1, v5
	s_waitcnt lgkmcnt(0)
	v_cmp_lt_i64_e32 vcc_lo, v[3:4], v[1:2]
	s_delay_alu instid0(VALU_DEP_2) | instskip(SKIP_1) | instid1(VALU_DEP_2)
	v_cmp_eq_u32_e64 s2, 1, v6
	v_and_b32_e32 v6, 1, v7
	v_cndmask_b32_e64 v7, v7, 1, s2
	s_and_b32 vcc_lo, s2, vcc_lo
	s_delay_alu instid0(VALU_DEP_2) | instskip(SKIP_1) | instid1(VALU_DEP_2)
	v_cmp_eq_u32_e64 s2, 1, v6
	v_dual_cndmask_b32 v1, v1, v3 :: v_dual_cndmask_b32 v2, v2, v4
	v_cndmask_b32_e64 v5, v5, v7, s2
	s_delay_alu instid0(VALU_DEP_2) | instskip(NEXT) | instid1(VALU_DEP_3)
	v_cndmask_b32_e64 v1, v3, v1, s2
	v_cndmask_b32_e64 v2, v4, v2, s2
	s_delay_alu instid0(VALU_DEP_3)
	v_and_b32_e32 v6, 0xff, v5
.LBB463_225:
	s_or_b32 exec_lo, exec_lo, s3
.LBB463_226:
	s_delay_alu instid0(SALU_CYCLE_1)
	s_or_b32 exec_lo, exec_lo, s4
.LBB463_227:
	s_delay_alu instid0(SALU_CYCLE_1)
	s_mov_b32 s4, exec_lo
                                        ; implicit-def: $vgpr3_vgpr4
                                        ; implicit-def: $vgpr5
	v_cmpx_eq_u32_e32 0, v0
	s_cbranch_execz .LBB463_231
; %bb.228:
	s_waitcnt lgkmcnt(0)
	v_dual_mov_b32 v3, s20 :: v_dual_mov_b32 v4, s21
	v_mov_b32_e32 v5, s24
	s_cmp_eq_u64 s[14:15], 0
	s_cbranch_scc1 .LBB463_230
; %bb.229:
	v_and_b32_e32 v0, 1, v6
	v_cmp_gt_i64_e32 vcc_lo, s[20:21], v[1:2]
	s_bitcmp1_b32 s24, 0
	s_cselect_b32 s3, -1, 0
	s_delay_alu instid0(VALU_DEP_2) | instskip(NEXT) | instid1(VALU_DEP_1)
	v_cmp_eq_u32_e64 s2, 1, v0
	s_and_b32 vcc_lo, s2, vcc_lo
	v_cndmask_b32_e64 v0, s24, 1, s2
	v_cndmask_b32_e32 v3, s20, v1, vcc_lo
	v_cndmask_b32_e32 v4, s21, v2, vcc_lo
	s_delay_alu instid0(VALU_DEP_3) | instskip(NEXT) | instid1(VALU_DEP_3)
	v_cndmask_b32_e64 v5, v6, v0, s3
	v_cndmask_b32_e64 v3, v1, v3, s3
	s_delay_alu instid0(VALU_DEP_3)
	v_cndmask_b32_e64 v4, v2, v4, s3
.LBB463_230:
	s_or_b32 s26, s26, exec_lo
.LBB463_231:
	s_or_b32 exec_lo, exec_lo, s4
	s_and_saveexec_b32 s2, s26
	s_cbranch_execnz .LBB463_201
	s_branch .LBB463_202
.LBB463_232:
	v_lshlrev_b32_e32 v3, 2, v25
	s_clause 0x1
	global_load_b32 v18, v3, s[8:9]
	global_load_b32 v26, v3, s[22:23]
	v_add_co_u32 v3, s8, s26, v25
	s_delay_alu instid0(VALU_DEP_1) | instskip(SKIP_2) | instid1(VALU_DEP_1)
	v_add_co_ci_u32_e64 v4, null, s28, 0, s8
	s_waitcnt vmcnt(0)
	v_cmp_neq_f32_e64 s8, v18, v26
	v_cndmask_b32_e64 v18, 0, 1, s8
	s_or_b32 exec_lo, exec_lo, s30
	s_and_saveexec_b32 s9, s7
	s_cbranch_execz .LBB463_57
.LBB463_233:
	v_and_b32_e32 v25, 1, v21
	v_cmp_lt_i64_e64 s7, v[9:10], v[1:2]
	s_delay_alu instid0(VALU_DEP_2) | instskip(SKIP_1) | instid1(VALU_DEP_2)
	v_cmp_eq_u32_e64 s8, 1, v25
	v_and_b32_e32 v25, 1, v17
	s_and_b32 s7, s8, s7
	v_cndmask_b32_e64 v17, v17, 1, s8
	v_cndmask_b32_e64 v1, v1, v9, s7
	;; [unrolled: 1-line block ×3, first 2 shown]
	v_cmp_eq_u32_e64 s7, 1, v25
	s_delay_alu instid0(VALU_DEP_1) | instskip(NEXT) | instid1(VALU_DEP_3)
	v_cndmask_b32_e64 v17, v21, v17, s7
	v_cndmask_b32_e64 v2, v10, v2, s7
	;; [unrolled: 1-line block ×3, first 2 shown]
	s_or_b32 exec_lo, exec_lo, s9
	s_and_saveexec_b32 s8, s6
	s_cbranch_execz .LBB463_58
.LBB463_234:
	v_and_b32_e32 v9, 1, v24
	v_cmp_lt_i64_e64 s6, v[15:16], v[1:2]
	s_delay_alu instid0(VALU_DEP_2) | instskip(SKIP_1) | instid1(VALU_DEP_2)
	v_cmp_eq_u32_e64 s7, 1, v9
	v_and_b32_e32 v9, 1, v17
	s_and_b32 s6, s7, s6
	v_cndmask_b32_e64 v10, v17, 1, s7
	v_cndmask_b32_e64 v1, v1, v15, s6
	;; [unrolled: 1-line block ×3, first 2 shown]
	v_cmp_eq_u32_e64 s6, 1, v9
	s_delay_alu instid0(VALU_DEP_1) | instskip(NEXT) | instid1(VALU_DEP_3)
	v_cndmask_b32_e64 v17, v24, v10, s6
	v_cndmask_b32_e64 v2, v16, v2, s6
	;; [unrolled: 1-line block ×3, first 2 shown]
	s_or_b32 exec_lo, exec_lo, s8
	s_and_saveexec_b32 s7, s5
	s_cbranch_execz .LBB463_59
.LBB463_235:
	v_and_b32_e32 v9, 1, v20
	v_cmp_lt_i64_e64 s5, v[7:8], v[1:2]
	s_delay_alu instid0(VALU_DEP_2) | instskip(SKIP_1) | instid1(VALU_DEP_2)
	v_cmp_eq_u32_e64 s6, 1, v9
	v_and_b32_e32 v9, 1, v17
	s_and_b32 s5, s6, s5
	v_cndmask_b32_e64 v10, v17, 1, s6
	v_cndmask_b32_e64 v1, v1, v7, s5
	;; [unrolled: 1-line block ×3, first 2 shown]
	v_cmp_eq_u32_e64 s5, 1, v9
	s_delay_alu instid0(VALU_DEP_1) | instskip(NEXT) | instid1(VALU_DEP_3)
	v_cndmask_b32_e64 v17, v20, v10, s5
	v_cndmask_b32_e64 v2, v8, v2, s5
	;; [unrolled: 1-line block ×3, first 2 shown]
	s_or_b32 exec_lo, exec_lo, s7
	s_and_saveexec_b32 s6, s4
	s_cbranch_execz .LBB463_60
.LBB463_236:
	v_and_b32_e32 v7, 1, v23
	v_cmp_lt_i64_e64 s4, v[13:14], v[1:2]
	s_delay_alu instid0(VALU_DEP_2) | instskip(SKIP_1) | instid1(VALU_DEP_2)
	v_cmp_eq_u32_e64 s5, 1, v7
	v_and_b32_e32 v7, 1, v17
	s_and_b32 s4, s5, s4
	v_cndmask_b32_e64 v8, v17, 1, s5
	v_cndmask_b32_e64 v1, v1, v13, s4
	;; [unrolled: 1-line block ×3, first 2 shown]
	v_cmp_eq_u32_e64 s4, 1, v7
	s_delay_alu instid0(VALU_DEP_1) | instskip(NEXT) | instid1(VALU_DEP_3)
	v_cndmask_b32_e64 v17, v23, v8, s4
	v_cndmask_b32_e64 v2, v14, v2, s4
	;; [unrolled: 1-line block ×3, first 2 shown]
	s_or_b32 exec_lo, exec_lo, s6
	s_and_saveexec_b32 s5, s3
	s_cbranch_execz .LBB463_61
.LBB463_237:
	v_and_b32_e32 v7, 1, v19
	v_cmp_lt_i64_e64 s3, v[5:6], v[1:2]
	s_delay_alu instid0(VALU_DEP_2) | instskip(SKIP_1) | instid1(VALU_DEP_2)
	v_cmp_eq_u32_e64 s4, 1, v7
	v_and_b32_e32 v7, 1, v17
	s_and_b32 s3, s4, s3
	v_cndmask_b32_e64 v8, v17, 1, s4
	v_cndmask_b32_e64 v1, v1, v5, s3
	;; [unrolled: 1-line block ×3, first 2 shown]
	v_cmp_eq_u32_e64 s3, 1, v7
	s_delay_alu instid0(VALU_DEP_1) | instskip(NEXT) | instid1(VALU_DEP_3)
	v_cndmask_b32_e64 v17, v19, v8, s3
	v_cndmask_b32_e64 v2, v6, v2, s3
	;; [unrolled: 1-line block ×3, first 2 shown]
	s_or_b32 exec_lo, exec_lo, s5
	s_and_saveexec_b32 s4, s2
	s_cbranch_execz .LBB463_62
.LBB463_238:
	v_and_b32_e32 v5, 1, v22
	v_cmp_lt_i64_e64 s2, v[11:12], v[1:2]
	s_delay_alu instid0(VALU_DEP_2) | instskip(SKIP_1) | instid1(VALU_DEP_2)
	v_cmp_eq_u32_e64 s3, 1, v5
	v_and_b32_e32 v5, 1, v17
	s_and_b32 s2, s3, s2
	v_cndmask_b32_e64 v6, v17, 1, s3
	v_cndmask_b32_e64 v1, v1, v11, s2
	;; [unrolled: 1-line block ×3, first 2 shown]
	v_cmp_eq_u32_e64 s2, 1, v5
	s_delay_alu instid0(VALU_DEP_1) | instskip(NEXT) | instid1(VALU_DEP_3)
	v_cndmask_b32_e64 v17, v22, v6, s2
	v_cndmask_b32_e64 v2, v12, v2, s2
	;; [unrolled: 1-line block ×3, first 2 shown]
	s_or_b32 exec_lo, exec_lo, s4
	s_and_saveexec_b32 s3, vcc_lo
	s_cbranch_execnz .LBB463_63
	s_branch .LBB463_64
.LBB463_239:
	v_lshlrev_b32_e32 v3, 2, v0
	s_clause 0x1
	global_load_b32 v10, v3, s[6:7] offset:3072
	global_load_b32 v14, v3, s[8:9] offset:3072
	v_add_co_u32 v3, s4, s5, v13
	s_delay_alu instid0(VALU_DEP_1) | instskip(SKIP_2) | instid1(VALU_DEP_1)
	v_add_co_ci_u32_e64 v4, null, s23, 0, s4
	s_waitcnt vmcnt(0)
	v_cmp_neq_f32_e64 s4, v10, v14
	v_cndmask_b32_e64 v10, 0, 1, s4
	s_or_b32 exec_lo, exec_lo, s27
	s_and_saveexec_b32 s5, s3
	s_cbranch_execz .LBB463_100
.LBB463_240:
	v_and_b32_e32 v13, 1, v11
	v_cmp_lt_i64_e64 s3, v[5:6], v[1:2]
	s_delay_alu instid0(VALU_DEP_2) | instskip(SKIP_1) | instid1(VALU_DEP_2)
	v_cmp_eq_u32_e64 s4, 1, v13
	v_and_b32_e32 v13, 1, v9
	s_and_b32 s3, s4, s3
	v_cndmask_b32_e64 v9, v9, 1, s4
	v_cndmask_b32_e64 v1, v1, v5, s3
	;; [unrolled: 1-line block ×3, first 2 shown]
	v_cmp_eq_u32_e64 s3, 1, v13
	s_delay_alu instid0(VALU_DEP_1) | instskip(NEXT) | instid1(VALU_DEP_3)
	v_cndmask_b32_e64 v9, v11, v9, s3
	v_cndmask_b32_e64 v2, v6, v2, s3
	;; [unrolled: 1-line block ×3, first 2 shown]
	s_or_b32 exec_lo, exec_lo, s5
	s_and_saveexec_b32 s4, s2
	s_cbranch_execz .LBB463_101
.LBB463_241:
	v_and_b32_e32 v5, 1, v12
	v_cmp_lt_i64_e64 s2, v[7:8], v[1:2]
	s_delay_alu instid0(VALU_DEP_2) | instskip(SKIP_1) | instid1(VALU_DEP_2)
	v_cmp_eq_u32_e64 s3, 1, v5
	v_and_b32_e32 v5, 1, v9
	s_and_b32 s2, s3, s2
	v_cndmask_b32_e64 v6, v9, 1, s3
	v_cndmask_b32_e64 v1, v1, v7, s2
	v_cndmask_b32_e64 v2, v2, v8, s2
	v_cmp_eq_u32_e64 s2, 1, v5
	s_delay_alu instid0(VALU_DEP_1) | instskip(NEXT) | instid1(VALU_DEP_3)
	v_cndmask_b32_e64 v9, v12, v6, s2
	v_cndmask_b32_e64 v2, v8, v2, s2
	;; [unrolled: 1-line block ×3, first 2 shown]
	s_or_b32 exec_lo, exec_lo, s4
	s_and_saveexec_b32 s3, vcc_lo
	s_cbranch_execnz .LBB463_102
	s_branch .LBB463_103
	.section	.rodata,"a",@progbits
	.p2align	6, 0x0
	.amdhsa_kernel _ZN7rocprim17ROCPRIM_400000_NS6detail17trampoline_kernelINS0_14default_configENS1_22reduce_config_selectorIN6thrust23THRUST_200600_302600_NS5tupleIblNS6_9null_typeES8_S8_S8_S8_S8_S8_S8_EEEEZNS1_11reduce_implILb1ES3_NS6_12zip_iteratorINS7_INS6_11hip_rocprim26transform_input_iterator_tIbNSD_35transform_pair_of_input_iterators_tIbNS6_6detail15normal_iteratorINS6_10device_ptrIKfEEEESL_NS6_8equal_toIfEEEENSG_9not_fun_tINSD_8identityEEEEENSD_19counting_iterator_tIlEES8_S8_S8_S8_S8_S8_S8_S8_EEEEPS9_S9_NSD_9__find_if7functorIS9_EEEE10hipError_tPvRmT1_T2_T3_mT4_P12ihipStream_tbEUlT_E1_NS1_11comp_targetILNS1_3genE9ELNS1_11target_archE1100ELNS1_3gpuE3ELNS1_3repE0EEENS1_30default_config_static_selectorELNS0_4arch9wavefront6targetE0EEEvS14_
		.amdhsa_group_segment_fixed_size 640
		.amdhsa_private_segment_fixed_size 0
		.amdhsa_kernarg_size 88
		.amdhsa_user_sgpr_count 15
		.amdhsa_user_sgpr_dispatch_ptr 0
		.amdhsa_user_sgpr_queue_ptr 0
		.amdhsa_user_sgpr_kernarg_segment_ptr 1
		.amdhsa_user_sgpr_dispatch_id 0
		.amdhsa_user_sgpr_private_segment_size 0
		.amdhsa_wavefront_size32 1
		.amdhsa_uses_dynamic_stack 0
		.amdhsa_enable_private_segment 0
		.amdhsa_system_sgpr_workgroup_id_x 1
		.amdhsa_system_sgpr_workgroup_id_y 0
		.amdhsa_system_sgpr_workgroup_id_z 0
		.amdhsa_system_sgpr_workgroup_info 0
		.amdhsa_system_vgpr_workitem_id 0
		.amdhsa_next_free_vgpr 27
		.amdhsa_next_free_sgpr 32
		.amdhsa_reserve_vcc 1
		.amdhsa_float_round_mode_32 0
		.amdhsa_float_round_mode_16_64 0
		.amdhsa_float_denorm_mode_32 3
		.amdhsa_float_denorm_mode_16_64 3
		.amdhsa_dx10_clamp 1
		.amdhsa_ieee_mode 1
		.amdhsa_fp16_overflow 0
		.amdhsa_workgroup_processor_mode 1
		.amdhsa_memory_ordered 1
		.amdhsa_forward_progress 0
		.amdhsa_shared_vgpr_count 0
		.amdhsa_exception_fp_ieee_invalid_op 0
		.amdhsa_exception_fp_denorm_src 0
		.amdhsa_exception_fp_ieee_div_zero 0
		.amdhsa_exception_fp_ieee_overflow 0
		.amdhsa_exception_fp_ieee_underflow 0
		.amdhsa_exception_fp_ieee_inexact 0
		.amdhsa_exception_int_div_zero 0
	.end_amdhsa_kernel
	.section	.text._ZN7rocprim17ROCPRIM_400000_NS6detail17trampoline_kernelINS0_14default_configENS1_22reduce_config_selectorIN6thrust23THRUST_200600_302600_NS5tupleIblNS6_9null_typeES8_S8_S8_S8_S8_S8_S8_EEEEZNS1_11reduce_implILb1ES3_NS6_12zip_iteratorINS7_INS6_11hip_rocprim26transform_input_iterator_tIbNSD_35transform_pair_of_input_iterators_tIbNS6_6detail15normal_iteratorINS6_10device_ptrIKfEEEESL_NS6_8equal_toIfEEEENSG_9not_fun_tINSD_8identityEEEEENSD_19counting_iterator_tIlEES8_S8_S8_S8_S8_S8_S8_S8_EEEEPS9_S9_NSD_9__find_if7functorIS9_EEEE10hipError_tPvRmT1_T2_T3_mT4_P12ihipStream_tbEUlT_E1_NS1_11comp_targetILNS1_3genE9ELNS1_11target_archE1100ELNS1_3gpuE3ELNS1_3repE0EEENS1_30default_config_static_selectorELNS0_4arch9wavefront6targetE0EEEvS14_,"axG",@progbits,_ZN7rocprim17ROCPRIM_400000_NS6detail17trampoline_kernelINS0_14default_configENS1_22reduce_config_selectorIN6thrust23THRUST_200600_302600_NS5tupleIblNS6_9null_typeES8_S8_S8_S8_S8_S8_S8_EEEEZNS1_11reduce_implILb1ES3_NS6_12zip_iteratorINS7_INS6_11hip_rocprim26transform_input_iterator_tIbNSD_35transform_pair_of_input_iterators_tIbNS6_6detail15normal_iteratorINS6_10device_ptrIKfEEEESL_NS6_8equal_toIfEEEENSG_9not_fun_tINSD_8identityEEEEENSD_19counting_iterator_tIlEES8_S8_S8_S8_S8_S8_S8_S8_EEEEPS9_S9_NSD_9__find_if7functorIS9_EEEE10hipError_tPvRmT1_T2_T3_mT4_P12ihipStream_tbEUlT_E1_NS1_11comp_targetILNS1_3genE9ELNS1_11target_archE1100ELNS1_3gpuE3ELNS1_3repE0EEENS1_30default_config_static_selectorELNS0_4arch9wavefront6targetE0EEEvS14_,comdat
.Lfunc_end463:
	.size	_ZN7rocprim17ROCPRIM_400000_NS6detail17trampoline_kernelINS0_14default_configENS1_22reduce_config_selectorIN6thrust23THRUST_200600_302600_NS5tupleIblNS6_9null_typeES8_S8_S8_S8_S8_S8_S8_EEEEZNS1_11reduce_implILb1ES3_NS6_12zip_iteratorINS7_INS6_11hip_rocprim26transform_input_iterator_tIbNSD_35transform_pair_of_input_iterators_tIbNS6_6detail15normal_iteratorINS6_10device_ptrIKfEEEESL_NS6_8equal_toIfEEEENSG_9not_fun_tINSD_8identityEEEEENSD_19counting_iterator_tIlEES8_S8_S8_S8_S8_S8_S8_S8_EEEEPS9_S9_NSD_9__find_if7functorIS9_EEEE10hipError_tPvRmT1_T2_T3_mT4_P12ihipStream_tbEUlT_E1_NS1_11comp_targetILNS1_3genE9ELNS1_11target_archE1100ELNS1_3gpuE3ELNS1_3repE0EEENS1_30default_config_static_selectorELNS0_4arch9wavefront6targetE0EEEvS14_, .Lfunc_end463-_ZN7rocprim17ROCPRIM_400000_NS6detail17trampoline_kernelINS0_14default_configENS1_22reduce_config_selectorIN6thrust23THRUST_200600_302600_NS5tupleIblNS6_9null_typeES8_S8_S8_S8_S8_S8_S8_EEEEZNS1_11reduce_implILb1ES3_NS6_12zip_iteratorINS7_INS6_11hip_rocprim26transform_input_iterator_tIbNSD_35transform_pair_of_input_iterators_tIbNS6_6detail15normal_iteratorINS6_10device_ptrIKfEEEESL_NS6_8equal_toIfEEEENSG_9not_fun_tINSD_8identityEEEEENSD_19counting_iterator_tIlEES8_S8_S8_S8_S8_S8_S8_S8_EEEEPS9_S9_NSD_9__find_if7functorIS9_EEEE10hipError_tPvRmT1_T2_T3_mT4_P12ihipStream_tbEUlT_E1_NS1_11comp_targetILNS1_3genE9ELNS1_11target_archE1100ELNS1_3gpuE3ELNS1_3repE0EEENS1_30default_config_static_selectorELNS0_4arch9wavefront6targetE0EEEvS14_
                                        ; -- End function
	.section	.AMDGPU.csdata,"",@progbits
; Kernel info:
; codeLenInByte = 15968
; NumSgprs: 34
; NumVgprs: 27
; ScratchSize: 0
; MemoryBound: 0
; FloatMode: 240
; IeeeMode: 1
; LDSByteSize: 640 bytes/workgroup (compile time only)
; SGPRBlocks: 4
; VGPRBlocks: 3
; NumSGPRsForWavesPerEU: 34
; NumVGPRsForWavesPerEU: 27
; Occupancy: 16
; WaveLimiterHint : 0
; COMPUTE_PGM_RSRC2:SCRATCH_EN: 0
; COMPUTE_PGM_RSRC2:USER_SGPR: 15
; COMPUTE_PGM_RSRC2:TRAP_HANDLER: 0
; COMPUTE_PGM_RSRC2:TGID_X_EN: 1
; COMPUTE_PGM_RSRC2:TGID_Y_EN: 0
; COMPUTE_PGM_RSRC2:TGID_Z_EN: 0
; COMPUTE_PGM_RSRC2:TIDIG_COMP_CNT: 0
	.section	.text._ZN7rocprim17ROCPRIM_400000_NS6detail17trampoline_kernelINS0_14default_configENS1_22reduce_config_selectorIN6thrust23THRUST_200600_302600_NS5tupleIblNS6_9null_typeES8_S8_S8_S8_S8_S8_S8_EEEEZNS1_11reduce_implILb1ES3_NS6_12zip_iteratorINS7_INS6_11hip_rocprim26transform_input_iterator_tIbNSD_35transform_pair_of_input_iterators_tIbNS6_6detail15normal_iteratorINS6_10device_ptrIKfEEEESL_NS6_8equal_toIfEEEENSG_9not_fun_tINSD_8identityEEEEENSD_19counting_iterator_tIlEES8_S8_S8_S8_S8_S8_S8_S8_EEEEPS9_S9_NSD_9__find_if7functorIS9_EEEE10hipError_tPvRmT1_T2_T3_mT4_P12ihipStream_tbEUlT_E1_NS1_11comp_targetILNS1_3genE8ELNS1_11target_archE1030ELNS1_3gpuE2ELNS1_3repE0EEENS1_30default_config_static_selectorELNS0_4arch9wavefront6targetE0EEEvS14_,"axG",@progbits,_ZN7rocprim17ROCPRIM_400000_NS6detail17trampoline_kernelINS0_14default_configENS1_22reduce_config_selectorIN6thrust23THRUST_200600_302600_NS5tupleIblNS6_9null_typeES8_S8_S8_S8_S8_S8_S8_EEEEZNS1_11reduce_implILb1ES3_NS6_12zip_iteratorINS7_INS6_11hip_rocprim26transform_input_iterator_tIbNSD_35transform_pair_of_input_iterators_tIbNS6_6detail15normal_iteratorINS6_10device_ptrIKfEEEESL_NS6_8equal_toIfEEEENSG_9not_fun_tINSD_8identityEEEEENSD_19counting_iterator_tIlEES8_S8_S8_S8_S8_S8_S8_S8_EEEEPS9_S9_NSD_9__find_if7functorIS9_EEEE10hipError_tPvRmT1_T2_T3_mT4_P12ihipStream_tbEUlT_E1_NS1_11comp_targetILNS1_3genE8ELNS1_11target_archE1030ELNS1_3gpuE2ELNS1_3repE0EEENS1_30default_config_static_selectorELNS0_4arch9wavefront6targetE0EEEvS14_,comdat
	.protected	_ZN7rocprim17ROCPRIM_400000_NS6detail17trampoline_kernelINS0_14default_configENS1_22reduce_config_selectorIN6thrust23THRUST_200600_302600_NS5tupleIblNS6_9null_typeES8_S8_S8_S8_S8_S8_S8_EEEEZNS1_11reduce_implILb1ES3_NS6_12zip_iteratorINS7_INS6_11hip_rocprim26transform_input_iterator_tIbNSD_35transform_pair_of_input_iterators_tIbNS6_6detail15normal_iteratorINS6_10device_ptrIKfEEEESL_NS6_8equal_toIfEEEENSG_9not_fun_tINSD_8identityEEEEENSD_19counting_iterator_tIlEES8_S8_S8_S8_S8_S8_S8_S8_EEEEPS9_S9_NSD_9__find_if7functorIS9_EEEE10hipError_tPvRmT1_T2_T3_mT4_P12ihipStream_tbEUlT_E1_NS1_11comp_targetILNS1_3genE8ELNS1_11target_archE1030ELNS1_3gpuE2ELNS1_3repE0EEENS1_30default_config_static_selectorELNS0_4arch9wavefront6targetE0EEEvS14_ ; -- Begin function _ZN7rocprim17ROCPRIM_400000_NS6detail17trampoline_kernelINS0_14default_configENS1_22reduce_config_selectorIN6thrust23THRUST_200600_302600_NS5tupleIblNS6_9null_typeES8_S8_S8_S8_S8_S8_S8_EEEEZNS1_11reduce_implILb1ES3_NS6_12zip_iteratorINS7_INS6_11hip_rocprim26transform_input_iterator_tIbNSD_35transform_pair_of_input_iterators_tIbNS6_6detail15normal_iteratorINS6_10device_ptrIKfEEEESL_NS6_8equal_toIfEEEENSG_9not_fun_tINSD_8identityEEEEENSD_19counting_iterator_tIlEES8_S8_S8_S8_S8_S8_S8_S8_EEEEPS9_S9_NSD_9__find_if7functorIS9_EEEE10hipError_tPvRmT1_T2_T3_mT4_P12ihipStream_tbEUlT_E1_NS1_11comp_targetILNS1_3genE8ELNS1_11target_archE1030ELNS1_3gpuE2ELNS1_3repE0EEENS1_30default_config_static_selectorELNS0_4arch9wavefront6targetE0EEEvS14_
	.globl	_ZN7rocprim17ROCPRIM_400000_NS6detail17trampoline_kernelINS0_14default_configENS1_22reduce_config_selectorIN6thrust23THRUST_200600_302600_NS5tupleIblNS6_9null_typeES8_S8_S8_S8_S8_S8_S8_EEEEZNS1_11reduce_implILb1ES3_NS6_12zip_iteratorINS7_INS6_11hip_rocprim26transform_input_iterator_tIbNSD_35transform_pair_of_input_iterators_tIbNS6_6detail15normal_iteratorINS6_10device_ptrIKfEEEESL_NS6_8equal_toIfEEEENSG_9not_fun_tINSD_8identityEEEEENSD_19counting_iterator_tIlEES8_S8_S8_S8_S8_S8_S8_S8_EEEEPS9_S9_NSD_9__find_if7functorIS9_EEEE10hipError_tPvRmT1_T2_T3_mT4_P12ihipStream_tbEUlT_E1_NS1_11comp_targetILNS1_3genE8ELNS1_11target_archE1030ELNS1_3gpuE2ELNS1_3repE0EEENS1_30default_config_static_selectorELNS0_4arch9wavefront6targetE0EEEvS14_
	.p2align	8
	.type	_ZN7rocprim17ROCPRIM_400000_NS6detail17trampoline_kernelINS0_14default_configENS1_22reduce_config_selectorIN6thrust23THRUST_200600_302600_NS5tupleIblNS6_9null_typeES8_S8_S8_S8_S8_S8_S8_EEEEZNS1_11reduce_implILb1ES3_NS6_12zip_iteratorINS7_INS6_11hip_rocprim26transform_input_iterator_tIbNSD_35transform_pair_of_input_iterators_tIbNS6_6detail15normal_iteratorINS6_10device_ptrIKfEEEESL_NS6_8equal_toIfEEEENSG_9not_fun_tINSD_8identityEEEEENSD_19counting_iterator_tIlEES8_S8_S8_S8_S8_S8_S8_S8_EEEEPS9_S9_NSD_9__find_if7functorIS9_EEEE10hipError_tPvRmT1_T2_T3_mT4_P12ihipStream_tbEUlT_E1_NS1_11comp_targetILNS1_3genE8ELNS1_11target_archE1030ELNS1_3gpuE2ELNS1_3repE0EEENS1_30default_config_static_selectorELNS0_4arch9wavefront6targetE0EEEvS14_,@function
_ZN7rocprim17ROCPRIM_400000_NS6detail17trampoline_kernelINS0_14default_configENS1_22reduce_config_selectorIN6thrust23THRUST_200600_302600_NS5tupleIblNS6_9null_typeES8_S8_S8_S8_S8_S8_S8_EEEEZNS1_11reduce_implILb1ES3_NS6_12zip_iteratorINS7_INS6_11hip_rocprim26transform_input_iterator_tIbNSD_35transform_pair_of_input_iterators_tIbNS6_6detail15normal_iteratorINS6_10device_ptrIKfEEEESL_NS6_8equal_toIfEEEENSG_9not_fun_tINSD_8identityEEEEENSD_19counting_iterator_tIlEES8_S8_S8_S8_S8_S8_S8_S8_EEEEPS9_S9_NSD_9__find_if7functorIS9_EEEE10hipError_tPvRmT1_T2_T3_mT4_P12ihipStream_tbEUlT_E1_NS1_11comp_targetILNS1_3genE8ELNS1_11target_archE1030ELNS1_3gpuE2ELNS1_3repE0EEENS1_30default_config_static_selectorELNS0_4arch9wavefront6targetE0EEEvS14_: ; @_ZN7rocprim17ROCPRIM_400000_NS6detail17trampoline_kernelINS0_14default_configENS1_22reduce_config_selectorIN6thrust23THRUST_200600_302600_NS5tupleIblNS6_9null_typeES8_S8_S8_S8_S8_S8_S8_EEEEZNS1_11reduce_implILb1ES3_NS6_12zip_iteratorINS7_INS6_11hip_rocprim26transform_input_iterator_tIbNSD_35transform_pair_of_input_iterators_tIbNS6_6detail15normal_iteratorINS6_10device_ptrIKfEEEESL_NS6_8equal_toIfEEEENSG_9not_fun_tINSD_8identityEEEEENSD_19counting_iterator_tIlEES8_S8_S8_S8_S8_S8_S8_S8_EEEEPS9_S9_NSD_9__find_if7functorIS9_EEEE10hipError_tPvRmT1_T2_T3_mT4_P12ihipStream_tbEUlT_E1_NS1_11comp_targetILNS1_3genE8ELNS1_11target_archE1030ELNS1_3gpuE2ELNS1_3repE0EEENS1_30default_config_static_selectorELNS0_4arch9wavefront6targetE0EEEvS14_
; %bb.0:
	.section	.rodata,"a",@progbits
	.p2align	6, 0x0
	.amdhsa_kernel _ZN7rocprim17ROCPRIM_400000_NS6detail17trampoline_kernelINS0_14default_configENS1_22reduce_config_selectorIN6thrust23THRUST_200600_302600_NS5tupleIblNS6_9null_typeES8_S8_S8_S8_S8_S8_S8_EEEEZNS1_11reduce_implILb1ES3_NS6_12zip_iteratorINS7_INS6_11hip_rocprim26transform_input_iterator_tIbNSD_35transform_pair_of_input_iterators_tIbNS6_6detail15normal_iteratorINS6_10device_ptrIKfEEEESL_NS6_8equal_toIfEEEENSG_9not_fun_tINSD_8identityEEEEENSD_19counting_iterator_tIlEES8_S8_S8_S8_S8_S8_S8_S8_EEEEPS9_S9_NSD_9__find_if7functorIS9_EEEE10hipError_tPvRmT1_T2_T3_mT4_P12ihipStream_tbEUlT_E1_NS1_11comp_targetILNS1_3genE8ELNS1_11target_archE1030ELNS1_3gpuE2ELNS1_3repE0EEENS1_30default_config_static_selectorELNS0_4arch9wavefront6targetE0EEEvS14_
		.amdhsa_group_segment_fixed_size 0
		.amdhsa_private_segment_fixed_size 0
		.amdhsa_kernarg_size 88
		.amdhsa_user_sgpr_count 15
		.amdhsa_user_sgpr_dispatch_ptr 0
		.amdhsa_user_sgpr_queue_ptr 0
		.amdhsa_user_sgpr_kernarg_segment_ptr 1
		.amdhsa_user_sgpr_dispatch_id 0
		.amdhsa_user_sgpr_private_segment_size 0
		.amdhsa_wavefront_size32 1
		.amdhsa_uses_dynamic_stack 0
		.amdhsa_enable_private_segment 0
		.amdhsa_system_sgpr_workgroup_id_x 1
		.amdhsa_system_sgpr_workgroup_id_y 0
		.amdhsa_system_sgpr_workgroup_id_z 0
		.amdhsa_system_sgpr_workgroup_info 0
		.amdhsa_system_vgpr_workitem_id 0
		.amdhsa_next_free_vgpr 1
		.amdhsa_next_free_sgpr 1
		.amdhsa_reserve_vcc 0
		.amdhsa_float_round_mode_32 0
		.amdhsa_float_round_mode_16_64 0
		.amdhsa_float_denorm_mode_32 3
		.amdhsa_float_denorm_mode_16_64 3
		.amdhsa_dx10_clamp 1
		.amdhsa_ieee_mode 1
		.amdhsa_fp16_overflow 0
		.amdhsa_workgroup_processor_mode 1
		.amdhsa_memory_ordered 1
		.amdhsa_forward_progress 0
		.amdhsa_shared_vgpr_count 0
		.amdhsa_exception_fp_ieee_invalid_op 0
		.amdhsa_exception_fp_denorm_src 0
		.amdhsa_exception_fp_ieee_div_zero 0
		.amdhsa_exception_fp_ieee_overflow 0
		.amdhsa_exception_fp_ieee_underflow 0
		.amdhsa_exception_fp_ieee_inexact 0
		.amdhsa_exception_int_div_zero 0
	.end_amdhsa_kernel
	.section	.text._ZN7rocprim17ROCPRIM_400000_NS6detail17trampoline_kernelINS0_14default_configENS1_22reduce_config_selectorIN6thrust23THRUST_200600_302600_NS5tupleIblNS6_9null_typeES8_S8_S8_S8_S8_S8_S8_EEEEZNS1_11reduce_implILb1ES3_NS6_12zip_iteratorINS7_INS6_11hip_rocprim26transform_input_iterator_tIbNSD_35transform_pair_of_input_iterators_tIbNS6_6detail15normal_iteratorINS6_10device_ptrIKfEEEESL_NS6_8equal_toIfEEEENSG_9not_fun_tINSD_8identityEEEEENSD_19counting_iterator_tIlEES8_S8_S8_S8_S8_S8_S8_S8_EEEEPS9_S9_NSD_9__find_if7functorIS9_EEEE10hipError_tPvRmT1_T2_T3_mT4_P12ihipStream_tbEUlT_E1_NS1_11comp_targetILNS1_3genE8ELNS1_11target_archE1030ELNS1_3gpuE2ELNS1_3repE0EEENS1_30default_config_static_selectorELNS0_4arch9wavefront6targetE0EEEvS14_,"axG",@progbits,_ZN7rocprim17ROCPRIM_400000_NS6detail17trampoline_kernelINS0_14default_configENS1_22reduce_config_selectorIN6thrust23THRUST_200600_302600_NS5tupleIblNS6_9null_typeES8_S8_S8_S8_S8_S8_S8_EEEEZNS1_11reduce_implILb1ES3_NS6_12zip_iteratorINS7_INS6_11hip_rocprim26transform_input_iterator_tIbNSD_35transform_pair_of_input_iterators_tIbNS6_6detail15normal_iteratorINS6_10device_ptrIKfEEEESL_NS6_8equal_toIfEEEENSG_9not_fun_tINSD_8identityEEEEENSD_19counting_iterator_tIlEES8_S8_S8_S8_S8_S8_S8_S8_EEEEPS9_S9_NSD_9__find_if7functorIS9_EEEE10hipError_tPvRmT1_T2_T3_mT4_P12ihipStream_tbEUlT_E1_NS1_11comp_targetILNS1_3genE8ELNS1_11target_archE1030ELNS1_3gpuE2ELNS1_3repE0EEENS1_30default_config_static_selectorELNS0_4arch9wavefront6targetE0EEEvS14_,comdat
.Lfunc_end464:
	.size	_ZN7rocprim17ROCPRIM_400000_NS6detail17trampoline_kernelINS0_14default_configENS1_22reduce_config_selectorIN6thrust23THRUST_200600_302600_NS5tupleIblNS6_9null_typeES8_S8_S8_S8_S8_S8_S8_EEEEZNS1_11reduce_implILb1ES3_NS6_12zip_iteratorINS7_INS6_11hip_rocprim26transform_input_iterator_tIbNSD_35transform_pair_of_input_iterators_tIbNS6_6detail15normal_iteratorINS6_10device_ptrIKfEEEESL_NS6_8equal_toIfEEEENSG_9not_fun_tINSD_8identityEEEEENSD_19counting_iterator_tIlEES8_S8_S8_S8_S8_S8_S8_S8_EEEEPS9_S9_NSD_9__find_if7functorIS9_EEEE10hipError_tPvRmT1_T2_T3_mT4_P12ihipStream_tbEUlT_E1_NS1_11comp_targetILNS1_3genE8ELNS1_11target_archE1030ELNS1_3gpuE2ELNS1_3repE0EEENS1_30default_config_static_selectorELNS0_4arch9wavefront6targetE0EEEvS14_, .Lfunc_end464-_ZN7rocprim17ROCPRIM_400000_NS6detail17trampoline_kernelINS0_14default_configENS1_22reduce_config_selectorIN6thrust23THRUST_200600_302600_NS5tupleIblNS6_9null_typeES8_S8_S8_S8_S8_S8_S8_EEEEZNS1_11reduce_implILb1ES3_NS6_12zip_iteratorINS7_INS6_11hip_rocprim26transform_input_iterator_tIbNSD_35transform_pair_of_input_iterators_tIbNS6_6detail15normal_iteratorINS6_10device_ptrIKfEEEESL_NS6_8equal_toIfEEEENSG_9not_fun_tINSD_8identityEEEEENSD_19counting_iterator_tIlEES8_S8_S8_S8_S8_S8_S8_S8_EEEEPS9_S9_NSD_9__find_if7functorIS9_EEEE10hipError_tPvRmT1_T2_T3_mT4_P12ihipStream_tbEUlT_E1_NS1_11comp_targetILNS1_3genE8ELNS1_11target_archE1030ELNS1_3gpuE2ELNS1_3repE0EEENS1_30default_config_static_selectorELNS0_4arch9wavefront6targetE0EEEvS14_
                                        ; -- End function
	.section	.AMDGPU.csdata,"",@progbits
; Kernel info:
; codeLenInByte = 0
; NumSgprs: 0
; NumVgprs: 0
; ScratchSize: 0
; MemoryBound: 0
; FloatMode: 240
; IeeeMode: 1
; LDSByteSize: 0 bytes/workgroup (compile time only)
; SGPRBlocks: 0
; VGPRBlocks: 0
; NumSGPRsForWavesPerEU: 1
; NumVGPRsForWavesPerEU: 1
; Occupancy: 16
; WaveLimiterHint : 0
; COMPUTE_PGM_RSRC2:SCRATCH_EN: 0
; COMPUTE_PGM_RSRC2:USER_SGPR: 15
; COMPUTE_PGM_RSRC2:TRAP_HANDLER: 0
; COMPUTE_PGM_RSRC2:TGID_X_EN: 1
; COMPUTE_PGM_RSRC2:TGID_Y_EN: 0
; COMPUTE_PGM_RSRC2:TGID_Z_EN: 0
; COMPUTE_PGM_RSRC2:TIDIG_COMP_CNT: 0
	.section	.text._ZN7rocprim17ROCPRIM_400000_NS6detail17trampoline_kernelINS0_14default_configENS1_22reduce_config_selectorIN6thrust23THRUST_200600_302600_NS5tupleIblNS6_9null_typeES8_S8_S8_S8_S8_S8_S8_EEEEZNS1_11reduce_implILb1ES3_NS6_12zip_iteratorINS7_INS6_11hip_rocprim26transform_input_iterator_tIbNSD_35transform_pair_of_input_iterators_tIbNS6_6detail15normal_iteratorINS6_10device_ptrIKyEEEESL_NS6_8equal_toIyEEEENSG_9not_fun_tINSD_8identityEEEEENSD_19counting_iterator_tIlEES8_S8_S8_S8_S8_S8_S8_S8_EEEEPS9_S9_NSD_9__find_if7functorIS9_EEEE10hipError_tPvRmT1_T2_T3_mT4_P12ihipStream_tbEUlT_E0_NS1_11comp_targetILNS1_3genE0ELNS1_11target_archE4294967295ELNS1_3gpuE0ELNS1_3repE0EEENS1_30default_config_static_selectorELNS0_4arch9wavefront6targetE0EEEvS14_,"axG",@progbits,_ZN7rocprim17ROCPRIM_400000_NS6detail17trampoline_kernelINS0_14default_configENS1_22reduce_config_selectorIN6thrust23THRUST_200600_302600_NS5tupleIblNS6_9null_typeES8_S8_S8_S8_S8_S8_S8_EEEEZNS1_11reduce_implILb1ES3_NS6_12zip_iteratorINS7_INS6_11hip_rocprim26transform_input_iterator_tIbNSD_35transform_pair_of_input_iterators_tIbNS6_6detail15normal_iteratorINS6_10device_ptrIKyEEEESL_NS6_8equal_toIyEEEENSG_9not_fun_tINSD_8identityEEEEENSD_19counting_iterator_tIlEES8_S8_S8_S8_S8_S8_S8_S8_EEEEPS9_S9_NSD_9__find_if7functorIS9_EEEE10hipError_tPvRmT1_T2_T3_mT4_P12ihipStream_tbEUlT_E0_NS1_11comp_targetILNS1_3genE0ELNS1_11target_archE4294967295ELNS1_3gpuE0ELNS1_3repE0EEENS1_30default_config_static_selectorELNS0_4arch9wavefront6targetE0EEEvS14_,comdat
	.protected	_ZN7rocprim17ROCPRIM_400000_NS6detail17trampoline_kernelINS0_14default_configENS1_22reduce_config_selectorIN6thrust23THRUST_200600_302600_NS5tupleIblNS6_9null_typeES8_S8_S8_S8_S8_S8_S8_EEEEZNS1_11reduce_implILb1ES3_NS6_12zip_iteratorINS7_INS6_11hip_rocprim26transform_input_iterator_tIbNSD_35transform_pair_of_input_iterators_tIbNS6_6detail15normal_iteratorINS6_10device_ptrIKyEEEESL_NS6_8equal_toIyEEEENSG_9not_fun_tINSD_8identityEEEEENSD_19counting_iterator_tIlEES8_S8_S8_S8_S8_S8_S8_S8_EEEEPS9_S9_NSD_9__find_if7functorIS9_EEEE10hipError_tPvRmT1_T2_T3_mT4_P12ihipStream_tbEUlT_E0_NS1_11comp_targetILNS1_3genE0ELNS1_11target_archE4294967295ELNS1_3gpuE0ELNS1_3repE0EEENS1_30default_config_static_selectorELNS0_4arch9wavefront6targetE0EEEvS14_ ; -- Begin function _ZN7rocprim17ROCPRIM_400000_NS6detail17trampoline_kernelINS0_14default_configENS1_22reduce_config_selectorIN6thrust23THRUST_200600_302600_NS5tupleIblNS6_9null_typeES8_S8_S8_S8_S8_S8_S8_EEEEZNS1_11reduce_implILb1ES3_NS6_12zip_iteratorINS7_INS6_11hip_rocprim26transform_input_iterator_tIbNSD_35transform_pair_of_input_iterators_tIbNS6_6detail15normal_iteratorINS6_10device_ptrIKyEEEESL_NS6_8equal_toIyEEEENSG_9not_fun_tINSD_8identityEEEEENSD_19counting_iterator_tIlEES8_S8_S8_S8_S8_S8_S8_S8_EEEEPS9_S9_NSD_9__find_if7functorIS9_EEEE10hipError_tPvRmT1_T2_T3_mT4_P12ihipStream_tbEUlT_E0_NS1_11comp_targetILNS1_3genE0ELNS1_11target_archE4294967295ELNS1_3gpuE0ELNS1_3repE0EEENS1_30default_config_static_selectorELNS0_4arch9wavefront6targetE0EEEvS14_
	.globl	_ZN7rocprim17ROCPRIM_400000_NS6detail17trampoline_kernelINS0_14default_configENS1_22reduce_config_selectorIN6thrust23THRUST_200600_302600_NS5tupleIblNS6_9null_typeES8_S8_S8_S8_S8_S8_S8_EEEEZNS1_11reduce_implILb1ES3_NS6_12zip_iteratorINS7_INS6_11hip_rocprim26transform_input_iterator_tIbNSD_35transform_pair_of_input_iterators_tIbNS6_6detail15normal_iteratorINS6_10device_ptrIKyEEEESL_NS6_8equal_toIyEEEENSG_9not_fun_tINSD_8identityEEEEENSD_19counting_iterator_tIlEES8_S8_S8_S8_S8_S8_S8_S8_EEEEPS9_S9_NSD_9__find_if7functorIS9_EEEE10hipError_tPvRmT1_T2_T3_mT4_P12ihipStream_tbEUlT_E0_NS1_11comp_targetILNS1_3genE0ELNS1_11target_archE4294967295ELNS1_3gpuE0ELNS1_3repE0EEENS1_30default_config_static_selectorELNS0_4arch9wavefront6targetE0EEEvS14_
	.p2align	8
	.type	_ZN7rocprim17ROCPRIM_400000_NS6detail17trampoline_kernelINS0_14default_configENS1_22reduce_config_selectorIN6thrust23THRUST_200600_302600_NS5tupleIblNS6_9null_typeES8_S8_S8_S8_S8_S8_S8_EEEEZNS1_11reduce_implILb1ES3_NS6_12zip_iteratorINS7_INS6_11hip_rocprim26transform_input_iterator_tIbNSD_35transform_pair_of_input_iterators_tIbNS6_6detail15normal_iteratorINS6_10device_ptrIKyEEEESL_NS6_8equal_toIyEEEENSG_9not_fun_tINSD_8identityEEEEENSD_19counting_iterator_tIlEES8_S8_S8_S8_S8_S8_S8_S8_EEEEPS9_S9_NSD_9__find_if7functorIS9_EEEE10hipError_tPvRmT1_T2_T3_mT4_P12ihipStream_tbEUlT_E0_NS1_11comp_targetILNS1_3genE0ELNS1_11target_archE4294967295ELNS1_3gpuE0ELNS1_3repE0EEENS1_30default_config_static_selectorELNS0_4arch9wavefront6targetE0EEEvS14_,@function
_ZN7rocprim17ROCPRIM_400000_NS6detail17trampoline_kernelINS0_14default_configENS1_22reduce_config_selectorIN6thrust23THRUST_200600_302600_NS5tupleIblNS6_9null_typeES8_S8_S8_S8_S8_S8_S8_EEEEZNS1_11reduce_implILb1ES3_NS6_12zip_iteratorINS7_INS6_11hip_rocprim26transform_input_iterator_tIbNSD_35transform_pair_of_input_iterators_tIbNS6_6detail15normal_iteratorINS6_10device_ptrIKyEEEESL_NS6_8equal_toIyEEEENSG_9not_fun_tINSD_8identityEEEEENSD_19counting_iterator_tIlEES8_S8_S8_S8_S8_S8_S8_S8_EEEEPS9_S9_NSD_9__find_if7functorIS9_EEEE10hipError_tPvRmT1_T2_T3_mT4_P12ihipStream_tbEUlT_E0_NS1_11comp_targetILNS1_3genE0ELNS1_11target_archE4294967295ELNS1_3gpuE0ELNS1_3repE0EEENS1_30default_config_static_selectorELNS0_4arch9wavefront6targetE0EEEvS14_: ; @_ZN7rocprim17ROCPRIM_400000_NS6detail17trampoline_kernelINS0_14default_configENS1_22reduce_config_selectorIN6thrust23THRUST_200600_302600_NS5tupleIblNS6_9null_typeES8_S8_S8_S8_S8_S8_S8_EEEEZNS1_11reduce_implILb1ES3_NS6_12zip_iteratorINS7_INS6_11hip_rocprim26transform_input_iterator_tIbNSD_35transform_pair_of_input_iterators_tIbNS6_6detail15normal_iteratorINS6_10device_ptrIKyEEEESL_NS6_8equal_toIyEEEENSG_9not_fun_tINSD_8identityEEEEENSD_19counting_iterator_tIlEES8_S8_S8_S8_S8_S8_S8_S8_EEEEPS9_S9_NSD_9__find_if7functorIS9_EEEE10hipError_tPvRmT1_T2_T3_mT4_P12ihipStream_tbEUlT_E0_NS1_11comp_targetILNS1_3genE0ELNS1_11target_archE4294967295ELNS1_3gpuE0ELNS1_3repE0EEENS1_30default_config_static_selectorELNS0_4arch9wavefront6targetE0EEEvS14_
; %bb.0:
	.section	.rodata,"a",@progbits
	.p2align	6, 0x0
	.amdhsa_kernel _ZN7rocprim17ROCPRIM_400000_NS6detail17trampoline_kernelINS0_14default_configENS1_22reduce_config_selectorIN6thrust23THRUST_200600_302600_NS5tupleIblNS6_9null_typeES8_S8_S8_S8_S8_S8_S8_EEEEZNS1_11reduce_implILb1ES3_NS6_12zip_iteratorINS7_INS6_11hip_rocprim26transform_input_iterator_tIbNSD_35transform_pair_of_input_iterators_tIbNS6_6detail15normal_iteratorINS6_10device_ptrIKyEEEESL_NS6_8equal_toIyEEEENSG_9not_fun_tINSD_8identityEEEEENSD_19counting_iterator_tIlEES8_S8_S8_S8_S8_S8_S8_S8_EEEEPS9_S9_NSD_9__find_if7functorIS9_EEEE10hipError_tPvRmT1_T2_T3_mT4_P12ihipStream_tbEUlT_E0_NS1_11comp_targetILNS1_3genE0ELNS1_11target_archE4294967295ELNS1_3gpuE0ELNS1_3repE0EEENS1_30default_config_static_selectorELNS0_4arch9wavefront6targetE0EEEvS14_
		.amdhsa_group_segment_fixed_size 0
		.amdhsa_private_segment_fixed_size 0
		.amdhsa_kernarg_size 104
		.amdhsa_user_sgpr_count 15
		.amdhsa_user_sgpr_dispatch_ptr 0
		.amdhsa_user_sgpr_queue_ptr 0
		.amdhsa_user_sgpr_kernarg_segment_ptr 1
		.amdhsa_user_sgpr_dispatch_id 0
		.amdhsa_user_sgpr_private_segment_size 0
		.amdhsa_wavefront_size32 1
		.amdhsa_uses_dynamic_stack 0
		.amdhsa_enable_private_segment 0
		.amdhsa_system_sgpr_workgroup_id_x 1
		.amdhsa_system_sgpr_workgroup_id_y 0
		.amdhsa_system_sgpr_workgroup_id_z 0
		.amdhsa_system_sgpr_workgroup_info 0
		.amdhsa_system_vgpr_workitem_id 0
		.amdhsa_next_free_vgpr 1
		.amdhsa_next_free_sgpr 1
		.amdhsa_reserve_vcc 0
		.amdhsa_float_round_mode_32 0
		.amdhsa_float_round_mode_16_64 0
		.amdhsa_float_denorm_mode_32 3
		.amdhsa_float_denorm_mode_16_64 3
		.amdhsa_dx10_clamp 1
		.amdhsa_ieee_mode 1
		.amdhsa_fp16_overflow 0
		.amdhsa_workgroup_processor_mode 1
		.amdhsa_memory_ordered 1
		.amdhsa_forward_progress 0
		.amdhsa_shared_vgpr_count 0
		.amdhsa_exception_fp_ieee_invalid_op 0
		.amdhsa_exception_fp_denorm_src 0
		.amdhsa_exception_fp_ieee_div_zero 0
		.amdhsa_exception_fp_ieee_overflow 0
		.amdhsa_exception_fp_ieee_underflow 0
		.amdhsa_exception_fp_ieee_inexact 0
		.amdhsa_exception_int_div_zero 0
	.end_amdhsa_kernel
	.section	.text._ZN7rocprim17ROCPRIM_400000_NS6detail17trampoline_kernelINS0_14default_configENS1_22reduce_config_selectorIN6thrust23THRUST_200600_302600_NS5tupleIblNS6_9null_typeES8_S8_S8_S8_S8_S8_S8_EEEEZNS1_11reduce_implILb1ES3_NS6_12zip_iteratorINS7_INS6_11hip_rocprim26transform_input_iterator_tIbNSD_35transform_pair_of_input_iterators_tIbNS6_6detail15normal_iteratorINS6_10device_ptrIKyEEEESL_NS6_8equal_toIyEEEENSG_9not_fun_tINSD_8identityEEEEENSD_19counting_iterator_tIlEES8_S8_S8_S8_S8_S8_S8_S8_EEEEPS9_S9_NSD_9__find_if7functorIS9_EEEE10hipError_tPvRmT1_T2_T3_mT4_P12ihipStream_tbEUlT_E0_NS1_11comp_targetILNS1_3genE0ELNS1_11target_archE4294967295ELNS1_3gpuE0ELNS1_3repE0EEENS1_30default_config_static_selectorELNS0_4arch9wavefront6targetE0EEEvS14_,"axG",@progbits,_ZN7rocprim17ROCPRIM_400000_NS6detail17trampoline_kernelINS0_14default_configENS1_22reduce_config_selectorIN6thrust23THRUST_200600_302600_NS5tupleIblNS6_9null_typeES8_S8_S8_S8_S8_S8_S8_EEEEZNS1_11reduce_implILb1ES3_NS6_12zip_iteratorINS7_INS6_11hip_rocprim26transform_input_iterator_tIbNSD_35transform_pair_of_input_iterators_tIbNS6_6detail15normal_iteratorINS6_10device_ptrIKyEEEESL_NS6_8equal_toIyEEEENSG_9not_fun_tINSD_8identityEEEEENSD_19counting_iterator_tIlEES8_S8_S8_S8_S8_S8_S8_S8_EEEEPS9_S9_NSD_9__find_if7functorIS9_EEEE10hipError_tPvRmT1_T2_T3_mT4_P12ihipStream_tbEUlT_E0_NS1_11comp_targetILNS1_3genE0ELNS1_11target_archE4294967295ELNS1_3gpuE0ELNS1_3repE0EEENS1_30default_config_static_selectorELNS0_4arch9wavefront6targetE0EEEvS14_,comdat
.Lfunc_end465:
	.size	_ZN7rocprim17ROCPRIM_400000_NS6detail17trampoline_kernelINS0_14default_configENS1_22reduce_config_selectorIN6thrust23THRUST_200600_302600_NS5tupleIblNS6_9null_typeES8_S8_S8_S8_S8_S8_S8_EEEEZNS1_11reduce_implILb1ES3_NS6_12zip_iteratorINS7_INS6_11hip_rocprim26transform_input_iterator_tIbNSD_35transform_pair_of_input_iterators_tIbNS6_6detail15normal_iteratorINS6_10device_ptrIKyEEEESL_NS6_8equal_toIyEEEENSG_9not_fun_tINSD_8identityEEEEENSD_19counting_iterator_tIlEES8_S8_S8_S8_S8_S8_S8_S8_EEEEPS9_S9_NSD_9__find_if7functorIS9_EEEE10hipError_tPvRmT1_T2_T3_mT4_P12ihipStream_tbEUlT_E0_NS1_11comp_targetILNS1_3genE0ELNS1_11target_archE4294967295ELNS1_3gpuE0ELNS1_3repE0EEENS1_30default_config_static_selectorELNS0_4arch9wavefront6targetE0EEEvS14_, .Lfunc_end465-_ZN7rocprim17ROCPRIM_400000_NS6detail17trampoline_kernelINS0_14default_configENS1_22reduce_config_selectorIN6thrust23THRUST_200600_302600_NS5tupleIblNS6_9null_typeES8_S8_S8_S8_S8_S8_S8_EEEEZNS1_11reduce_implILb1ES3_NS6_12zip_iteratorINS7_INS6_11hip_rocprim26transform_input_iterator_tIbNSD_35transform_pair_of_input_iterators_tIbNS6_6detail15normal_iteratorINS6_10device_ptrIKyEEEESL_NS6_8equal_toIyEEEENSG_9not_fun_tINSD_8identityEEEEENSD_19counting_iterator_tIlEES8_S8_S8_S8_S8_S8_S8_S8_EEEEPS9_S9_NSD_9__find_if7functorIS9_EEEE10hipError_tPvRmT1_T2_T3_mT4_P12ihipStream_tbEUlT_E0_NS1_11comp_targetILNS1_3genE0ELNS1_11target_archE4294967295ELNS1_3gpuE0ELNS1_3repE0EEENS1_30default_config_static_selectorELNS0_4arch9wavefront6targetE0EEEvS14_
                                        ; -- End function
	.section	.AMDGPU.csdata,"",@progbits
; Kernel info:
; codeLenInByte = 0
; NumSgprs: 0
; NumVgprs: 0
; ScratchSize: 0
; MemoryBound: 0
; FloatMode: 240
; IeeeMode: 1
; LDSByteSize: 0 bytes/workgroup (compile time only)
; SGPRBlocks: 0
; VGPRBlocks: 0
; NumSGPRsForWavesPerEU: 1
; NumVGPRsForWavesPerEU: 1
; Occupancy: 16
; WaveLimiterHint : 0
; COMPUTE_PGM_RSRC2:SCRATCH_EN: 0
; COMPUTE_PGM_RSRC2:USER_SGPR: 15
; COMPUTE_PGM_RSRC2:TRAP_HANDLER: 0
; COMPUTE_PGM_RSRC2:TGID_X_EN: 1
; COMPUTE_PGM_RSRC2:TGID_Y_EN: 0
; COMPUTE_PGM_RSRC2:TGID_Z_EN: 0
; COMPUTE_PGM_RSRC2:TIDIG_COMP_CNT: 0
	.section	.text._ZN7rocprim17ROCPRIM_400000_NS6detail17trampoline_kernelINS0_14default_configENS1_22reduce_config_selectorIN6thrust23THRUST_200600_302600_NS5tupleIblNS6_9null_typeES8_S8_S8_S8_S8_S8_S8_EEEEZNS1_11reduce_implILb1ES3_NS6_12zip_iteratorINS7_INS6_11hip_rocprim26transform_input_iterator_tIbNSD_35transform_pair_of_input_iterators_tIbNS6_6detail15normal_iteratorINS6_10device_ptrIKyEEEESL_NS6_8equal_toIyEEEENSG_9not_fun_tINSD_8identityEEEEENSD_19counting_iterator_tIlEES8_S8_S8_S8_S8_S8_S8_S8_EEEEPS9_S9_NSD_9__find_if7functorIS9_EEEE10hipError_tPvRmT1_T2_T3_mT4_P12ihipStream_tbEUlT_E0_NS1_11comp_targetILNS1_3genE5ELNS1_11target_archE942ELNS1_3gpuE9ELNS1_3repE0EEENS1_30default_config_static_selectorELNS0_4arch9wavefront6targetE0EEEvS14_,"axG",@progbits,_ZN7rocprim17ROCPRIM_400000_NS6detail17trampoline_kernelINS0_14default_configENS1_22reduce_config_selectorIN6thrust23THRUST_200600_302600_NS5tupleIblNS6_9null_typeES8_S8_S8_S8_S8_S8_S8_EEEEZNS1_11reduce_implILb1ES3_NS6_12zip_iteratorINS7_INS6_11hip_rocprim26transform_input_iterator_tIbNSD_35transform_pair_of_input_iterators_tIbNS6_6detail15normal_iteratorINS6_10device_ptrIKyEEEESL_NS6_8equal_toIyEEEENSG_9not_fun_tINSD_8identityEEEEENSD_19counting_iterator_tIlEES8_S8_S8_S8_S8_S8_S8_S8_EEEEPS9_S9_NSD_9__find_if7functorIS9_EEEE10hipError_tPvRmT1_T2_T3_mT4_P12ihipStream_tbEUlT_E0_NS1_11comp_targetILNS1_3genE5ELNS1_11target_archE942ELNS1_3gpuE9ELNS1_3repE0EEENS1_30default_config_static_selectorELNS0_4arch9wavefront6targetE0EEEvS14_,comdat
	.protected	_ZN7rocprim17ROCPRIM_400000_NS6detail17trampoline_kernelINS0_14default_configENS1_22reduce_config_selectorIN6thrust23THRUST_200600_302600_NS5tupleIblNS6_9null_typeES8_S8_S8_S8_S8_S8_S8_EEEEZNS1_11reduce_implILb1ES3_NS6_12zip_iteratorINS7_INS6_11hip_rocprim26transform_input_iterator_tIbNSD_35transform_pair_of_input_iterators_tIbNS6_6detail15normal_iteratorINS6_10device_ptrIKyEEEESL_NS6_8equal_toIyEEEENSG_9not_fun_tINSD_8identityEEEEENSD_19counting_iterator_tIlEES8_S8_S8_S8_S8_S8_S8_S8_EEEEPS9_S9_NSD_9__find_if7functorIS9_EEEE10hipError_tPvRmT1_T2_T3_mT4_P12ihipStream_tbEUlT_E0_NS1_11comp_targetILNS1_3genE5ELNS1_11target_archE942ELNS1_3gpuE9ELNS1_3repE0EEENS1_30default_config_static_selectorELNS0_4arch9wavefront6targetE0EEEvS14_ ; -- Begin function _ZN7rocprim17ROCPRIM_400000_NS6detail17trampoline_kernelINS0_14default_configENS1_22reduce_config_selectorIN6thrust23THRUST_200600_302600_NS5tupleIblNS6_9null_typeES8_S8_S8_S8_S8_S8_S8_EEEEZNS1_11reduce_implILb1ES3_NS6_12zip_iteratorINS7_INS6_11hip_rocprim26transform_input_iterator_tIbNSD_35transform_pair_of_input_iterators_tIbNS6_6detail15normal_iteratorINS6_10device_ptrIKyEEEESL_NS6_8equal_toIyEEEENSG_9not_fun_tINSD_8identityEEEEENSD_19counting_iterator_tIlEES8_S8_S8_S8_S8_S8_S8_S8_EEEEPS9_S9_NSD_9__find_if7functorIS9_EEEE10hipError_tPvRmT1_T2_T3_mT4_P12ihipStream_tbEUlT_E0_NS1_11comp_targetILNS1_3genE5ELNS1_11target_archE942ELNS1_3gpuE9ELNS1_3repE0EEENS1_30default_config_static_selectorELNS0_4arch9wavefront6targetE0EEEvS14_
	.globl	_ZN7rocprim17ROCPRIM_400000_NS6detail17trampoline_kernelINS0_14default_configENS1_22reduce_config_selectorIN6thrust23THRUST_200600_302600_NS5tupleIblNS6_9null_typeES8_S8_S8_S8_S8_S8_S8_EEEEZNS1_11reduce_implILb1ES3_NS6_12zip_iteratorINS7_INS6_11hip_rocprim26transform_input_iterator_tIbNSD_35transform_pair_of_input_iterators_tIbNS6_6detail15normal_iteratorINS6_10device_ptrIKyEEEESL_NS6_8equal_toIyEEEENSG_9not_fun_tINSD_8identityEEEEENSD_19counting_iterator_tIlEES8_S8_S8_S8_S8_S8_S8_S8_EEEEPS9_S9_NSD_9__find_if7functorIS9_EEEE10hipError_tPvRmT1_T2_T3_mT4_P12ihipStream_tbEUlT_E0_NS1_11comp_targetILNS1_3genE5ELNS1_11target_archE942ELNS1_3gpuE9ELNS1_3repE0EEENS1_30default_config_static_selectorELNS0_4arch9wavefront6targetE0EEEvS14_
	.p2align	8
	.type	_ZN7rocprim17ROCPRIM_400000_NS6detail17trampoline_kernelINS0_14default_configENS1_22reduce_config_selectorIN6thrust23THRUST_200600_302600_NS5tupleIblNS6_9null_typeES8_S8_S8_S8_S8_S8_S8_EEEEZNS1_11reduce_implILb1ES3_NS6_12zip_iteratorINS7_INS6_11hip_rocprim26transform_input_iterator_tIbNSD_35transform_pair_of_input_iterators_tIbNS6_6detail15normal_iteratorINS6_10device_ptrIKyEEEESL_NS6_8equal_toIyEEEENSG_9not_fun_tINSD_8identityEEEEENSD_19counting_iterator_tIlEES8_S8_S8_S8_S8_S8_S8_S8_EEEEPS9_S9_NSD_9__find_if7functorIS9_EEEE10hipError_tPvRmT1_T2_T3_mT4_P12ihipStream_tbEUlT_E0_NS1_11comp_targetILNS1_3genE5ELNS1_11target_archE942ELNS1_3gpuE9ELNS1_3repE0EEENS1_30default_config_static_selectorELNS0_4arch9wavefront6targetE0EEEvS14_,@function
_ZN7rocprim17ROCPRIM_400000_NS6detail17trampoline_kernelINS0_14default_configENS1_22reduce_config_selectorIN6thrust23THRUST_200600_302600_NS5tupleIblNS6_9null_typeES8_S8_S8_S8_S8_S8_S8_EEEEZNS1_11reduce_implILb1ES3_NS6_12zip_iteratorINS7_INS6_11hip_rocprim26transform_input_iterator_tIbNSD_35transform_pair_of_input_iterators_tIbNS6_6detail15normal_iteratorINS6_10device_ptrIKyEEEESL_NS6_8equal_toIyEEEENSG_9not_fun_tINSD_8identityEEEEENSD_19counting_iterator_tIlEES8_S8_S8_S8_S8_S8_S8_S8_EEEEPS9_S9_NSD_9__find_if7functorIS9_EEEE10hipError_tPvRmT1_T2_T3_mT4_P12ihipStream_tbEUlT_E0_NS1_11comp_targetILNS1_3genE5ELNS1_11target_archE942ELNS1_3gpuE9ELNS1_3repE0EEENS1_30default_config_static_selectorELNS0_4arch9wavefront6targetE0EEEvS14_: ; @_ZN7rocprim17ROCPRIM_400000_NS6detail17trampoline_kernelINS0_14default_configENS1_22reduce_config_selectorIN6thrust23THRUST_200600_302600_NS5tupleIblNS6_9null_typeES8_S8_S8_S8_S8_S8_S8_EEEEZNS1_11reduce_implILb1ES3_NS6_12zip_iteratorINS7_INS6_11hip_rocprim26transform_input_iterator_tIbNSD_35transform_pair_of_input_iterators_tIbNS6_6detail15normal_iteratorINS6_10device_ptrIKyEEEESL_NS6_8equal_toIyEEEENSG_9not_fun_tINSD_8identityEEEEENSD_19counting_iterator_tIlEES8_S8_S8_S8_S8_S8_S8_S8_EEEEPS9_S9_NSD_9__find_if7functorIS9_EEEE10hipError_tPvRmT1_T2_T3_mT4_P12ihipStream_tbEUlT_E0_NS1_11comp_targetILNS1_3genE5ELNS1_11target_archE942ELNS1_3gpuE9ELNS1_3repE0EEENS1_30default_config_static_selectorELNS0_4arch9wavefront6targetE0EEEvS14_
; %bb.0:
	.section	.rodata,"a",@progbits
	.p2align	6, 0x0
	.amdhsa_kernel _ZN7rocprim17ROCPRIM_400000_NS6detail17trampoline_kernelINS0_14default_configENS1_22reduce_config_selectorIN6thrust23THRUST_200600_302600_NS5tupleIblNS6_9null_typeES8_S8_S8_S8_S8_S8_S8_EEEEZNS1_11reduce_implILb1ES3_NS6_12zip_iteratorINS7_INS6_11hip_rocprim26transform_input_iterator_tIbNSD_35transform_pair_of_input_iterators_tIbNS6_6detail15normal_iteratorINS6_10device_ptrIKyEEEESL_NS6_8equal_toIyEEEENSG_9not_fun_tINSD_8identityEEEEENSD_19counting_iterator_tIlEES8_S8_S8_S8_S8_S8_S8_S8_EEEEPS9_S9_NSD_9__find_if7functorIS9_EEEE10hipError_tPvRmT1_T2_T3_mT4_P12ihipStream_tbEUlT_E0_NS1_11comp_targetILNS1_3genE5ELNS1_11target_archE942ELNS1_3gpuE9ELNS1_3repE0EEENS1_30default_config_static_selectorELNS0_4arch9wavefront6targetE0EEEvS14_
		.amdhsa_group_segment_fixed_size 0
		.amdhsa_private_segment_fixed_size 0
		.amdhsa_kernarg_size 104
		.amdhsa_user_sgpr_count 15
		.amdhsa_user_sgpr_dispatch_ptr 0
		.amdhsa_user_sgpr_queue_ptr 0
		.amdhsa_user_sgpr_kernarg_segment_ptr 1
		.amdhsa_user_sgpr_dispatch_id 0
		.amdhsa_user_sgpr_private_segment_size 0
		.amdhsa_wavefront_size32 1
		.amdhsa_uses_dynamic_stack 0
		.amdhsa_enable_private_segment 0
		.amdhsa_system_sgpr_workgroup_id_x 1
		.amdhsa_system_sgpr_workgroup_id_y 0
		.amdhsa_system_sgpr_workgroup_id_z 0
		.amdhsa_system_sgpr_workgroup_info 0
		.amdhsa_system_vgpr_workitem_id 0
		.amdhsa_next_free_vgpr 1
		.amdhsa_next_free_sgpr 1
		.amdhsa_reserve_vcc 0
		.amdhsa_float_round_mode_32 0
		.amdhsa_float_round_mode_16_64 0
		.amdhsa_float_denorm_mode_32 3
		.amdhsa_float_denorm_mode_16_64 3
		.amdhsa_dx10_clamp 1
		.amdhsa_ieee_mode 1
		.amdhsa_fp16_overflow 0
		.amdhsa_workgroup_processor_mode 1
		.amdhsa_memory_ordered 1
		.amdhsa_forward_progress 0
		.amdhsa_shared_vgpr_count 0
		.amdhsa_exception_fp_ieee_invalid_op 0
		.amdhsa_exception_fp_denorm_src 0
		.amdhsa_exception_fp_ieee_div_zero 0
		.amdhsa_exception_fp_ieee_overflow 0
		.amdhsa_exception_fp_ieee_underflow 0
		.amdhsa_exception_fp_ieee_inexact 0
		.amdhsa_exception_int_div_zero 0
	.end_amdhsa_kernel
	.section	.text._ZN7rocprim17ROCPRIM_400000_NS6detail17trampoline_kernelINS0_14default_configENS1_22reduce_config_selectorIN6thrust23THRUST_200600_302600_NS5tupleIblNS6_9null_typeES8_S8_S8_S8_S8_S8_S8_EEEEZNS1_11reduce_implILb1ES3_NS6_12zip_iteratorINS7_INS6_11hip_rocprim26transform_input_iterator_tIbNSD_35transform_pair_of_input_iterators_tIbNS6_6detail15normal_iteratorINS6_10device_ptrIKyEEEESL_NS6_8equal_toIyEEEENSG_9not_fun_tINSD_8identityEEEEENSD_19counting_iterator_tIlEES8_S8_S8_S8_S8_S8_S8_S8_EEEEPS9_S9_NSD_9__find_if7functorIS9_EEEE10hipError_tPvRmT1_T2_T3_mT4_P12ihipStream_tbEUlT_E0_NS1_11comp_targetILNS1_3genE5ELNS1_11target_archE942ELNS1_3gpuE9ELNS1_3repE0EEENS1_30default_config_static_selectorELNS0_4arch9wavefront6targetE0EEEvS14_,"axG",@progbits,_ZN7rocprim17ROCPRIM_400000_NS6detail17trampoline_kernelINS0_14default_configENS1_22reduce_config_selectorIN6thrust23THRUST_200600_302600_NS5tupleIblNS6_9null_typeES8_S8_S8_S8_S8_S8_S8_EEEEZNS1_11reduce_implILb1ES3_NS6_12zip_iteratorINS7_INS6_11hip_rocprim26transform_input_iterator_tIbNSD_35transform_pair_of_input_iterators_tIbNS6_6detail15normal_iteratorINS6_10device_ptrIKyEEEESL_NS6_8equal_toIyEEEENSG_9not_fun_tINSD_8identityEEEEENSD_19counting_iterator_tIlEES8_S8_S8_S8_S8_S8_S8_S8_EEEEPS9_S9_NSD_9__find_if7functorIS9_EEEE10hipError_tPvRmT1_T2_T3_mT4_P12ihipStream_tbEUlT_E0_NS1_11comp_targetILNS1_3genE5ELNS1_11target_archE942ELNS1_3gpuE9ELNS1_3repE0EEENS1_30default_config_static_selectorELNS0_4arch9wavefront6targetE0EEEvS14_,comdat
.Lfunc_end466:
	.size	_ZN7rocprim17ROCPRIM_400000_NS6detail17trampoline_kernelINS0_14default_configENS1_22reduce_config_selectorIN6thrust23THRUST_200600_302600_NS5tupleIblNS6_9null_typeES8_S8_S8_S8_S8_S8_S8_EEEEZNS1_11reduce_implILb1ES3_NS6_12zip_iteratorINS7_INS6_11hip_rocprim26transform_input_iterator_tIbNSD_35transform_pair_of_input_iterators_tIbNS6_6detail15normal_iteratorINS6_10device_ptrIKyEEEESL_NS6_8equal_toIyEEEENSG_9not_fun_tINSD_8identityEEEEENSD_19counting_iterator_tIlEES8_S8_S8_S8_S8_S8_S8_S8_EEEEPS9_S9_NSD_9__find_if7functorIS9_EEEE10hipError_tPvRmT1_T2_T3_mT4_P12ihipStream_tbEUlT_E0_NS1_11comp_targetILNS1_3genE5ELNS1_11target_archE942ELNS1_3gpuE9ELNS1_3repE0EEENS1_30default_config_static_selectorELNS0_4arch9wavefront6targetE0EEEvS14_, .Lfunc_end466-_ZN7rocprim17ROCPRIM_400000_NS6detail17trampoline_kernelINS0_14default_configENS1_22reduce_config_selectorIN6thrust23THRUST_200600_302600_NS5tupleIblNS6_9null_typeES8_S8_S8_S8_S8_S8_S8_EEEEZNS1_11reduce_implILb1ES3_NS6_12zip_iteratorINS7_INS6_11hip_rocprim26transform_input_iterator_tIbNSD_35transform_pair_of_input_iterators_tIbNS6_6detail15normal_iteratorINS6_10device_ptrIKyEEEESL_NS6_8equal_toIyEEEENSG_9not_fun_tINSD_8identityEEEEENSD_19counting_iterator_tIlEES8_S8_S8_S8_S8_S8_S8_S8_EEEEPS9_S9_NSD_9__find_if7functorIS9_EEEE10hipError_tPvRmT1_T2_T3_mT4_P12ihipStream_tbEUlT_E0_NS1_11comp_targetILNS1_3genE5ELNS1_11target_archE942ELNS1_3gpuE9ELNS1_3repE0EEENS1_30default_config_static_selectorELNS0_4arch9wavefront6targetE0EEEvS14_
                                        ; -- End function
	.section	.AMDGPU.csdata,"",@progbits
; Kernel info:
; codeLenInByte = 0
; NumSgprs: 0
; NumVgprs: 0
; ScratchSize: 0
; MemoryBound: 0
; FloatMode: 240
; IeeeMode: 1
; LDSByteSize: 0 bytes/workgroup (compile time only)
; SGPRBlocks: 0
; VGPRBlocks: 0
; NumSGPRsForWavesPerEU: 1
; NumVGPRsForWavesPerEU: 1
; Occupancy: 16
; WaveLimiterHint : 0
; COMPUTE_PGM_RSRC2:SCRATCH_EN: 0
; COMPUTE_PGM_RSRC2:USER_SGPR: 15
; COMPUTE_PGM_RSRC2:TRAP_HANDLER: 0
; COMPUTE_PGM_RSRC2:TGID_X_EN: 1
; COMPUTE_PGM_RSRC2:TGID_Y_EN: 0
; COMPUTE_PGM_RSRC2:TGID_Z_EN: 0
; COMPUTE_PGM_RSRC2:TIDIG_COMP_CNT: 0
	.section	.text._ZN7rocprim17ROCPRIM_400000_NS6detail17trampoline_kernelINS0_14default_configENS1_22reduce_config_selectorIN6thrust23THRUST_200600_302600_NS5tupleIblNS6_9null_typeES8_S8_S8_S8_S8_S8_S8_EEEEZNS1_11reduce_implILb1ES3_NS6_12zip_iteratorINS7_INS6_11hip_rocprim26transform_input_iterator_tIbNSD_35transform_pair_of_input_iterators_tIbNS6_6detail15normal_iteratorINS6_10device_ptrIKyEEEESL_NS6_8equal_toIyEEEENSG_9not_fun_tINSD_8identityEEEEENSD_19counting_iterator_tIlEES8_S8_S8_S8_S8_S8_S8_S8_EEEEPS9_S9_NSD_9__find_if7functorIS9_EEEE10hipError_tPvRmT1_T2_T3_mT4_P12ihipStream_tbEUlT_E0_NS1_11comp_targetILNS1_3genE4ELNS1_11target_archE910ELNS1_3gpuE8ELNS1_3repE0EEENS1_30default_config_static_selectorELNS0_4arch9wavefront6targetE0EEEvS14_,"axG",@progbits,_ZN7rocprim17ROCPRIM_400000_NS6detail17trampoline_kernelINS0_14default_configENS1_22reduce_config_selectorIN6thrust23THRUST_200600_302600_NS5tupleIblNS6_9null_typeES8_S8_S8_S8_S8_S8_S8_EEEEZNS1_11reduce_implILb1ES3_NS6_12zip_iteratorINS7_INS6_11hip_rocprim26transform_input_iterator_tIbNSD_35transform_pair_of_input_iterators_tIbNS6_6detail15normal_iteratorINS6_10device_ptrIKyEEEESL_NS6_8equal_toIyEEEENSG_9not_fun_tINSD_8identityEEEEENSD_19counting_iterator_tIlEES8_S8_S8_S8_S8_S8_S8_S8_EEEEPS9_S9_NSD_9__find_if7functorIS9_EEEE10hipError_tPvRmT1_T2_T3_mT4_P12ihipStream_tbEUlT_E0_NS1_11comp_targetILNS1_3genE4ELNS1_11target_archE910ELNS1_3gpuE8ELNS1_3repE0EEENS1_30default_config_static_selectorELNS0_4arch9wavefront6targetE0EEEvS14_,comdat
	.protected	_ZN7rocprim17ROCPRIM_400000_NS6detail17trampoline_kernelINS0_14default_configENS1_22reduce_config_selectorIN6thrust23THRUST_200600_302600_NS5tupleIblNS6_9null_typeES8_S8_S8_S8_S8_S8_S8_EEEEZNS1_11reduce_implILb1ES3_NS6_12zip_iteratorINS7_INS6_11hip_rocprim26transform_input_iterator_tIbNSD_35transform_pair_of_input_iterators_tIbNS6_6detail15normal_iteratorINS6_10device_ptrIKyEEEESL_NS6_8equal_toIyEEEENSG_9not_fun_tINSD_8identityEEEEENSD_19counting_iterator_tIlEES8_S8_S8_S8_S8_S8_S8_S8_EEEEPS9_S9_NSD_9__find_if7functorIS9_EEEE10hipError_tPvRmT1_T2_T3_mT4_P12ihipStream_tbEUlT_E0_NS1_11comp_targetILNS1_3genE4ELNS1_11target_archE910ELNS1_3gpuE8ELNS1_3repE0EEENS1_30default_config_static_selectorELNS0_4arch9wavefront6targetE0EEEvS14_ ; -- Begin function _ZN7rocprim17ROCPRIM_400000_NS6detail17trampoline_kernelINS0_14default_configENS1_22reduce_config_selectorIN6thrust23THRUST_200600_302600_NS5tupleIblNS6_9null_typeES8_S8_S8_S8_S8_S8_S8_EEEEZNS1_11reduce_implILb1ES3_NS6_12zip_iteratorINS7_INS6_11hip_rocprim26transform_input_iterator_tIbNSD_35transform_pair_of_input_iterators_tIbNS6_6detail15normal_iteratorINS6_10device_ptrIKyEEEESL_NS6_8equal_toIyEEEENSG_9not_fun_tINSD_8identityEEEEENSD_19counting_iterator_tIlEES8_S8_S8_S8_S8_S8_S8_S8_EEEEPS9_S9_NSD_9__find_if7functorIS9_EEEE10hipError_tPvRmT1_T2_T3_mT4_P12ihipStream_tbEUlT_E0_NS1_11comp_targetILNS1_3genE4ELNS1_11target_archE910ELNS1_3gpuE8ELNS1_3repE0EEENS1_30default_config_static_selectorELNS0_4arch9wavefront6targetE0EEEvS14_
	.globl	_ZN7rocprim17ROCPRIM_400000_NS6detail17trampoline_kernelINS0_14default_configENS1_22reduce_config_selectorIN6thrust23THRUST_200600_302600_NS5tupleIblNS6_9null_typeES8_S8_S8_S8_S8_S8_S8_EEEEZNS1_11reduce_implILb1ES3_NS6_12zip_iteratorINS7_INS6_11hip_rocprim26transform_input_iterator_tIbNSD_35transform_pair_of_input_iterators_tIbNS6_6detail15normal_iteratorINS6_10device_ptrIKyEEEESL_NS6_8equal_toIyEEEENSG_9not_fun_tINSD_8identityEEEEENSD_19counting_iterator_tIlEES8_S8_S8_S8_S8_S8_S8_S8_EEEEPS9_S9_NSD_9__find_if7functorIS9_EEEE10hipError_tPvRmT1_T2_T3_mT4_P12ihipStream_tbEUlT_E0_NS1_11comp_targetILNS1_3genE4ELNS1_11target_archE910ELNS1_3gpuE8ELNS1_3repE0EEENS1_30default_config_static_selectorELNS0_4arch9wavefront6targetE0EEEvS14_
	.p2align	8
	.type	_ZN7rocprim17ROCPRIM_400000_NS6detail17trampoline_kernelINS0_14default_configENS1_22reduce_config_selectorIN6thrust23THRUST_200600_302600_NS5tupleIblNS6_9null_typeES8_S8_S8_S8_S8_S8_S8_EEEEZNS1_11reduce_implILb1ES3_NS6_12zip_iteratorINS7_INS6_11hip_rocprim26transform_input_iterator_tIbNSD_35transform_pair_of_input_iterators_tIbNS6_6detail15normal_iteratorINS6_10device_ptrIKyEEEESL_NS6_8equal_toIyEEEENSG_9not_fun_tINSD_8identityEEEEENSD_19counting_iterator_tIlEES8_S8_S8_S8_S8_S8_S8_S8_EEEEPS9_S9_NSD_9__find_if7functorIS9_EEEE10hipError_tPvRmT1_T2_T3_mT4_P12ihipStream_tbEUlT_E0_NS1_11comp_targetILNS1_3genE4ELNS1_11target_archE910ELNS1_3gpuE8ELNS1_3repE0EEENS1_30default_config_static_selectorELNS0_4arch9wavefront6targetE0EEEvS14_,@function
_ZN7rocprim17ROCPRIM_400000_NS6detail17trampoline_kernelINS0_14default_configENS1_22reduce_config_selectorIN6thrust23THRUST_200600_302600_NS5tupleIblNS6_9null_typeES8_S8_S8_S8_S8_S8_S8_EEEEZNS1_11reduce_implILb1ES3_NS6_12zip_iteratorINS7_INS6_11hip_rocprim26transform_input_iterator_tIbNSD_35transform_pair_of_input_iterators_tIbNS6_6detail15normal_iteratorINS6_10device_ptrIKyEEEESL_NS6_8equal_toIyEEEENSG_9not_fun_tINSD_8identityEEEEENSD_19counting_iterator_tIlEES8_S8_S8_S8_S8_S8_S8_S8_EEEEPS9_S9_NSD_9__find_if7functorIS9_EEEE10hipError_tPvRmT1_T2_T3_mT4_P12ihipStream_tbEUlT_E0_NS1_11comp_targetILNS1_3genE4ELNS1_11target_archE910ELNS1_3gpuE8ELNS1_3repE0EEENS1_30default_config_static_selectorELNS0_4arch9wavefront6targetE0EEEvS14_: ; @_ZN7rocprim17ROCPRIM_400000_NS6detail17trampoline_kernelINS0_14default_configENS1_22reduce_config_selectorIN6thrust23THRUST_200600_302600_NS5tupleIblNS6_9null_typeES8_S8_S8_S8_S8_S8_S8_EEEEZNS1_11reduce_implILb1ES3_NS6_12zip_iteratorINS7_INS6_11hip_rocprim26transform_input_iterator_tIbNSD_35transform_pair_of_input_iterators_tIbNS6_6detail15normal_iteratorINS6_10device_ptrIKyEEEESL_NS6_8equal_toIyEEEENSG_9not_fun_tINSD_8identityEEEEENSD_19counting_iterator_tIlEES8_S8_S8_S8_S8_S8_S8_S8_EEEEPS9_S9_NSD_9__find_if7functorIS9_EEEE10hipError_tPvRmT1_T2_T3_mT4_P12ihipStream_tbEUlT_E0_NS1_11comp_targetILNS1_3genE4ELNS1_11target_archE910ELNS1_3gpuE8ELNS1_3repE0EEENS1_30default_config_static_selectorELNS0_4arch9wavefront6targetE0EEEvS14_
; %bb.0:
	.section	.rodata,"a",@progbits
	.p2align	6, 0x0
	.amdhsa_kernel _ZN7rocprim17ROCPRIM_400000_NS6detail17trampoline_kernelINS0_14default_configENS1_22reduce_config_selectorIN6thrust23THRUST_200600_302600_NS5tupleIblNS6_9null_typeES8_S8_S8_S8_S8_S8_S8_EEEEZNS1_11reduce_implILb1ES3_NS6_12zip_iteratorINS7_INS6_11hip_rocprim26transform_input_iterator_tIbNSD_35transform_pair_of_input_iterators_tIbNS6_6detail15normal_iteratorINS6_10device_ptrIKyEEEESL_NS6_8equal_toIyEEEENSG_9not_fun_tINSD_8identityEEEEENSD_19counting_iterator_tIlEES8_S8_S8_S8_S8_S8_S8_S8_EEEEPS9_S9_NSD_9__find_if7functorIS9_EEEE10hipError_tPvRmT1_T2_T3_mT4_P12ihipStream_tbEUlT_E0_NS1_11comp_targetILNS1_3genE4ELNS1_11target_archE910ELNS1_3gpuE8ELNS1_3repE0EEENS1_30default_config_static_selectorELNS0_4arch9wavefront6targetE0EEEvS14_
		.amdhsa_group_segment_fixed_size 0
		.amdhsa_private_segment_fixed_size 0
		.amdhsa_kernarg_size 104
		.amdhsa_user_sgpr_count 15
		.amdhsa_user_sgpr_dispatch_ptr 0
		.amdhsa_user_sgpr_queue_ptr 0
		.amdhsa_user_sgpr_kernarg_segment_ptr 1
		.amdhsa_user_sgpr_dispatch_id 0
		.amdhsa_user_sgpr_private_segment_size 0
		.amdhsa_wavefront_size32 1
		.amdhsa_uses_dynamic_stack 0
		.amdhsa_enable_private_segment 0
		.amdhsa_system_sgpr_workgroup_id_x 1
		.amdhsa_system_sgpr_workgroup_id_y 0
		.amdhsa_system_sgpr_workgroup_id_z 0
		.amdhsa_system_sgpr_workgroup_info 0
		.amdhsa_system_vgpr_workitem_id 0
		.amdhsa_next_free_vgpr 1
		.amdhsa_next_free_sgpr 1
		.amdhsa_reserve_vcc 0
		.amdhsa_float_round_mode_32 0
		.amdhsa_float_round_mode_16_64 0
		.amdhsa_float_denorm_mode_32 3
		.amdhsa_float_denorm_mode_16_64 3
		.amdhsa_dx10_clamp 1
		.amdhsa_ieee_mode 1
		.amdhsa_fp16_overflow 0
		.amdhsa_workgroup_processor_mode 1
		.amdhsa_memory_ordered 1
		.amdhsa_forward_progress 0
		.amdhsa_shared_vgpr_count 0
		.amdhsa_exception_fp_ieee_invalid_op 0
		.amdhsa_exception_fp_denorm_src 0
		.amdhsa_exception_fp_ieee_div_zero 0
		.amdhsa_exception_fp_ieee_overflow 0
		.amdhsa_exception_fp_ieee_underflow 0
		.amdhsa_exception_fp_ieee_inexact 0
		.amdhsa_exception_int_div_zero 0
	.end_amdhsa_kernel
	.section	.text._ZN7rocprim17ROCPRIM_400000_NS6detail17trampoline_kernelINS0_14default_configENS1_22reduce_config_selectorIN6thrust23THRUST_200600_302600_NS5tupleIblNS6_9null_typeES8_S8_S8_S8_S8_S8_S8_EEEEZNS1_11reduce_implILb1ES3_NS6_12zip_iteratorINS7_INS6_11hip_rocprim26transform_input_iterator_tIbNSD_35transform_pair_of_input_iterators_tIbNS6_6detail15normal_iteratorINS6_10device_ptrIKyEEEESL_NS6_8equal_toIyEEEENSG_9not_fun_tINSD_8identityEEEEENSD_19counting_iterator_tIlEES8_S8_S8_S8_S8_S8_S8_S8_EEEEPS9_S9_NSD_9__find_if7functorIS9_EEEE10hipError_tPvRmT1_T2_T3_mT4_P12ihipStream_tbEUlT_E0_NS1_11comp_targetILNS1_3genE4ELNS1_11target_archE910ELNS1_3gpuE8ELNS1_3repE0EEENS1_30default_config_static_selectorELNS0_4arch9wavefront6targetE0EEEvS14_,"axG",@progbits,_ZN7rocprim17ROCPRIM_400000_NS6detail17trampoline_kernelINS0_14default_configENS1_22reduce_config_selectorIN6thrust23THRUST_200600_302600_NS5tupleIblNS6_9null_typeES8_S8_S8_S8_S8_S8_S8_EEEEZNS1_11reduce_implILb1ES3_NS6_12zip_iteratorINS7_INS6_11hip_rocprim26transform_input_iterator_tIbNSD_35transform_pair_of_input_iterators_tIbNS6_6detail15normal_iteratorINS6_10device_ptrIKyEEEESL_NS6_8equal_toIyEEEENSG_9not_fun_tINSD_8identityEEEEENSD_19counting_iterator_tIlEES8_S8_S8_S8_S8_S8_S8_S8_EEEEPS9_S9_NSD_9__find_if7functorIS9_EEEE10hipError_tPvRmT1_T2_T3_mT4_P12ihipStream_tbEUlT_E0_NS1_11comp_targetILNS1_3genE4ELNS1_11target_archE910ELNS1_3gpuE8ELNS1_3repE0EEENS1_30default_config_static_selectorELNS0_4arch9wavefront6targetE0EEEvS14_,comdat
.Lfunc_end467:
	.size	_ZN7rocprim17ROCPRIM_400000_NS6detail17trampoline_kernelINS0_14default_configENS1_22reduce_config_selectorIN6thrust23THRUST_200600_302600_NS5tupleIblNS6_9null_typeES8_S8_S8_S8_S8_S8_S8_EEEEZNS1_11reduce_implILb1ES3_NS6_12zip_iteratorINS7_INS6_11hip_rocprim26transform_input_iterator_tIbNSD_35transform_pair_of_input_iterators_tIbNS6_6detail15normal_iteratorINS6_10device_ptrIKyEEEESL_NS6_8equal_toIyEEEENSG_9not_fun_tINSD_8identityEEEEENSD_19counting_iterator_tIlEES8_S8_S8_S8_S8_S8_S8_S8_EEEEPS9_S9_NSD_9__find_if7functorIS9_EEEE10hipError_tPvRmT1_T2_T3_mT4_P12ihipStream_tbEUlT_E0_NS1_11comp_targetILNS1_3genE4ELNS1_11target_archE910ELNS1_3gpuE8ELNS1_3repE0EEENS1_30default_config_static_selectorELNS0_4arch9wavefront6targetE0EEEvS14_, .Lfunc_end467-_ZN7rocprim17ROCPRIM_400000_NS6detail17trampoline_kernelINS0_14default_configENS1_22reduce_config_selectorIN6thrust23THRUST_200600_302600_NS5tupleIblNS6_9null_typeES8_S8_S8_S8_S8_S8_S8_EEEEZNS1_11reduce_implILb1ES3_NS6_12zip_iteratorINS7_INS6_11hip_rocprim26transform_input_iterator_tIbNSD_35transform_pair_of_input_iterators_tIbNS6_6detail15normal_iteratorINS6_10device_ptrIKyEEEESL_NS6_8equal_toIyEEEENSG_9not_fun_tINSD_8identityEEEEENSD_19counting_iterator_tIlEES8_S8_S8_S8_S8_S8_S8_S8_EEEEPS9_S9_NSD_9__find_if7functorIS9_EEEE10hipError_tPvRmT1_T2_T3_mT4_P12ihipStream_tbEUlT_E0_NS1_11comp_targetILNS1_3genE4ELNS1_11target_archE910ELNS1_3gpuE8ELNS1_3repE0EEENS1_30default_config_static_selectorELNS0_4arch9wavefront6targetE0EEEvS14_
                                        ; -- End function
	.section	.AMDGPU.csdata,"",@progbits
; Kernel info:
; codeLenInByte = 0
; NumSgprs: 0
; NumVgprs: 0
; ScratchSize: 0
; MemoryBound: 0
; FloatMode: 240
; IeeeMode: 1
; LDSByteSize: 0 bytes/workgroup (compile time only)
; SGPRBlocks: 0
; VGPRBlocks: 0
; NumSGPRsForWavesPerEU: 1
; NumVGPRsForWavesPerEU: 1
; Occupancy: 16
; WaveLimiterHint : 0
; COMPUTE_PGM_RSRC2:SCRATCH_EN: 0
; COMPUTE_PGM_RSRC2:USER_SGPR: 15
; COMPUTE_PGM_RSRC2:TRAP_HANDLER: 0
; COMPUTE_PGM_RSRC2:TGID_X_EN: 1
; COMPUTE_PGM_RSRC2:TGID_Y_EN: 0
; COMPUTE_PGM_RSRC2:TGID_Z_EN: 0
; COMPUTE_PGM_RSRC2:TIDIG_COMP_CNT: 0
	.section	.text._ZN7rocprim17ROCPRIM_400000_NS6detail17trampoline_kernelINS0_14default_configENS1_22reduce_config_selectorIN6thrust23THRUST_200600_302600_NS5tupleIblNS6_9null_typeES8_S8_S8_S8_S8_S8_S8_EEEEZNS1_11reduce_implILb1ES3_NS6_12zip_iteratorINS7_INS6_11hip_rocprim26transform_input_iterator_tIbNSD_35transform_pair_of_input_iterators_tIbNS6_6detail15normal_iteratorINS6_10device_ptrIKyEEEESL_NS6_8equal_toIyEEEENSG_9not_fun_tINSD_8identityEEEEENSD_19counting_iterator_tIlEES8_S8_S8_S8_S8_S8_S8_S8_EEEEPS9_S9_NSD_9__find_if7functorIS9_EEEE10hipError_tPvRmT1_T2_T3_mT4_P12ihipStream_tbEUlT_E0_NS1_11comp_targetILNS1_3genE3ELNS1_11target_archE908ELNS1_3gpuE7ELNS1_3repE0EEENS1_30default_config_static_selectorELNS0_4arch9wavefront6targetE0EEEvS14_,"axG",@progbits,_ZN7rocprim17ROCPRIM_400000_NS6detail17trampoline_kernelINS0_14default_configENS1_22reduce_config_selectorIN6thrust23THRUST_200600_302600_NS5tupleIblNS6_9null_typeES8_S8_S8_S8_S8_S8_S8_EEEEZNS1_11reduce_implILb1ES3_NS6_12zip_iteratorINS7_INS6_11hip_rocprim26transform_input_iterator_tIbNSD_35transform_pair_of_input_iterators_tIbNS6_6detail15normal_iteratorINS6_10device_ptrIKyEEEESL_NS6_8equal_toIyEEEENSG_9not_fun_tINSD_8identityEEEEENSD_19counting_iterator_tIlEES8_S8_S8_S8_S8_S8_S8_S8_EEEEPS9_S9_NSD_9__find_if7functorIS9_EEEE10hipError_tPvRmT1_T2_T3_mT4_P12ihipStream_tbEUlT_E0_NS1_11comp_targetILNS1_3genE3ELNS1_11target_archE908ELNS1_3gpuE7ELNS1_3repE0EEENS1_30default_config_static_selectorELNS0_4arch9wavefront6targetE0EEEvS14_,comdat
	.protected	_ZN7rocprim17ROCPRIM_400000_NS6detail17trampoline_kernelINS0_14default_configENS1_22reduce_config_selectorIN6thrust23THRUST_200600_302600_NS5tupleIblNS6_9null_typeES8_S8_S8_S8_S8_S8_S8_EEEEZNS1_11reduce_implILb1ES3_NS6_12zip_iteratorINS7_INS6_11hip_rocprim26transform_input_iterator_tIbNSD_35transform_pair_of_input_iterators_tIbNS6_6detail15normal_iteratorINS6_10device_ptrIKyEEEESL_NS6_8equal_toIyEEEENSG_9not_fun_tINSD_8identityEEEEENSD_19counting_iterator_tIlEES8_S8_S8_S8_S8_S8_S8_S8_EEEEPS9_S9_NSD_9__find_if7functorIS9_EEEE10hipError_tPvRmT1_T2_T3_mT4_P12ihipStream_tbEUlT_E0_NS1_11comp_targetILNS1_3genE3ELNS1_11target_archE908ELNS1_3gpuE7ELNS1_3repE0EEENS1_30default_config_static_selectorELNS0_4arch9wavefront6targetE0EEEvS14_ ; -- Begin function _ZN7rocprim17ROCPRIM_400000_NS6detail17trampoline_kernelINS0_14default_configENS1_22reduce_config_selectorIN6thrust23THRUST_200600_302600_NS5tupleIblNS6_9null_typeES8_S8_S8_S8_S8_S8_S8_EEEEZNS1_11reduce_implILb1ES3_NS6_12zip_iteratorINS7_INS6_11hip_rocprim26transform_input_iterator_tIbNSD_35transform_pair_of_input_iterators_tIbNS6_6detail15normal_iteratorINS6_10device_ptrIKyEEEESL_NS6_8equal_toIyEEEENSG_9not_fun_tINSD_8identityEEEEENSD_19counting_iterator_tIlEES8_S8_S8_S8_S8_S8_S8_S8_EEEEPS9_S9_NSD_9__find_if7functorIS9_EEEE10hipError_tPvRmT1_T2_T3_mT4_P12ihipStream_tbEUlT_E0_NS1_11comp_targetILNS1_3genE3ELNS1_11target_archE908ELNS1_3gpuE7ELNS1_3repE0EEENS1_30default_config_static_selectorELNS0_4arch9wavefront6targetE0EEEvS14_
	.globl	_ZN7rocprim17ROCPRIM_400000_NS6detail17trampoline_kernelINS0_14default_configENS1_22reduce_config_selectorIN6thrust23THRUST_200600_302600_NS5tupleIblNS6_9null_typeES8_S8_S8_S8_S8_S8_S8_EEEEZNS1_11reduce_implILb1ES3_NS6_12zip_iteratorINS7_INS6_11hip_rocprim26transform_input_iterator_tIbNSD_35transform_pair_of_input_iterators_tIbNS6_6detail15normal_iteratorINS6_10device_ptrIKyEEEESL_NS6_8equal_toIyEEEENSG_9not_fun_tINSD_8identityEEEEENSD_19counting_iterator_tIlEES8_S8_S8_S8_S8_S8_S8_S8_EEEEPS9_S9_NSD_9__find_if7functorIS9_EEEE10hipError_tPvRmT1_T2_T3_mT4_P12ihipStream_tbEUlT_E0_NS1_11comp_targetILNS1_3genE3ELNS1_11target_archE908ELNS1_3gpuE7ELNS1_3repE0EEENS1_30default_config_static_selectorELNS0_4arch9wavefront6targetE0EEEvS14_
	.p2align	8
	.type	_ZN7rocprim17ROCPRIM_400000_NS6detail17trampoline_kernelINS0_14default_configENS1_22reduce_config_selectorIN6thrust23THRUST_200600_302600_NS5tupleIblNS6_9null_typeES8_S8_S8_S8_S8_S8_S8_EEEEZNS1_11reduce_implILb1ES3_NS6_12zip_iteratorINS7_INS6_11hip_rocprim26transform_input_iterator_tIbNSD_35transform_pair_of_input_iterators_tIbNS6_6detail15normal_iteratorINS6_10device_ptrIKyEEEESL_NS6_8equal_toIyEEEENSG_9not_fun_tINSD_8identityEEEEENSD_19counting_iterator_tIlEES8_S8_S8_S8_S8_S8_S8_S8_EEEEPS9_S9_NSD_9__find_if7functorIS9_EEEE10hipError_tPvRmT1_T2_T3_mT4_P12ihipStream_tbEUlT_E0_NS1_11comp_targetILNS1_3genE3ELNS1_11target_archE908ELNS1_3gpuE7ELNS1_3repE0EEENS1_30default_config_static_selectorELNS0_4arch9wavefront6targetE0EEEvS14_,@function
_ZN7rocprim17ROCPRIM_400000_NS6detail17trampoline_kernelINS0_14default_configENS1_22reduce_config_selectorIN6thrust23THRUST_200600_302600_NS5tupleIblNS6_9null_typeES8_S8_S8_S8_S8_S8_S8_EEEEZNS1_11reduce_implILb1ES3_NS6_12zip_iteratorINS7_INS6_11hip_rocprim26transform_input_iterator_tIbNSD_35transform_pair_of_input_iterators_tIbNS6_6detail15normal_iteratorINS6_10device_ptrIKyEEEESL_NS6_8equal_toIyEEEENSG_9not_fun_tINSD_8identityEEEEENSD_19counting_iterator_tIlEES8_S8_S8_S8_S8_S8_S8_S8_EEEEPS9_S9_NSD_9__find_if7functorIS9_EEEE10hipError_tPvRmT1_T2_T3_mT4_P12ihipStream_tbEUlT_E0_NS1_11comp_targetILNS1_3genE3ELNS1_11target_archE908ELNS1_3gpuE7ELNS1_3repE0EEENS1_30default_config_static_selectorELNS0_4arch9wavefront6targetE0EEEvS14_: ; @_ZN7rocprim17ROCPRIM_400000_NS6detail17trampoline_kernelINS0_14default_configENS1_22reduce_config_selectorIN6thrust23THRUST_200600_302600_NS5tupleIblNS6_9null_typeES8_S8_S8_S8_S8_S8_S8_EEEEZNS1_11reduce_implILb1ES3_NS6_12zip_iteratorINS7_INS6_11hip_rocprim26transform_input_iterator_tIbNSD_35transform_pair_of_input_iterators_tIbNS6_6detail15normal_iteratorINS6_10device_ptrIKyEEEESL_NS6_8equal_toIyEEEENSG_9not_fun_tINSD_8identityEEEEENSD_19counting_iterator_tIlEES8_S8_S8_S8_S8_S8_S8_S8_EEEEPS9_S9_NSD_9__find_if7functorIS9_EEEE10hipError_tPvRmT1_T2_T3_mT4_P12ihipStream_tbEUlT_E0_NS1_11comp_targetILNS1_3genE3ELNS1_11target_archE908ELNS1_3gpuE7ELNS1_3repE0EEENS1_30default_config_static_selectorELNS0_4arch9wavefront6targetE0EEEvS14_
; %bb.0:
	.section	.rodata,"a",@progbits
	.p2align	6, 0x0
	.amdhsa_kernel _ZN7rocprim17ROCPRIM_400000_NS6detail17trampoline_kernelINS0_14default_configENS1_22reduce_config_selectorIN6thrust23THRUST_200600_302600_NS5tupleIblNS6_9null_typeES8_S8_S8_S8_S8_S8_S8_EEEEZNS1_11reduce_implILb1ES3_NS6_12zip_iteratorINS7_INS6_11hip_rocprim26transform_input_iterator_tIbNSD_35transform_pair_of_input_iterators_tIbNS6_6detail15normal_iteratorINS6_10device_ptrIKyEEEESL_NS6_8equal_toIyEEEENSG_9not_fun_tINSD_8identityEEEEENSD_19counting_iterator_tIlEES8_S8_S8_S8_S8_S8_S8_S8_EEEEPS9_S9_NSD_9__find_if7functorIS9_EEEE10hipError_tPvRmT1_T2_T3_mT4_P12ihipStream_tbEUlT_E0_NS1_11comp_targetILNS1_3genE3ELNS1_11target_archE908ELNS1_3gpuE7ELNS1_3repE0EEENS1_30default_config_static_selectorELNS0_4arch9wavefront6targetE0EEEvS14_
		.amdhsa_group_segment_fixed_size 0
		.amdhsa_private_segment_fixed_size 0
		.amdhsa_kernarg_size 104
		.amdhsa_user_sgpr_count 15
		.amdhsa_user_sgpr_dispatch_ptr 0
		.amdhsa_user_sgpr_queue_ptr 0
		.amdhsa_user_sgpr_kernarg_segment_ptr 1
		.amdhsa_user_sgpr_dispatch_id 0
		.amdhsa_user_sgpr_private_segment_size 0
		.amdhsa_wavefront_size32 1
		.amdhsa_uses_dynamic_stack 0
		.amdhsa_enable_private_segment 0
		.amdhsa_system_sgpr_workgroup_id_x 1
		.amdhsa_system_sgpr_workgroup_id_y 0
		.amdhsa_system_sgpr_workgroup_id_z 0
		.amdhsa_system_sgpr_workgroup_info 0
		.amdhsa_system_vgpr_workitem_id 0
		.amdhsa_next_free_vgpr 1
		.amdhsa_next_free_sgpr 1
		.amdhsa_reserve_vcc 0
		.amdhsa_float_round_mode_32 0
		.amdhsa_float_round_mode_16_64 0
		.amdhsa_float_denorm_mode_32 3
		.amdhsa_float_denorm_mode_16_64 3
		.amdhsa_dx10_clamp 1
		.amdhsa_ieee_mode 1
		.amdhsa_fp16_overflow 0
		.amdhsa_workgroup_processor_mode 1
		.amdhsa_memory_ordered 1
		.amdhsa_forward_progress 0
		.amdhsa_shared_vgpr_count 0
		.amdhsa_exception_fp_ieee_invalid_op 0
		.amdhsa_exception_fp_denorm_src 0
		.amdhsa_exception_fp_ieee_div_zero 0
		.amdhsa_exception_fp_ieee_overflow 0
		.amdhsa_exception_fp_ieee_underflow 0
		.amdhsa_exception_fp_ieee_inexact 0
		.amdhsa_exception_int_div_zero 0
	.end_amdhsa_kernel
	.section	.text._ZN7rocprim17ROCPRIM_400000_NS6detail17trampoline_kernelINS0_14default_configENS1_22reduce_config_selectorIN6thrust23THRUST_200600_302600_NS5tupleIblNS6_9null_typeES8_S8_S8_S8_S8_S8_S8_EEEEZNS1_11reduce_implILb1ES3_NS6_12zip_iteratorINS7_INS6_11hip_rocprim26transform_input_iterator_tIbNSD_35transform_pair_of_input_iterators_tIbNS6_6detail15normal_iteratorINS6_10device_ptrIKyEEEESL_NS6_8equal_toIyEEEENSG_9not_fun_tINSD_8identityEEEEENSD_19counting_iterator_tIlEES8_S8_S8_S8_S8_S8_S8_S8_EEEEPS9_S9_NSD_9__find_if7functorIS9_EEEE10hipError_tPvRmT1_T2_T3_mT4_P12ihipStream_tbEUlT_E0_NS1_11comp_targetILNS1_3genE3ELNS1_11target_archE908ELNS1_3gpuE7ELNS1_3repE0EEENS1_30default_config_static_selectorELNS0_4arch9wavefront6targetE0EEEvS14_,"axG",@progbits,_ZN7rocprim17ROCPRIM_400000_NS6detail17trampoline_kernelINS0_14default_configENS1_22reduce_config_selectorIN6thrust23THRUST_200600_302600_NS5tupleIblNS6_9null_typeES8_S8_S8_S8_S8_S8_S8_EEEEZNS1_11reduce_implILb1ES3_NS6_12zip_iteratorINS7_INS6_11hip_rocprim26transform_input_iterator_tIbNSD_35transform_pair_of_input_iterators_tIbNS6_6detail15normal_iteratorINS6_10device_ptrIKyEEEESL_NS6_8equal_toIyEEEENSG_9not_fun_tINSD_8identityEEEEENSD_19counting_iterator_tIlEES8_S8_S8_S8_S8_S8_S8_S8_EEEEPS9_S9_NSD_9__find_if7functorIS9_EEEE10hipError_tPvRmT1_T2_T3_mT4_P12ihipStream_tbEUlT_E0_NS1_11comp_targetILNS1_3genE3ELNS1_11target_archE908ELNS1_3gpuE7ELNS1_3repE0EEENS1_30default_config_static_selectorELNS0_4arch9wavefront6targetE0EEEvS14_,comdat
.Lfunc_end468:
	.size	_ZN7rocprim17ROCPRIM_400000_NS6detail17trampoline_kernelINS0_14default_configENS1_22reduce_config_selectorIN6thrust23THRUST_200600_302600_NS5tupleIblNS6_9null_typeES8_S8_S8_S8_S8_S8_S8_EEEEZNS1_11reduce_implILb1ES3_NS6_12zip_iteratorINS7_INS6_11hip_rocprim26transform_input_iterator_tIbNSD_35transform_pair_of_input_iterators_tIbNS6_6detail15normal_iteratorINS6_10device_ptrIKyEEEESL_NS6_8equal_toIyEEEENSG_9not_fun_tINSD_8identityEEEEENSD_19counting_iterator_tIlEES8_S8_S8_S8_S8_S8_S8_S8_EEEEPS9_S9_NSD_9__find_if7functorIS9_EEEE10hipError_tPvRmT1_T2_T3_mT4_P12ihipStream_tbEUlT_E0_NS1_11comp_targetILNS1_3genE3ELNS1_11target_archE908ELNS1_3gpuE7ELNS1_3repE0EEENS1_30default_config_static_selectorELNS0_4arch9wavefront6targetE0EEEvS14_, .Lfunc_end468-_ZN7rocprim17ROCPRIM_400000_NS6detail17trampoline_kernelINS0_14default_configENS1_22reduce_config_selectorIN6thrust23THRUST_200600_302600_NS5tupleIblNS6_9null_typeES8_S8_S8_S8_S8_S8_S8_EEEEZNS1_11reduce_implILb1ES3_NS6_12zip_iteratorINS7_INS6_11hip_rocprim26transform_input_iterator_tIbNSD_35transform_pair_of_input_iterators_tIbNS6_6detail15normal_iteratorINS6_10device_ptrIKyEEEESL_NS6_8equal_toIyEEEENSG_9not_fun_tINSD_8identityEEEEENSD_19counting_iterator_tIlEES8_S8_S8_S8_S8_S8_S8_S8_EEEEPS9_S9_NSD_9__find_if7functorIS9_EEEE10hipError_tPvRmT1_T2_T3_mT4_P12ihipStream_tbEUlT_E0_NS1_11comp_targetILNS1_3genE3ELNS1_11target_archE908ELNS1_3gpuE7ELNS1_3repE0EEENS1_30default_config_static_selectorELNS0_4arch9wavefront6targetE0EEEvS14_
                                        ; -- End function
	.section	.AMDGPU.csdata,"",@progbits
; Kernel info:
; codeLenInByte = 0
; NumSgprs: 0
; NumVgprs: 0
; ScratchSize: 0
; MemoryBound: 0
; FloatMode: 240
; IeeeMode: 1
; LDSByteSize: 0 bytes/workgroup (compile time only)
; SGPRBlocks: 0
; VGPRBlocks: 0
; NumSGPRsForWavesPerEU: 1
; NumVGPRsForWavesPerEU: 1
; Occupancy: 16
; WaveLimiterHint : 0
; COMPUTE_PGM_RSRC2:SCRATCH_EN: 0
; COMPUTE_PGM_RSRC2:USER_SGPR: 15
; COMPUTE_PGM_RSRC2:TRAP_HANDLER: 0
; COMPUTE_PGM_RSRC2:TGID_X_EN: 1
; COMPUTE_PGM_RSRC2:TGID_Y_EN: 0
; COMPUTE_PGM_RSRC2:TGID_Z_EN: 0
; COMPUTE_PGM_RSRC2:TIDIG_COMP_CNT: 0
	.section	.text._ZN7rocprim17ROCPRIM_400000_NS6detail17trampoline_kernelINS0_14default_configENS1_22reduce_config_selectorIN6thrust23THRUST_200600_302600_NS5tupleIblNS6_9null_typeES8_S8_S8_S8_S8_S8_S8_EEEEZNS1_11reduce_implILb1ES3_NS6_12zip_iteratorINS7_INS6_11hip_rocprim26transform_input_iterator_tIbNSD_35transform_pair_of_input_iterators_tIbNS6_6detail15normal_iteratorINS6_10device_ptrIKyEEEESL_NS6_8equal_toIyEEEENSG_9not_fun_tINSD_8identityEEEEENSD_19counting_iterator_tIlEES8_S8_S8_S8_S8_S8_S8_S8_EEEEPS9_S9_NSD_9__find_if7functorIS9_EEEE10hipError_tPvRmT1_T2_T3_mT4_P12ihipStream_tbEUlT_E0_NS1_11comp_targetILNS1_3genE2ELNS1_11target_archE906ELNS1_3gpuE6ELNS1_3repE0EEENS1_30default_config_static_selectorELNS0_4arch9wavefront6targetE0EEEvS14_,"axG",@progbits,_ZN7rocprim17ROCPRIM_400000_NS6detail17trampoline_kernelINS0_14default_configENS1_22reduce_config_selectorIN6thrust23THRUST_200600_302600_NS5tupleIblNS6_9null_typeES8_S8_S8_S8_S8_S8_S8_EEEEZNS1_11reduce_implILb1ES3_NS6_12zip_iteratorINS7_INS6_11hip_rocprim26transform_input_iterator_tIbNSD_35transform_pair_of_input_iterators_tIbNS6_6detail15normal_iteratorINS6_10device_ptrIKyEEEESL_NS6_8equal_toIyEEEENSG_9not_fun_tINSD_8identityEEEEENSD_19counting_iterator_tIlEES8_S8_S8_S8_S8_S8_S8_S8_EEEEPS9_S9_NSD_9__find_if7functorIS9_EEEE10hipError_tPvRmT1_T2_T3_mT4_P12ihipStream_tbEUlT_E0_NS1_11comp_targetILNS1_3genE2ELNS1_11target_archE906ELNS1_3gpuE6ELNS1_3repE0EEENS1_30default_config_static_selectorELNS0_4arch9wavefront6targetE0EEEvS14_,comdat
	.protected	_ZN7rocprim17ROCPRIM_400000_NS6detail17trampoline_kernelINS0_14default_configENS1_22reduce_config_selectorIN6thrust23THRUST_200600_302600_NS5tupleIblNS6_9null_typeES8_S8_S8_S8_S8_S8_S8_EEEEZNS1_11reduce_implILb1ES3_NS6_12zip_iteratorINS7_INS6_11hip_rocprim26transform_input_iterator_tIbNSD_35transform_pair_of_input_iterators_tIbNS6_6detail15normal_iteratorINS6_10device_ptrIKyEEEESL_NS6_8equal_toIyEEEENSG_9not_fun_tINSD_8identityEEEEENSD_19counting_iterator_tIlEES8_S8_S8_S8_S8_S8_S8_S8_EEEEPS9_S9_NSD_9__find_if7functorIS9_EEEE10hipError_tPvRmT1_T2_T3_mT4_P12ihipStream_tbEUlT_E0_NS1_11comp_targetILNS1_3genE2ELNS1_11target_archE906ELNS1_3gpuE6ELNS1_3repE0EEENS1_30default_config_static_selectorELNS0_4arch9wavefront6targetE0EEEvS14_ ; -- Begin function _ZN7rocprim17ROCPRIM_400000_NS6detail17trampoline_kernelINS0_14default_configENS1_22reduce_config_selectorIN6thrust23THRUST_200600_302600_NS5tupleIblNS6_9null_typeES8_S8_S8_S8_S8_S8_S8_EEEEZNS1_11reduce_implILb1ES3_NS6_12zip_iteratorINS7_INS6_11hip_rocprim26transform_input_iterator_tIbNSD_35transform_pair_of_input_iterators_tIbNS6_6detail15normal_iteratorINS6_10device_ptrIKyEEEESL_NS6_8equal_toIyEEEENSG_9not_fun_tINSD_8identityEEEEENSD_19counting_iterator_tIlEES8_S8_S8_S8_S8_S8_S8_S8_EEEEPS9_S9_NSD_9__find_if7functorIS9_EEEE10hipError_tPvRmT1_T2_T3_mT4_P12ihipStream_tbEUlT_E0_NS1_11comp_targetILNS1_3genE2ELNS1_11target_archE906ELNS1_3gpuE6ELNS1_3repE0EEENS1_30default_config_static_selectorELNS0_4arch9wavefront6targetE0EEEvS14_
	.globl	_ZN7rocprim17ROCPRIM_400000_NS6detail17trampoline_kernelINS0_14default_configENS1_22reduce_config_selectorIN6thrust23THRUST_200600_302600_NS5tupleIblNS6_9null_typeES8_S8_S8_S8_S8_S8_S8_EEEEZNS1_11reduce_implILb1ES3_NS6_12zip_iteratorINS7_INS6_11hip_rocprim26transform_input_iterator_tIbNSD_35transform_pair_of_input_iterators_tIbNS6_6detail15normal_iteratorINS6_10device_ptrIKyEEEESL_NS6_8equal_toIyEEEENSG_9not_fun_tINSD_8identityEEEEENSD_19counting_iterator_tIlEES8_S8_S8_S8_S8_S8_S8_S8_EEEEPS9_S9_NSD_9__find_if7functorIS9_EEEE10hipError_tPvRmT1_T2_T3_mT4_P12ihipStream_tbEUlT_E0_NS1_11comp_targetILNS1_3genE2ELNS1_11target_archE906ELNS1_3gpuE6ELNS1_3repE0EEENS1_30default_config_static_selectorELNS0_4arch9wavefront6targetE0EEEvS14_
	.p2align	8
	.type	_ZN7rocprim17ROCPRIM_400000_NS6detail17trampoline_kernelINS0_14default_configENS1_22reduce_config_selectorIN6thrust23THRUST_200600_302600_NS5tupleIblNS6_9null_typeES8_S8_S8_S8_S8_S8_S8_EEEEZNS1_11reduce_implILb1ES3_NS6_12zip_iteratorINS7_INS6_11hip_rocprim26transform_input_iterator_tIbNSD_35transform_pair_of_input_iterators_tIbNS6_6detail15normal_iteratorINS6_10device_ptrIKyEEEESL_NS6_8equal_toIyEEEENSG_9not_fun_tINSD_8identityEEEEENSD_19counting_iterator_tIlEES8_S8_S8_S8_S8_S8_S8_S8_EEEEPS9_S9_NSD_9__find_if7functorIS9_EEEE10hipError_tPvRmT1_T2_T3_mT4_P12ihipStream_tbEUlT_E0_NS1_11comp_targetILNS1_3genE2ELNS1_11target_archE906ELNS1_3gpuE6ELNS1_3repE0EEENS1_30default_config_static_selectorELNS0_4arch9wavefront6targetE0EEEvS14_,@function
_ZN7rocprim17ROCPRIM_400000_NS6detail17trampoline_kernelINS0_14default_configENS1_22reduce_config_selectorIN6thrust23THRUST_200600_302600_NS5tupleIblNS6_9null_typeES8_S8_S8_S8_S8_S8_S8_EEEEZNS1_11reduce_implILb1ES3_NS6_12zip_iteratorINS7_INS6_11hip_rocprim26transform_input_iterator_tIbNSD_35transform_pair_of_input_iterators_tIbNS6_6detail15normal_iteratorINS6_10device_ptrIKyEEEESL_NS6_8equal_toIyEEEENSG_9not_fun_tINSD_8identityEEEEENSD_19counting_iterator_tIlEES8_S8_S8_S8_S8_S8_S8_S8_EEEEPS9_S9_NSD_9__find_if7functorIS9_EEEE10hipError_tPvRmT1_T2_T3_mT4_P12ihipStream_tbEUlT_E0_NS1_11comp_targetILNS1_3genE2ELNS1_11target_archE906ELNS1_3gpuE6ELNS1_3repE0EEENS1_30default_config_static_selectorELNS0_4arch9wavefront6targetE0EEEvS14_: ; @_ZN7rocprim17ROCPRIM_400000_NS6detail17trampoline_kernelINS0_14default_configENS1_22reduce_config_selectorIN6thrust23THRUST_200600_302600_NS5tupleIblNS6_9null_typeES8_S8_S8_S8_S8_S8_S8_EEEEZNS1_11reduce_implILb1ES3_NS6_12zip_iteratorINS7_INS6_11hip_rocprim26transform_input_iterator_tIbNSD_35transform_pair_of_input_iterators_tIbNS6_6detail15normal_iteratorINS6_10device_ptrIKyEEEESL_NS6_8equal_toIyEEEENSG_9not_fun_tINSD_8identityEEEEENSD_19counting_iterator_tIlEES8_S8_S8_S8_S8_S8_S8_S8_EEEEPS9_S9_NSD_9__find_if7functorIS9_EEEE10hipError_tPvRmT1_T2_T3_mT4_P12ihipStream_tbEUlT_E0_NS1_11comp_targetILNS1_3genE2ELNS1_11target_archE906ELNS1_3gpuE6ELNS1_3repE0EEENS1_30default_config_static_selectorELNS0_4arch9wavefront6targetE0EEEvS14_
; %bb.0:
	.section	.rodata,"a",@progbits
	.p2align	6, 0x0
	.amdhsa_kernel _ZN7rocprim17ROCPRIM_400000_NS6detail17trampoline_kernelINS0_14default_configENS1_22reduce_config_selectorIN6thrust23THRUST_200600_302600_NS5tupleIblNS6_9null_typeES8_S8_S8_S8_S8_S8_S8_EEEEZNS1_11reduce_implILb1ES3_NS6_12zip_iteratorINS7_INS6_11hip_rocprim26transform_input_iterator_tIbNSD_35transform_pair_of_input_iterators_tIbNS6_6detail15normal_iteratorINS6_10device_ptrIKyEEEESL_NS6_8equal_toIyEEEENSG_9not_fun_tINSD_8identityEEEEENSD_19counting_iterator_tIlEES8_S8_S8_S8_S8_S8_S8_S8_EEEEPS9_S9_NSD_9__find_if7functorIS9_EEEE10hipError_tPvRmT1_T2_T3_mT4_P12ihipStream_tbEUlT_E0_NS1_11comp_targetILNS1_3genE2ELNS1_11target_archE906ELNS1_3gpuE6ELNS1_3repE0EEENS1_30default_config_static_selectorELNS0_4arch9wavefront6targetE0EEEvS14_
		.amdhsa_group_segment_fixed_size 0
		.amdhsa_private_segment_fixed_size 0
		.amdhsa_kernarg_size 104
		.amdhsa_user_sgpr_count 15
		.amdhsa_user_sgpr_dispatch_ptr 0
		.amdhsa_user_sgpr_queue_ptr 0
		.amdhsa_user_sgpr_kernarg_segment_ptr 1
		.amdhsa_user_sgpr_dispatch_id 0
		.amdhsa_user_sgpr_private_segment_size 0
		.amdhsa_wavefront_size32 1
		.amdhsa_uses_dynamic_stack 0
		.amdhsa_enable_private_segment 0
		.amdhsa_system_sgpr_workgroup_id_x 1
		.amdhsa_system_sgpr_workgroup_id_y 0
		.amdhsa_system_sgpr_workgroup_id_z 0
		.amdhsa_system_sgpr_workgroup_info 0
		.amdhsa_system_vgpr_workitem_id 0
		.amdhsa_next_free_vgpr 1
		.amdhsa_next_free_sgpr 1
		.amdhsa_reserve_vcc 0
		.amdhsa_float_round_mode_32 0
		.amdhsa_float_round_mode_16_64 0
		.amdhsa_float_denorm_mode_32 3
		.amdhsa_float_denorm_mode_16_64 3
		.amdhsa_dx10_clamp 1
		.amdhsa_ieee_mode 1
		.amdhsa_fp16_overflow 0
		.amdhsa_workgroup_processor_mode 1
		.amdhsa_memory_ordered 1
		.amdhsa_forward_progress 0
		.amdhsa_shared_vgpr_count 0
		.amdhsa_exception_fp_ieee_invalid_op 0
		.amdhsa_exception_fp_denorm_src 0
		.amdhsa_exception_fp_ieee_div_zero 0
		.amdhsa_exception_fp_ieee_overflow 0
		.amdhsa_exception_fp_ieee_underflow 0
		.amdhsa_exception_fp_ieee_inexact 0
		.amdhsa_exception_int_div_zero 0
	.end_amdhsa_kernel
	.section	.text._ZN7rocprim17ROCPRIM_400000_NS6detail17trampoline_kernelINS0_14default_configENS1_22reduce_config_selectorIN6thrust23THRUST_200600_302600_NS5tupleIblNS6_9null_typeES8_S8_S8_S8_S8_S8_S8_EEEEZNS1_11reduce_implILb1ES3_NS6_12zip_iteratorINS7_INS6_11hip_rocprim26transform_input_iterator_tIbNSD_35transform_pair_of_input_iterators_tIbNS6_6detail15normal_iteratorINS6_10device_ptrIKyEEEESL_NS6_8equal_toIyEEEENSG_9not_fun_tINSD_8identityEEEEENSD_19counting_iterator_tIlEES8_S8_S8_S8_S8_S8_S8_S8_EEEEPS9_S9_NSD_9__find_if7functorIS9_EEEE10hipError_tPvRmT1_T2_T3_mT4_P12ihipStream_tbEUlT_E0_NS1_11comp_targetILNS1_3genE2ELNS1_11target_archE906ELNS1_3gpuE6ELNS1_3repE0EEENS1_30default_config_static_selectorELNS0_4arch9wavefront6targetE0EEEvS14_,"axG",@progbits,_ZN7rocprim17ROCPRIM_400000_NS6detail17trampoline_kernelINS0_14default_configENS1_22reduce_config_selectorIN6thrust23THRUST_200600_302600_NS5tupleIblNS6_9null_typeES8_S8_S8_S8_S8_S8_S8_EEEEZNS1_11reduce_implILb1ES3_NS6_12zip_iteratorINS7_INS6_11hip_rocprim26transform_input_iterator_tIbNSD_35transform_pair_of_input_iterators_tIbNS6_6detail15normal_iteratorINS6_10device_ptrIKyEEEESL_NS6_8equal_toIyEEEENSG_9not_fun_tINSD_8identityEEEEENSD_19counting_iterator_tIlEES8_S8_S8_S8_S8_S8_S8_S8_EEEEPS9_S9_NSD_9__find_if7functorIS9_EEEE10hipError_tPvRmT1_T2_T3_mT4_P12ihipStream_tbEUlT_E0_NS1_11comp_targetILNS1_3genE2ELNS1_11target_archE906ELNS1_3gpuE6ELNS1_3repE0EEENS1_30default_config_static_selectorELNS0_4arch9wavefront6targetE0EEEvS14_,comdat
.Lfunc_end469:
	.size	_ZN7rocprim17ROCPRIM_400000_NS6detail17trampoline_kernelINS0_14default_configENS1_22reduce_config_selectorIN6thrust23THRUST_200600_302600_NS5tupleIblNS6_9null_typeES8_S8_S8_S8_S8_S8_S8_EEEEZNS1_11reduce_implILb1ES3_NS6_12zip_iteratorINS7_INS6_11hip_rocprim26transform_input_iterator_tIbNSD_35transform_pair_of_input_iterators_tIbNS6_6detail15normal_iteratorINS6_10device_ptrIKyEEEESL_NS6_8equal_toIyEEEENSG_9not_fun_tINSD_8identityEEEEENSD_19counting_iterator_tIlEES8_S8_S8_S8_S8_S8_S8_S8_EEEEPS9_S9_NSD_9__find_if7functorIS9_EEEE10hipError_tPvRmT1_T2_T3_mT4_P12ihipStream_tbEUlT_E0_NS1_11comp_targetILNS1_3genE2ELNS1_11target_archE906ELNS1_3gpuE6ELNS1_3repE0EEENS1_30default_config_static_selectorELNS0_4arch9wavefront6targetE0EEEvS14_, .Lfunc_end469-_ZN7rocprim17ROCPRIM_400000_NS6detail17trampoline_kernelINS0_14default_configENS1_22reduce_config_selectorIN6thrust23THRUST_200600_302600_NS5tupleIblNS6_9null_typeES8_S8_S8_S8_S8_S8_S8_EEEEZNS1_11reduce_implILb1ES3_NS6_12zip_iteratorINS7_INS6_11hip_rocprim26transform_input_iterator_tIbNSD_35transform_pair_of_input_iterators_tIbNS6_6detail15normal_iteratorINS6_10device_ptrIKyEEEESL_NS6_8equal_toIyEEEENSG_9not_fun_tINSD_8identityEEEEENSD_19counting_iterator_tIlEES8_S8_S8_S8_S8_S8_S8_S8_EEEEPS9_S9_NSD_9__find_if7functorIS9_EEEE10hipError_tPvRmT1_T2_T3_mT4_P12ihipStream_tbEUlT_E0_NS1_11comp_targetILNS1_3genE2ELNS1_11target_archE906ELNS1_3gpuE6ELNS1_3repE0EEENS1_30default_config_static_selectorELNS0_4arch9wavefront6targetE0EEEvS14_
                                        ; -- End function
	.section	.AMDGPU.csdata,"",@progbits
; Kernel info:
; codeLenInByte = 0
; NumSgprs: 0
; NumVgprs: 0
; ScratchSize: 0
; MemoryBound: 0
; FloatMode: 240
; IeeeMode: 1
; LDSByteSize: 0 bytes/workgroup (compile time only)
; SGPRBlocks: 0
; VGPRBlocks: 0
; NumSGPRsForWavesPerEU: 1
; NumVGPRsForWavesPerEU: 1
; Occupancy: 16
; WaveLimiterHint : 0
; COMPUTE_PGM_RSRC2:SCRATCH_EN: 0
; COMPUTE_PGM_RSRC2:USER_SGPR: 15
; COMPUTE_PGM_RSRC2:TRAP_HANDLER: 0
; COMPUTE_PGM_RSRC2:TGID_X_EN: 1
; COMPUTE_PGM_RSRC2:TGID_Y_EN: 0
; COMPUTE_PGM_RSRC2:TGID_Z_EN: 0
; COMPUTE_PGM_RSRC2:TIDIG_COMP_CNT: 0
	.section	.text._ZN7rocprim17ROCPRIM_400000_NS6detail17trampoline_kernelINS0_14default_configENS1_22reduce_config_selectorIN6thrust23THRUST_200600_302600_NS5tupleIblNS6_9null_typeES8_S8_S8_S8_S8_S8_S8_EEEEZNS1_11reduce_implILb1ES3_NS6_12zip_iteratorINS7_INS6_11hip_rocprim26transform_input_iterator_tIbNSD_35transform_pair_of_input_iterators_tIbNS6_6detail15normal_iteratorINS6_10device_ptrIKyEEEESL_NS6_8equal_toIyEEEENSG_9not_fun_tINSD_8identityEEEEENSD_19counting_iterator_tIlEES8_S8_S8_S8_S8_S8_S8_S8_EEEEPS9_S9_NSD_9__find_if7functorIS9_EEEE10hipError_tPvRmT1_T2_T3_mT4_P12ihipStream_tbEUlT_E0_NS1_11comp_targetILNS1_3genE10ELNS1_11target_archE1201ELNS1_3gpuE5ELNS1_3repE0EEENS1_30default_config_static_selectorELNS0_4arch9wavefront6targetE0EEEvS14_,"axG",@progbits,_ZN7rocprim17ROCPRIM_400000_NS6detail17trampoline_kernelINS0_14default_configENS1_22reduce_config_selectorIN6thrust23THRUST_200600_302600_NS5tupleIblNS6_9null_typeES8_S8_S8_S8_S8_S8_S8_EEEEZNS1_11reduce_implILb1ES3_NS6_12zip_iteratorINS7_INS6_11hip_rocprim26transform_input_iterator_tIbNSD_35transform_pair_of_input_iterators_tIbNS6_6detail15normal_iteratorINS6_10device_ptrIKyEEEESL_NS6_8equal_toIyEEEENSG_9not_fun_tINSD_8identityEEEEENSD_19counting_iterator_tIlEES8_S8_S8_S8_S8_S8_S8_S8_EEEEPS9_S9_NSD_9__find_if7functorIS9_EEEE10hipError_tPvRmT1_T2_T3_mT4_P12ihipStream_tbEUlT_E0_NS1_11comp_targetILNS1_3genE10ELNS1_11target_archE1201ELNS1_3gpuE5ELNS1_3repE0EEENS1_30default_config_static_selectorELNS0_4arch9wavefront6targetE0EEEvS14_,comdat
	.protected	_ZN7rocprim17ROCPRIM_400000_NS6detail17trampoline_kernelINS0_14default_configENS1_22reduce_config_selectorIN6thrust23THRUST_200600_302600_NS5tupleIblNS6_9null_typeES8_S8_S8_S8_S8_S8_S8_EEEEZNS1_11reduce_implILb1ES3_NS6_12zip_iteratorINS7_INS6_11hip_rocprim26transform_input_iterator_tIbNSD_35transform_pair_of_input_iterators_tIbNS6_6detail15normal_iteratorINS6_10device_ptrIKyEEEESL_NS6_8equal_toIyEEEENSG_9not_fun_tINSD_8identityEEEEENSD_19counting_iterator_tIlEES8_S8_S8_S8_S8_S8_S8_S8_EEEEPS9_S9_NSD_9__find_if7functorIS9_EEEE10hipError_tPvRmT1_T2_T3_mT4_P12ihipStream_tbEUlT_E0_NS1_11comp_targetILNS1_3genE10ELNS1_11target_archE1201ELNS1_3gpuE5ELNS1_3repE0EEENS1_30default_config_static_selectorELNS0_4arch9wavefront6targetE0EEEvS14_ ; -- Begin function _ZN7rocprim17ROCPRIM_400000_NS6detail17trampoline_kernelINS0_14default_configENS1_22reduce_config_selectorIN6thrust23THRUST_200600_302600_NS5tupleIblNS6_9null_typeES8_S8_S8_S8_S8_S8_S8_EEEEZNS1_11reduce_implILb1ES3_NS6_12zip_iteratorINS7_INS6_11hip_rocprim26transform_input_iterator_tIbNSD_35transform_pair_of_input_iterators_tIbNS6_6detail15normal_iteratorINS6_10device_ptrIKyEEEESL_NS6_8equal_toIyEEEENSG_9not_fun_tINSD_8identityEEEEENSD_19counting_iterator_tIlEES8_S8_S8_S8_S8_S8_S8_S8_EEEEPS9_S9_NSD_9__find_if7functorIS9_EEEE10hipError_tPvRmT1_T2_T3_mT4_P12ihipStream_tbEUlT_E0_NS1_11comp_targetILNS1_3genE10ELNS1_11target_archE1201ELNS1_3gpuE5ELNS1_3repE0EEENS1_30default_config_static_selectorELNS0_4arch9wavefront6targetE0EEEvS14_
	.globl	_ZN7rocprim17ROCPRIM_400000_NS6detail17trampoline_kernelINS0_14default_configENS1_22reduce_config_selectorIN6thrust23THRUST_200600_302600_NS5tupleIblNS6_9null_typeES8_S8_S8_S8_S8_S8_S8_EEEEZNS1_11reduce_implILb1ES3_NS6_12zip_iteratorINS7_INS6_11hip_rocprim26transform_input_iterator_tIbNSD_35transform_pair_of_input_iterators_tIbNS6_6detail15normal_iteratorINS6_10device_ptrIKyEEEESL_NS6_8equal_toIyEEEENSG_9not_fun_tINSD_8identityEEEEENSD_19counting_iterator_tIlEES8_S8_S8_S8_S8_S8_S8_S8_EEEEPS9_S9_NSD_9__find_if7functorIS9_EEEE10hipError_tPvRmT1_T2_T3_mT4_P12ihipStream_tbEUlT_E0_NS1_11comp_targetILNS1_3genE10ELNS1_11target_archE1201ELNS1_3gpuE5ELNS1_3repE0EEENS1_30default_config_static_selectorELNS0_4arch9wavefront6targetE0EEEvS14_
	.p2align	8
	.type	_ZN7rocprim17ROCPRIM_400000_NS6detail17trampoline_kernelINS0_14default_configENS1_22reduce_config_selectorIN6thrust23THRUST_200600_302600_NS5tupleIblNS6_9null_typeES8_S8_S8_S8_S8_S8_S8_EEEEZNS1_11reduce_implILb1ES3_NS6_12zip_iteratorINS7_INS6_11hip_rocprim26transform_input_iterator_tIbNSD_35transform_pair_of_input_iterators_tIbNS6_6detail15normal_iteratorINS6_10device_ptrIKyEEEESL_NS6_8equal_toIyEEEENSG_9not_fun_tINSD_8identityEEEEENSD_19counting_iterator_tIlEES8_S8_S8_S8_S8_S8_S8_S8_EEEEPS9_S9_NSD_9__find_if7functorIS9_EEEE10hipError_tPvRmT1_T2_T3_mT4_P12ihipStream_tbEUlT_E0_NS1_11comp_targetILNS1_3genE10ELNS1_11target_archE1201ELNS1_3gpuE5ELNS1_3repE0EEENS1_30default_config_static_selectorELNS0_4arch9wavefront6targetE0EEEvS14_,@function
_ZN7rocprim17ROCPRIM_400000_NS6detail17trampoline_kernelINS0_14default_configENS1_22reduce_config_selectorIN6thrust23THRUST_200600_302600_NS5tupleIblNS6_9null_typeES8_S8_S8_S8_S8_S8_S8_EEEEZNS1_11reduce_implILb1ES3_NS6_12zip_iteratorINS7_INS6_11hip_rocprim26transform_input_iterator_tIbNSD_35transform_pair_of_input_iterators_tIbNS6_6detail15normal_iteratorINS6_10device_ptrIKyEEEESL_NS6_8equal_toIyEEEENSG_9not_fun_tINSD_8identityEEEEENSD_19counting_iterator_tIlEES8_S8_S8_S8_S8_S8_S8_S8_EEEEPS9_S9_NSD_9__find_if7functorIS9_EEEE10hipError_tPvRmT1_T2_T3_mT4_P12ihipStream_tbEUlT_E0_NS1_11comp_targetILNS1_3genE10ELNS1_11target_archE1201ELNS1_3gpuE5ELNS1_3repE0EEENS1_30default_config_static_selectorELNS0_4arch9wavefront6targetE0EEEvS14_: ; @_ZN7rocprim17ROCPRIM_400000_NS6detail17trampoline_kernelINS0_14default_configENS1_22reduce_config_selectorIN6thrust23THRUST_200600_302600_NS5tupleIblNS6_9null_typeES8_S8_S8_S8_S8_S8_S8_EEEEZNS1_11reduce_implILb1ES3_NS6_12zip_iteratorINS7_INS6_11hip_rocprim26transform_input_iterator_tIbNSD_35transform_pair_of_input_iterators_tIbNS6_6detail15normal_iteratorINS6_10device_ptrIKyEEEESL_NS6_8equal_toIyEEEENSG_9not_fun_tINSD_8identityEEEEENSD_19counting_iterator_tIlEES8_S8_S8_S8_S8_S8_S8_S8_EEEEPS9_S9_NSD_9__find_if7functorIS9_EEEE10hipError_tPvRmT1_T2_T3_mT4_P12ihipStream_tbEUlT_E0_NS1_11comp_targetILNS1_3genE10ELNS1_11target_archE1201ELNS1_3gpuE5ELNS1_3repE0EEENS1_30default_config_static_selectorELNS0_4arch9wavefront6targetE0EEEvS14_
; %bb.0:
	.section	.rodata,"a",@progbits
	.p2align	6, 0x0
	.amdhsa_kernel _ZN7rocprim17ROCPRIM_400000_NS6detail17trampoline_kernelINS0_14default_configENS1_22reduce_config_selectorIN6thrust23THRUST_200600_302600_NS5tupleIblNS6_9null_typeES8_S8_S8_S8_S8_S8_S8_EEEEZNS1_11reduce_implILb1ES3_NS6_12zip_iteratorINS7_INS6_11hip_rocprim26transform_input_iterator_tIbNSD_35transform_pair_of_input_iterators_tIbNS6_6detail15normal_iteratorINS6_10device_ptrIKyEEEESL_NS6_8equal_toIyEEEENSG_9not_fun_tINSD_8identityEEEEENSD_19counting_iterator_tIlEES8_S8_S8_S8_S8_S8_S8_S8_EEEEPS9_S9_NSD_9__find_if7functorIS9_EEEE10hipError_tPvRmT1_T2_T3_mT4_P12ihipStream_tbEUlT_E0_NS1_11comp_targetILNS1_3genE10ELNS1_11target_archE1201ELNS1_3gpuE5ELNS1_3repE0EEENS1_30default_config_static_selectorELNS0_4arch9wavefront6targetE0EEEvS14_
		.amdhsa_group_segment_fixed_size 0
		.amdhsa_private_segment_fixed_size 0
		.amdhsa_kernarg_size 104
		.amdhsa_user_sgpr_count 15
		.amdhsa_user_sgpr_dispatch_ptr 0
		.amdhsa_user_sgpr_queue_ptr 0
		.amdhsa_user_sgpr_kernarg_segment_ptr 1
		.amdhsa_user_sgpr_dispatch_id 0
		.amdhsa_user_sgpr_private_segment_size 0
		.amdhsa_wavefront_size32 1
		.amdhsa_uses_dynamic_stack 0
		.amdhsa_enable_private_segment 0
		.amdhsa_system_sgpr_workgroup_id_x 1
		.amdhsa_system_sgpr_workgroup_id_y 0
		.amdhsa_system_sgpr_workgroup_id_z 0
		.amdhsa_system_sgpr_workgroup_info 0
		.amdhsa_system_vgpr_workitem_id 0
		.amdhsa_next_free_vgpr 1
		.amdhsa_next_free_sgpr 1
		.amdhsa_reserve_vcc 0
		.amdhsa_float_round_mode_32 0
		.amdhsa_float_round_mode_16_64 0
		.amdhsa_float_denorm_mode_32 3
		.amdhsa_float_denorm_mode_16_64 3
		.amdhsa_dx10_clamp 1
		.amdhsa_ieee_mode 1
		.amdhsa_fp16_overflow 0
		.amdhsa_workgroup_processor_mode 1
		.amdhsa_memory_ordered 1
		.amdhsa_forward_progress 0
		.amdhsa_shared_vgpr_count 0
		.amdhsa_exception_fp_ieee_invalid_op 0
		.amdhsa_exception_fp_denorm_src 0
		.amdhsa_exception_fp_ieee_div_zero 0
		.amdhsa_exception_fp_ieee_overflow 0
		.amdhsa_exception_fp_ieee_underflow 0
		.amdhsa_exception_fp_ieee_inexact 0
		.amdhsa_exception_int_div_zero 0
	.end_amdhsa_kernel
	.section	.text._ZN7rocprim17ROCPRIM_400000_NS6detail17trampoline_kernelINS0_14default_configENS1_22reduce_config_selectorIN6thrust23THRUST_200600_302600_NS5tupleIblNS6_9null_typeES8_S8_S8_S8_S8_S8_S8_EEEEZNS1_11reduce_implILb1ES3_NS6_12zip_iteratorINS7_INS6_11hip_rocprim26transform_input_iterator_tIbNSD_35transform_pair_of_input_iterators_tIbNS6_6detail15normal_iteratorINS6_10device_ptrIKyEEEESL_NS6_8equal_toIyEEEENSG_9not_fun_tINSD_8identityEEEEENSD_19counting_iterator_tIlEES8_S8_S8_S8_S8_S8_S8_S8_EEEEPS9_S9_NSD_9__find_if7functorIS9_EEEE10hipError_tPvRmT1_T2_T3_mT4_P12ihipStream_tbEUlT_E0_NS1_11comp_targetILNS1_3genE10ELNS1_11target_archE1201ELNS1_3gpuE5ELNS1_3repE0EEENS1_30default_config_static_selectorELNS0_4arch9wavefront6targetE0EEEvS14_,"axG",@progbits,_ZN7rocprim17ROCPRIM_400000_NS6detail17trampoline_kernelINS0_14default_configENS1_22reduce_config_selectorIN6thrust23THRUST_200600_302600_NS5tupleIblNS6_9null_typeES8_S8_S8_S8_S8_S8_S8_EEEEZNS1_11reduce_implILb1ES3_NS6_12zip_iteratorINS7_INS6_11hip_rocprim26transform_input_iterator_tIbNSD_35transform_pair_of_input_iterators_tIbNS6_6detail15normal_iteratorINS6_10device_ptrIKyEEEESL_NS6_8equal_toIyEEEENSG_9not_fun_tINSD_8identityEEEEENSD_19counting_iterator_tIlEES8_S8_S8_S8_S8_S8_S8_S8_EEEEPS9_S9_NSD_9__find_if7functorIS9_EEEE10hipError_tPvRmT1_T2_T3_mT4_P12ihipStream_tbEUlT_E0_NS1_11comp_targetILNS1_3genE10ELNS1_11target_archE1201ELNS1_3gpuE5ELNS1_3repE0EEENS1_30default_config_static_selectorELNS0_4arch9wavefront6targetE0EEEvS14_,comdat
.Lfunc_end470:
	.size	_ZN7rocprim17ROCPRIM_400000_NS6detail17trampoline_kernelINS0_14default_configENS1_22reduce_config_selectorIN6thrust23THRUST_200600_302600_NS5tupleIblNS6_9null_typeES8_S8_S8_S8_S8_S8_S8_EEEEZNS1_11reduce_implILb1ES3_NS6_12zip_iteratorINS7_INS6_11hip_rocprim26transform_input_iterator_tIbNSD_35transform_pair_of_input_iterators_tIbNS6_6detail15normal_iteratorINS6_10device_ptrIKyEEEESL_NS6_8equal_toIyEEEENSG_9not_fun_tINSD_8identityEEEEENSD_19counting_iterator_tIlEES8_S8_S8_S8_S8_S8_S8_S8_EEEEPS9_S9_NSD_9__find_if7functorIS9_EEEE10hipError_tPvRmT1_T2_T3_mT4_P12ihipStream_tbEUlT_E0_NS1_11comp_targetILNS1_3genE10ELNS1_11target_archE1201ELNS1_3gpuE5ELNS1_3repE0EEENS1_30default_config_static_selectorELNS0_4arch9wavefront6targetE0EEEvS14_, .Lfunc_end470-_ZN7rocprim17ROCPRIM_400000_NS6detail17trampoline_kernelINS0_14default_configENS1_22reduce_config_selectorIN6thrust23THRUST_200600_302600_NS5tupleIblNS6_9null_typeES8_S8_S8_S8_S8_S8_S8_EEEEZNS1_11reduce_implILb1ES3_NS6_12zip_iteratorINS7_INS6_11hip_rocprim26transform_input_iterator_tIbNSD_35transform_pair_of_input_iterators_tIbNS6_6detail15normal_iteratorINS6_10device_ptrIKyEEEESL_NS6_8equal_toIyEEEENSG_9not_fun_tINSD_8identityEEEEENSD_19counting_iterator_tIlEES8_S8_S8_S8_S8_S8_S8_S8_EEEEPS9_S9_NSD_9__find_if7functorIS9_EEEE10hipError_tPvRmT1_T2_T3_mT4_P12ihipStream_tbEUlT_E0_NS1_11comp_targetILNS1_3genE10ELNS1_11target_archE1201ELNS1_3gpuE5ELNS1_3repE0EEENS1_30default_config_static_selectorELNS0_4arch9wavefront6targetE0EEEvS14_
                                        ; -- End function
	.section	.AMDGPU.csdata,"",@progbits
; Kernel info:
; codeLenInByte = 0
; NumSgprs: 0
; NumVgprs: 0
; ScratchSize: 0
; MemoryBound: 0
; FloatMode: 240
; IeeeMode: 1
; LDSByteSize: 0 bytes/workgroup (compile time only)
; SGPRBlocks: 0
; VGPRBlocks: 0
; NumSGPRsForWavesPerEU: 1
; NumVGPRsForWavesPerEU: 1
; Occupancy: 16
; WaveLimiterHint : 0
; COMPUTE_PGM_RSRC2:SCRATCH_EN: 0
; COMPUTE_PGM_RSRC2:USER_SGPR: 15
; COMPUTE_PGM_RSRC2:TRAP_HANDLER: 0
; COMPUTE_PGM_RSRC2:TGID_X_EN: 1
; COMPUTE_PGM_RSRC2:TGID_Y_EN: 0
; COMPUTE_PGM_RSRC2:TGID_Z_EN: 0
; COMPUTE_PGM_RSRC2:TIDIG_COMP_CNT: 0
	.section	.text._ZN7rocprim17ROCPRIM_400000_NS6detail17trampoline_kernelINS0_14default_configENS1_22reduce_config_selectorIN6thrust23THRUST_200600_302600_NS5tupleIblNS6_9null_typeES8_S8_S8_S8_S8_S8_S8_EEEEZNS1_11reduce_implILb1ES3_NS6_12zip_iteratorINS7_INS6_11hip_rocprim26transform_input_iterator_tIbNSD_35transform_pair_of_input_iterators_tIbNS6_6detail15normal_iteratorINS6_10device_ptrIKyEEEESL_NS6_8equal_toIyEEEENSG_9not_fun_tINSD_8identityEEEEENSD_19counting_iterator_tIlEES8_S8_S8_S8_S8_S8_S8_S8_EEEEPS9_S9_NSD_9__find_if7functorIS9_EEEE10hipError_tPvRmT1_T2_T3_mT4_P12ihipStream_tbEUlT_E0_NS1_11comp_targetILNS1_3genE10ELNS1_11target_archE1200ELNS1_3gpuE4ELNS1_3repE0EEENS1_30default_config_static_selectorELNS0_4arch9wavefront6targetE0EEEvS14_,"axG",@progbits,_ZN7rocprim17ROCPRIM_400000_NS6detail17trampoline_kernelINS0_14default_configENS1_22reduce_config_selectorIN6thrust23THRUST_200600_302600_NS5tupleIblNS6_9null_typeES8_S8_S8_S8_S8_S8_S8_EEEEZNS1_11reduce_implILb1ES3_NS6_12zip_iteratorINS7_INS6_11hip_rocprim26transform_input_iterator_tIbNSD_35transform_pair_of_input_iterators_tIbNS6_6detail15normal_iteratorINS6_10device_ptrIKyEEEESL_NS6_8equal_toIyEEEENSG_9not_fun_tINSD_8identityEEEEENSD_19counting_iterator_tIlEES8_S8_S8_S8_S8_S8_S8_S8_EEEEPS9_S9_NSD_9__find_if7functorIS9_EEEE10hipError_tPvRmT1_T2_T3_mT4_P12ihipStream_tbEUlT_E0_NS1_11comp_targetILNS1_3genE10ELNS1_11target_archE1200ELNS1_3gpuE4ELNS1_3repE0EEENS1_30default_config_static_selectorELNS0_4arch9wavefront6targetE0EEEvS14_,comdat
	.protected	_ZN7rocprim17ROCPRIM_400000_NS6detail17trampoline_kernelINS0_14default_configENS1_22reduce_config_selectorIN6thrust23THRUST_200600_302600_NS5tupleIblNS6_9null_typeES8_S8_S8_S8_S8_S8_S8_EEEEZNS1_11reduce_implILb1ES3_NS6_12zip_iteratorINS7_INS6_11hip_rocprim26transform_input_iterator_tIbNSD_35transform_pair_of_input_iterators_tIbNS6_6detail15normal_iteratorINS6_10device_ptrIKyEEEESL_NS6_8equal_toIyEEEENSG_9not_fun_tINSD_8identityEEEEENSD_19counting_iterator_tIlEES8_S8_S8_S8_S8_S8_S8_S8_EEEEPS9_S9_NSD_9__find_if7functorIS9_EEEE10hipError_tPvRmT1_T2_T3_mT4_P12ihipStream_tbEUlT_E0_NS1_11comp_targetILNS1_3genE10ELNS1_11target_archE1200ELNS1_3gpuE4ELNS1_3repE0EEENS1_30default_config_static_selectorELNS0_4arch9wavefront6targetE0EEEvS14_ ; -- Begin function _ZN7rocprim17ROCPRIM_400000_NS6detail17trampoline_kernelINS0_14default_configENS1_22reduce_config_selectorIN6thrust23THRUST_200600_302600_NS5tupleIblNS6_9null_typeES8_S8_S8_S8_S8_S8_S8_EEEEZNS1_11reduce_implILb1ES3_NS6_12zip_iteratorINS7_INS6_11hip_rocprim26transform_input_iterator_tIbNSD_35transform_pair_of_input_iterators_tIbNS6_6detail15normal_iteratorINS6_10device_ptrIKyEEEESL_NS6_8equal_toIyEEEENSG_9not_fun_tINSD_8identityEEEEENSD_19counting_iterator_tIlEES8_S8_S8_S8_S8_S8_S8_S8_EEEEPS9_S9_NSD_9__find_if7functorIS9_EEEE10hipError_tPvRmT1_T2_T3_mT4_P12ihipStream_tbEUlT_E0_NS1_11comp_targetILNS1_3genE10ELNS1_11target_archE1200ELNS1_3gpuE4ELNS1_3repE0EEENS1_30default_config_static_selectorELNS0_4arch9wavefront6targetE0EEEvS14_
	.globl	_ZN7rocprim17ROCPRIM_400000_NS6detail17trampoline_kernelINS0_14default_configENS1_22reduce_config_selectorIN6thrust23THRUST_200600_302600_NS5tupleIblNS6_9null_typeES8_S8_S8_S8_S8_S8_S8_EEEEZNS1_11reduce_implILb1ES3_NS6_12zip_iteratorINS7_INS6_11hip_rocprim26transform_input_iterator_tIbNSD_35transform_pair_of_input_iterators_tIbNS6_6detail15normal_iteratorINS6_10device_ptrIKyEEEESL_NS6_8equal_toIyEEEENSG_9not_fun_tINSD_8identityEEEEENSD_19counting_iterator_tIlEES8_S8_S8_S8_S8_S8_S8_S8_EEEEPS9_S9_NSD_9__find_if7functorIS9_EEEE10hipError_tPvRmT1_T2_T3_mT4_P12ihipStream_tbEUlT_E0_NS1_11comp_targetILNS1_3genE10ELNS1_11target_archE1200ELNS1_3gpuE4ELNS1_3repE0EEENS1_30default_config_static_selectorELNS0_4arch9wavefront6targetE0EEEvS14_
	.p2align	8
	.type	_ZN7rocprim17ROCPRIM_400000_NS6detail17trampoline_kernelINS0_14default_configENS1_22reduce_config_selectorIN6thrust23THRUST_200600_302600_NS5tupleIblNS6_9null_typeES8_S8_S8_S8_S8_S8_S8_EEEEZNS1_11reduce_implILb1ES3_NS6_12zip_iteratorINS7_INS6_11hip_rocprim26transform_input_iterator_tIbNSD_35transform_pair_of_input_iterators_tIbNS6_6detail15normal_iteratorINS6_10device_ptrIKyEEEESL_NS6_8equal_toIyEEEENSG_9not_fun_tINSD_8identityEEEEENSD_19counting_iterator_tIlEES8_S8_S8_S8_S8_S8_S8_S8_EEEEPS9_S9_NSD_9__find_if7functorIS9_EEEE10hipError_tPvRmT1_T2_T3_mT4_P12ihipStream_tbEUlT_E0_NS1_11comp_targetILNS1_3genE10ELNS1_11target_archE1200ELNS1_3gpuE4ELNS1_3repE0EEENS1_30default_config_static_selectorELNS0_4arch9wavefront6targetE0EEEvS14_,@function
_ZN7rocprim17ROCPRIM_400000_NS6detail17trampoline_kernelINS0_14default_configENS1_22reduce_config_selectorIN6thrust23THRUST_200600_302600_NS5tupleIblNS6_9null_typeES8_S8_S8_S8_S8_S8_S8_EEEEZNS1_11reduce_implILb1ES3_NS6_12zip_iteratorINS7_INS6_11hip_rocprim26transform_input_iterator_tIbNSD_35transform_pair_of_input_iterators_tIbNS6_6detail15normal_iteratorINS6_10device_ptrIKyEEEESL_NS6_8equal_toIyEEEENSG_9not_fun_tINSD_8identityEEEEENSD_19counting_iterator_tIlEES8_S8_S8_S8_S8_S8_S8_S8_EEEEPS9_S9_NSD_9__find_if7functorIS9_EEEE10hipError_tPvRmT1_T2_T3_mT4_P12ihipStream_tbEUlT_E0_NS1_11comp_targetILNS1_3genE10ELNS1_11target_archE1200ELNS1_3gpuE4ELNS1_3repE0EEENS1_30default_config_static_selectorELNS0_4arch9wavefront6targetE0EEEvS14_: ; @_ZN7rocprim17ROCPRIM_400000_NS6detail17trampoline_kernelINS0_14default_configENS1_22reduce_config_selectorIN6thrust23THRUST_200600_302600_NS5tupleIblNS6_9null_typeES8_S8_S8_S8_S8_S8_S8_EEEEZNS1_11reduce_implILb1ES3_NS6_12zip_iteratorINS7_INS6_11hip_rocprim26transform_input_iterator_tIbNSD_35transform_pair_of_input_iterators_tIbNS6_6detail15normal_iteratorINS6_10device_ptrIKyEEEESL_NS6_8equal_toIyEEEENSG_9not_fun_tINSD_8identityEEEEENSD_19counting_iterator_tIlEES8_S8_S8_S8_S8_S8_S8_S8_EEEEPS9_S9_NSD_9__find_if7functorIS9_EEEE10hipError_tPvRmT1_T2_T3_mT4_P12ihipStream_tbEUlT_E0_NS1_11comp_targetILNS1_3genE10ELNS1_11target_archE1200ELNS1_3gpuE4ELNS1_3repE0EEENS1_30default_config_static_selectorELNS0_4arch9wavefront6targetE0EEEvS14_
; %bb.0:
	.section	.rodata,"a",@progbits
	.p2align	6, 0x0
	.amdhsa_kernel _ZN7rocprim17ROCPRIM_400000_NS6detail17trampoline_kernelINS0_14default_configENS1_22reduce_config_selectorIN6thrust23THRUST_200600_302600_NS5tupleIblNS6_9null_typeES8_S8_S8_S8_S8_S8_S8_EEEEZNS1_11reduce_implILb1ES3_NS6_12zip_iteratorINS7_INS6_11hip_rocprim26transform_input_iterator_tIbNSD_35transform_pair_of_input_iterators_tIbNS6_6detail15normal_iteratorINS6_10device_ptrIKyEEEESL_NS6_8equal_toIyEEEENSG_9not_fun_tINSD_8identityEEEEENSD_19counting_iterator_tIlEES8_S8_S8_S8_S8_S8_S8_S8_EEEEPS9_S9_NSD_9__find_if7functorIS9_EEEE10hipError_tPvRmT1_T2_T3_mT4_P12ihipStream_tbEUlT_E0_NS1_11comp_targetILNS1_3genE10ELNS1_11target_archE1200ELNS1_3gpuE4ELNS1_3repE0EEENS1_30default_config_static_selectorELNS0_4arch9wavefront6targetE0EEEvS14_
		.amdhsa_group_segment_fixed_size 0
		.amdhsa_private_segment_fixed_size 0
		.amdhsa_kernarg_size 104
		.amdhsa_user_sgpr_count 15
		.amdhsa_user_sgpr_dispatch_ptr 0
		.amdhsa_user_sgpr_queue_ptr 0
		.amdhsa_user_sgpr_kernarg_segment_ptr 1
		.amdhsa_user_sgpr_dispatch_id 0
		.amdhsa_user_sgpr_private_segment_size 0
		.amdhsa_wavefront_size32 1
		.amdhsa_uses_dynamic_stack 0
		.amdhsa_enable_private_segment 0
		.amdhsa_system_sgpr_workgroup_id_x 1
		.amdhsa_system_sgpr_workgroup_id_y 0
		.amdhsa_system_sgpr_workgroup_id_z 0
		.amdhsa_system_sgpr_workgroup_info 0
		.amdhsa_system_vgpr_workitem_id 0
		.amdhsa_next_free_vgpr 1
		.amdhsa_next_free_sgpr 1
		.amdhsa_reserve_vcc 0
		.amdhsa_float_round_mode_32 0
		.amdhsa_float_round_mode_16_64 0
		.amdhsa_float_denorm_mode_32 3
		.amdhsa_float_denorm_mode_16_64 3
		.amdhsa_dx10_clamp 1
		.amdhsa_ieee_mode 1
		.amdhsa_fp16_overflow 0
		.amdhsa_workgroup_processor_mode 1
		.amdhsa_memory_ordered 1
		.amdhsa_forward_progress 0
		.amdhsa_shared_vgpr_count 0
		.amdhsa_exception_fp_ieee_invalid_op 0
		.amdhsa_exception_fp_denorm_src 0
		.amdhsa_exception_fp_ieee_div_zero 0
		.amdhsa_exception_fp_ieee_overflow 0
		.amdhsa_exception_fp_ieee_underflow 0
		.amdhsa_exception_fp_ieee_inexact 0
		.amdhsa_exception_int_div_zero 0
	.end_amdhsa_kernel
	.section	.text._ZN7rocprim17ROCPRIM_400000_NS6detail17trampoline_kernelINS0_14default_configENS1_22reduce_config_selectorIN6thrust23THRUST_200600_302600_NS5tupleIblNS6_9null_typeES8_S8_S8_S8_S8_S8_S8_EEEEZNS1_11reduce_implILb1ES3_NS6_12zip_iteratorINS7_INS6_11hip_rocprim26transform_input_iterator_tIbNSD_35transform_pair_of_input_iterators_tIbNS6_6detail15normal_iteratorINS6_10device_ptrIKyEEEESL_NS6_8equal_toIyEEEENSG_9not_fun_tINSD_8identityEEEEENSD_19counting_iterator_tIlEES8_S8_S8_S8_S8_S8_S8_S8_EEEEPS9_S9_NSD_9__find_if7functorIS9_EEEE10hipError_tPvRmT1_T2_T3_mT4_P12ihipStream_tbEUlT_E0_NS1_11comp_targetILNS1_3genE10ELNS1_11target_archE1200ELNS1_3gpuE4ELNS1_3repE0EEENS1_30default_config_static_selectorELNS0_4arch9wavefront6targetE0EEEvS14_,"axG",@progbits,_ZN7rocprim17ROCPRIM_400000_NS6detail17trampoline_kernelINS0_14default_configENS1_22reduce_config_selectorIN6thrust23THRUST_200600_302600_NS5tupleIblNS6_9null_typeES8_S8_S8_S8_S8_S8_S8_EEEEZNS1_11reduce_implILb1ES3_NS6_12zip_iteratorINS7_INS6_11hip_rocprim26transform_input_iterator_tIbNSD_35transform_pair_of_input_iterators_tIbNS6_6detail15normal_iteratorINS6_10device_ptrIKyEEEESL_NS6_8equal_toIyEEEENSG_9not_fun_tINSD_8identityEEEEENSD_19counting_iterator_tIlEES8_S8_S8_S8_S8_S8_S8_S8_EEEEPS9_S9_NSD_9__find_if7functorIS9_EEEE10hipError_tPvRmT1_T2_T3_mT4_P12ihipStream_tbEUlT_E0_NS1_11comp_targetILNS1_3genE10ELNS1_11target_archE1200ELNS1_3gpuE4ELNS1_3repE0EEENS1_30default_config_static_selectorELNS0_4arch9wavefront6targetE0EEEvS14_,comdat
.Lfunc_end471:
	.size	_ZN7rocprim17ROCPRIM_400000_NS6detail17trampoline_kernelINS0_14default_configENS1_22reduce_config_selectorIN6thrust23THRUST_200600_302600_NS5tupleIblNS6_9null_typeES8_S8_S8_S8_S8_S8_S8_EEEEZNS1_11reduce_implILb1ES3_NS6_12zip_iteratorINS7_INS6_11hip_rocprim26transform_input_iterator_tIbNSD_35transform_pair_of_input_iterators_tIbNS6_6detail15normal_iteratorINS6_10device_ptrIKyEEEESL_NS6_8equal_toIyEEEENSG_9not_fun_tINSD_8identityEEEEENSD_19counting_iterator_tIlEES8_S8_S8_S8_S8_S8_S8_S8_EEEEPS9_S9_NSD_9__find_if7functorIS9_EEEE10hipError_tPvRmT1_T2_T3_mT4_P12ihipStream_tbEUlT_E0_NS1_11comp_targetILNS1_3genE10ELNS1_11target_archE1200ELNS1_3gpuE4ELNS1_3repE0EEENS1_30default_config_static_selectorELNS0_4arch9wavefront6targetE0EEEvS14_, .Lfunc_end471-_ZN7rocprim17ROCPRIM_400000_NS6detail17trampoline_kernelINS0_14default_configENS1_22reduce_config_selectorIN6thrust23THRUST_200600_302600_NS5tupleIblNS6_9null_typeES8_S8_S8_S8_S8_S8_S8_EEEEZNS1_11reduce_implILb1ES3_NS6_12zip_iteratorINS7_INS6_11hip_rocprim26transform_input_iterator_tIbNSD_35transform_pair_of_input_iterators_tIbNS6_6detail15normal_iteratorINS6_10device_ptrIKyEEEESL_NS6_8equal_toIyEEEENSG_9not_fun_tINSD_8identityEEEEENSD_19counting_iterator_tIlEES8_S8_S8_S8_S8_S8_S8_S8_EEEEPS9_S9_NSD_9__find_if7functorIS9_EEEE10hipError_tPvRmT1_T2_T3_mT4_P12ihipStream_tbEUlT_E0_NS1_11comp_targetILNS1_3genE10ELNS1_11target_archE1200ELNS1_3gpuE4ELNS1_3repE0EEENS1_30default_config_static_selectorELNS0_4arch9wavefront6targetE0EEEvS14_
                                        ; -- End function
	.section	.AMDGPU.csdata,"",@progbits
; Kernel info:
; codeLenInByte = 0
; NumSgprs: 0
; NumVgprs: 0
; ScratchSize: 0
; MemoryBound: 0
; FloatMode: 240
; IeeeMode: 1
; LDSByteSize: 0 bytes/workgroup (compile time only)
; SGPRBlocks: 0
; VGPRBlocks: 0
; NumSGPRsForWavesPerEU: 1
; NumVGPRsForWavesPerEU: 1
; Occupancy: 16
; WaveLimiterHint : 0
; COMPUTE_PGM_RSRC2:SCRATCH_EN: 0
; COMPUTE_PGM_RSRC2:USER_SGPR: 15
; COMPUTE_PGM_RSRC2:TRAP_HANDLER: 0
; COMPUTE_PGM_RSRC2:TGID_X_EN: 1
; COMPUTE_PGM_RSRC2:TGID_Y_EN: 0
; COMPUTE_PGM_RSRC2:TGID_Z_EN: 0
; COMPUTE_PGM_RSRC2:TIDIG_COMP_CNT: 0
	.section	.text._ZN7rocprim17ROCPRIM_400000_NS6detail17trampoline_kernelINS0_14default_configENS1_22reduce_config_selectorIN6thrust23THRUST_200600_302600_NS5tupleIblNS6_9null_typeES8_S8_S8_S8_S8_S8_S8_EEEEZNS1_11reduce_implILb1ES3_NS6_12zip_iteratorINS7_INS6_11hip_rocprim26transform_input_iterator_tIbNSD_35transform_pair_of_input_iterators_tIbNS6_6detail15normal_iteratorINS6_10device_ptrIKyEEEESL_NS6_8equal_toIyEEEENSG_9not_fun_tINSD_8identityEEEEENSD_19counting_iterator_tIlEES8_S8_S8_S8_S8_S8_S8_S8_EEEEPS9_S9_NSD_9__find_if7functorIS9_EEEE10hipError_tPvRmT1_T2_T3_mT4_P12ihipStream_tbEUlT_E0_NS1_11comp_targetILNS1_3genE9ELNS1_11target_archE1100ELNS1_3gpuE3ELNS1_3repE0EEENS1_30default_config_static_selectorELNS0_4arch9wavefront6targetE0EEEvS14_,"axG",@progbits,_ZN7rocprim17ROCPRIM_400000_NS6detail17trampoline_kernelINS0_14default_configENS1_22reduce_config_selectorIN6thrust23THRUST_200600_302600_NS5tupleIblNS6_9null_typeES8_S8_S8_S8_S8_S8_S8_EEEEZNS1_11reduce_implILb1ES3_NS6_12zip_iteratorINS7_INS6_11hip_rocprim26transform_input_iterator_tIbNSD_35transform_pair_of_input_iterators_tIbNS6_6detail15normal_iteratorINS6_10device_ptrIKyEEEESL_NS6_8equal_toIyEEEENSG_9not_fun_tINSD_8identityEEEEENSD_19counting_iterator_tIlEES8_S8_S8_S8_S8_S8_S8_S8_EEEEPS9_S9_NSD_9__find_if7functorIS9_EEEE10hipError_tPvRmT1_T2_T3_mT4_P12ihipStream_tbEUlT_E0_NS1_11comp_targetILNS1_3genE9ELNS1_11target_archE1100ELNS1_3gpuE3ELNS1_3repE0EEENS1_30default_config_static_selectorELNS0_4arch9wavefront6targetE0EEEvS14_,comdat
	.protected	_ZN7rocprim17ROCPRIM_400000_NS6detail17trampoline_kernelINS0_14default_configENS1_22reduce_config_selectorIN6thrust23THRUST_200600_302600_NS5tupleIblNS6_9null_typeES8_S8_S8_S8_S8_S8_S8_EEEEZNS1_11reduce_implILb1ES3_NS6_12zip_iteratorINS7_INS6_11hip_rocprim26transform_input_iterator_tIbNSD_35transform_pair_of_input_iterators_tIbNS6_6detail15normal_iteratorINS6_10device_ptrIKyEEEESL_NS6_8equal_toIyEEEENSG_9not_fun_tINSD_8identityEEEEENSD_19counting_iterator_tIlEES8_S8_S8_S8_S8_S8_S8_S8_EEEEPS9_S9_NSD_9__find_if7functorIS9_EEEE10hipError_tPvRmT1_T2_T3_mT4_P12ihipStream_tbEUlT_E0_NS1_11comp_targetILNS1_3genE9ELNS1_11target_archE1100ELNS1_3gpuE3ELNS1_3repE0EEENS1_30default_config_static_selectorELNS0_4arch9wavefront6targetE0EEEvS14_ ; -- Begin function _ZN7rocprim17ROCPRIM_400000_NS6detail17trampoline_kernelINS0_14default_configENS1_22reduce_config_selectorIN6thrust23THRUST_200600_302600_NS5tupleIblNS6_9null_typeES8_S8_S8_S8_S8_S8_S8_EEEEZNS1_11reduce_implILb1ES3_NS6_12zip_iteratorINS7_INS6_11hip_rocprim26transform_input_iterator_tIbNSD_35transform_pair_of_input_iterators_tIbNS6_6detail15normal_iteratorINS6_10device_ptrIKyEEEESL_NS6_8equal_toIyEEEENSG_9not_fun_tINSD_8identityEEEEENSD_19counting_iterator_tIlEES8_S8_S8_S8_S8_S8_S8_S8_EEEEPS9_S9_NSD_9__find_if7functorIS9_EEEE10hipError_tPvRmT1_T2_T3_mT4_P12ihipStream_tbEUlT_E0_NS1_11comp_targetILNS1_3genE9ELNS1_11target_archE1100ELNS1_3gpuE3ELNS1_3repE0EEENS1_30default_config_static_selectorELNS0_4arch9wavefront6targetE0EEEvS14_
	.globl	_ZN7rocprim17ROCPRIM_400000_NS6detail17trampoline_kernelINS0_14default_configENS1_22reduce_config_selectorIN6thrust23THRUST_200600_302600_NS5tupleIblNS6_9null_typeES8_S8_S8_S8_S8_S8_S8_EEEEZNS1_11reduce_implILb1ES3_NS6_12zip_iteratorINS7_INS6_11hip_rocprim26transform_input_iterator_tIbNSD_35transform_pair_of_input_iterators_tIbNS6_6detail15normal_iteratorINS6_10device_ptrIKyEEEESL_NS6_8equal_toIyEEEENSG_9not_fun_tINSD_8identityEEEEENSD_19counting_iterator_tIlEES8_S8_S8_S8_S8_S8_S8_S8_EEEEPS9_S9_NSD_9__find_if7functorIS9_EEEE10hipError_tPvRmT1_T2_T3_mT4_P12ihipStream_tbEUlT_E0_NS1_11comp_targetILNS1_3genE9ELNS1_11target_archE1100ELNS1_3gpuE3ELNS1_3repE0EEENS1_30default_config_static_selectorELNS0_4arch9wavefront6targetE0EEEvS14_
	.p2align	8
	.type	_ZN7rocprim17ROCPRIM_400000_NS6detail17trampoline_kernelINS0_14default_configENS1_22reduce_config_selectorIN6thrust23THRUST_200600_302600_NS5tupleIblNS6_9null_typeES8_S8_S8_S8_S8_S8_S8_EEEEZNS1_11reduce_implILb1ES3_NS6_12zip_iteratorINS7_INS6_11hip_rocprim26transform_input_iterator_tIbNSD_35transform_pair_of_input_iterators_tIbNS6_6detail15normal_iteratorINS6_10device_ptrIKyEEEESL_NS6_8equal_toIyEEEENSG_9not_fun_tINSD_8identityEEEEENSD_19counting_iterator_tIlEES8_S8_S8_S8_S8_S8_S8_S8_EEEEPS9_S9_NSD_9__find_if7functorIS9_EEEE10hipError_tPvRmT1_T2_T3_mT4_P12ihipStream_tbEUlT_E0_NS1_11comp_targetILNS1_3genE9ELNS1_11target_archE1100ELNS1_3gpuE3ELNS1_3repE0EEENS1_30default_config_static_selectorELNS0_4arch9wavefront6targetE0EEEvS14_,@function
_ZN7rocprim17ROCPRIM_400000_NS6detail17trampoline_kernelINS0_14default_configENS1_22reduce_config_selectorIN6thrust23THRUST_200600_302600_NS5tupleIblNS6_9null_typeES8_S8_S8_S8_S8_S8_S8_EEEEZNS1_11reduce_implILb1ES3_NS6_12zip_iteratorINS7_INS6_11hip_rocprim26transform_input_iterator_tIbNSD_35transform_pair_of_input_iterators_tIbNS6_6detail15normal_iteratorINS6_10device_ptrIKyEEEESL_NS6_8equal_toIyEEEENSG_9not_fun_tINSD_8identityEEEEENSD_19counting_iterator_tIlEES8_S8_S8_S8_S8_S8_S8_S8_EEEEPS9_S9_NSD_9__find_if7functorIS9_EEEE10hipError_tPvRmT1_T2_T3_mT4_P12ihipStream_tbEUlT_E0_NS1_11comp_targetILNS1_3genE9ELNS1_11target_archE1100ELNS1_3gpuE3ELNS1_3repE0EEENS1_30default_config_static_selectorELNS0_4arch9wavefront6targetE0EEEvS14_: ; @_ZN7rocprim17ROCPRIM_400000_NS6detail17trampoline_kernelINS0_14default_configENS1_22reduce_config_selectorIN6thrust23THRUST_200600_302600_NS5tupleIblNS6_9null_typeES8_S8_S8_S8_S8_S8_S8_EEEEZNS1_11reduce_implILb1ES3_NS6_12zip_iteratorINS7_INS6_11hip_rocprim26transform_input_iterator_tIbNSD_35transform_pair_of_input_iterators_tIbNS6_6detail15normal_iteratorINS6_10device_ptrIKyEEEESL_NS6_8equal_toIyEEEENSG_9not_fun_tINSD_8identityEEEEENSD_19counting_iterator_tIlEES8_S8_S8_S8_S8_S8_S8_S8_EEEEPS9_S9_NSD_9__find_if7functorIS9_EEEE10hipError_tPvRmT1_T2_T3_mT4_P12ihipStream_tbEUlT_E0_NS1_11comp_targetILNS1_3genE9ELNS1_11target_archE1100ELNS1_3gpuE3ELNS1_3repE0EEENS1_30default_config_static_selectorELNS0_4arch9wavefront6targetE0EEEvS14_
; %bb.0:
	s_clause 0x1
	s_load_b256 s[4:11], s[0:1], 0x20
	s_load_b128 s[24:27], s[0:1], 0x0
	s_mov_b32 s16, s15
	s_load_b128 s[12:15], s[0:1], 0x40
	s_mov_b32 s23, 0
	v_lshlrev_b32_e32 v7, 3, v0
	s_mov_b32 s17, s23
	s_waitcnt lgkmcnt(0)
	s_lshl_b64 s[2:3], s[6:7], 3
	s_delay_alu instid0(SALU_CYCLE_1)
	s_add_u32 s18, s24, s2
	s_addc_u32 s19, s25, s3
	s_add_u32 s20, s26, s2
	s_addc_u32 s21, s27, s3
	s_lshl_b32 s22, s16, 10
	s_lshr_b64 s[24:25], s[8:9], 10
	s_lshl_b64 s[2:3], s[22:23], 3
	s_delay_alu instid0(SALU_CYCLE_1)
	s_add_u32 s18, s18, s2
	s_addc_u32 s19, s19, s3
	s_add_u32 s20, s20, s2
	s_addc_u32 s21, s21, s3
	;; [unrolled: 2-line block ×4, first 2 shown]
	s_cmp_lg_u64 s[24:25], s[16:17]
	s_cbranch_scc0 .LBB472_16
; %bb.1:
	v_add_co_u32 v8, s2, s18, v7
	s_delay_alu instid0(VALU_DEP_1) | instskip(SKIP_1) | instid1(VALU_DEP_1)
	v_add_co_ci_u32_e64 v9, null, s19, 0, s2
	v_add_co_u32 v5, s2, s20, v7
	v_add_co_ci_u32_e64 v6, null, s21, 0, s2
	s_clause 0x1
	global_load_b64 v[1:2], v7, s[20:21] offset:2048
	global_load_b64 v[3:4], v7, s[18:19] offset:2048
	v_add_co_u32 v5, vcc_lo, 0x1000, v5
	v_add_co_ci_u32_e32 v6, vcc_lo, 0, v6, vcc_lo
	v_add_co_u32 v8, vcc_lo, 0x1000, v8
	v_add_co_ci_u32_e32 v9, vcc_lo, 0, v9, vcc_lo
	s_clause 0x1
	global_load_b64 v[10:11], v7, s[20:21]
	global_load_b64 v[12:13], v7, s[18:19]
	global_load_b64 v[14:15], v[5:6], off
	s_clause 0x1
	global_load_b64 v[16:17], v[8:9], off
	global_load_b64 v[8:9], v[8:9], off offset:2048
	global_load_b64 v[5:6], v[5:6], off offset:2048
	v_mov_b32_e32 v18, 0x100
	s_waitcnt vmcnt(6)
	v_cmp_ne_u64_e32 vcc_lo, v[3:4], v[1:2]
	s_waitcnt vmcnt(4)
	v_cmp_ne_u64_e64 s2, v[12:13], v[10:11]
	v_cndmask_b32_e32 v1, 0x200, v18, vcc_lo
	s_waitcnt vmcnt(2)
	v_cmp_ne_u64_e64 s3, v[16:17], v[14:15]
	s_waitcnt vmcnt(0)
	v_cmp_ne_u64_e64 s4, v[8:9], v[5:6]
	v_cndmask_b32_e64 v1, v1, 0, s2
	s_or_b32 s2, s2, vcc_lo
	s_delay_alu instid0(VALU_DEP_3) | instid1(SALU_CYCLE_1)
	s_or_b32 vcc_lo, s2, s3
	v_add_co_u32 v2, s2, s5, v0
	s_delay_alu instid0(VALU_DEP_3) | instskip(SKIP_3) | instid1(VALU_DEP_1)
	s_or_b32 s3, vcc_lo, s4
	v_add_co_ci_u32_e64 v3, null, s23, 0, s2
	v_cndmask_b32_e64 v5, 0, 1, s3
	s_mov_b32 s4, exec_lo
	v_mov_b32_dpp v6, v5 quad_perm:[1,0,3,2] row_mask:0xf bank_mask:0xf
	s_delay_alu instid0(VALU_DEP_1) | instskip(NEXT) | instid1(VALU_DEP_1)
	v_dual_cndmask_b32 v1, 0x300, v1 :: v_dual_and_b32 v8, 1, v6
	v_add_co_u32 v1, vcc_lo, v2, v1
	v_add_co_ci_u32_e32 v2, vcc_lo, 0, v3, vcc_lo
	s_delay_alu instid0(VALU_DEP_2) | instskip(NEXT) | instid1(VALU_DEP_2)
	v_mov_b32_dpp v3, v1 quad_perm:[1,0,3,2] row_mask:0xf bank_mask:0xf
	v_mov_b32_dpp v4, v2 quad_perm:[1,0,3,2] row_mask:0xf bank_mask:0xf
	v_cmpx_eq_u32_e32 1, v8
; %bb.2:
	v_cndmask_b32_e64 v5, v6, 1, s3
	s_delay_alu instid0(VALU_DEP_3) | instskip(NEXT) | instid1(VALU_DEP_2)
	v_cmp_lt_i64_e32 vcc_lo, v[1:2], v[3:4]
	v_and_b32_e32 v6, 1, v5
	v_and_b32_e32 v5, 0xff, v5
	s_and_b32 vcc_lo, s3, vcc_lo
	s_and_not1_b32 s3, s3, exec_lo
	v_dual_cndmask_b32 v2, v4, v2 :: v_dual_cndmask_b32 v1, v3, v1
	v_cmp_eq_u32_e64 s2, 1, v6
	s_delay_alu instid0(VALU_DEP_1) | instskip(NEXT) | instid1(SALU_CYCLE_1)
	s_and_b32 s2, s2, exec_lo
	s_or_b32 s3, s3, s2
; %bb.3:
	s_or_b32 exec_lo, exec_lo, s4
	v_mov_b32_dpp v6, v5 quad_perm:[2,3,0,1] row_mask:0xf bank_mask:0xf
	v_mov_b32_dpp v3, v1 quad_perm:[2,3,0,1] row_mask:0xf bank_mask:0xf
	;; [unrolled: 1-line block ×3, first 2 shown]
	s_mov_b32 s4, exec_lo
	s_delay_alu instid0(VALU_DEP_3) | instskip(NEXT) | instid1(VALU_DEP_1)
	v_and_b32_e32 v8, 1, v6
	v_cmpx_eq_u32_e32 1, v8
; %bb.4:
	v_cndmask_b32_e64 v5, v6, 1, s3
	v_cmp_lt_i64_e32 vcc_lo, v[1:2], v[3:4]
	s_delay_alu instid0(VALU_DEP_2)
	v_and_b32_e32 v6, 1, v5
	v_and_b32_e32 v5, 0xff, v5
	s_and_b32 vcc_lo, s3, vcc_lo
	s_and_not1_b32 s3, s3, exec_lo
	v_dual_cndmask_b32 v2, v4, v2 :: v_dual_cndmask_b32 v1, v3, v1
	v_cmp_eq_u32_e64 s2, 1, v6
	s_delay_alu instid0(VALU_DEP_1) | instskip(NEXT) | instid1(SALU_CYCLE_1)
	s_and_b32 s2, s2, exec_lo
	s_or_b32 s3, s3, s2
; %bb.5:
	s_or_b32 exec_lo, exec_lo, s4
	v_mov_b32_dpp v6, v5 row_ror:4 row_mask:0xf bank_mask:0xf
	v_mov_b32_dpp v3, v1 row_ror:4 row_mask:0xf bank_mask:0xf
	;; [unrolled: 1-line block ×3, first 2 shown]
	s_mov_b32 s4, exec_lo
	s_delay_alu instid0(VALU_DEP_3) | instskip(NEXT) | instid1(VALU_DEP_1)
	v_and_b32_e32 v8, 1, v6
	v_cmpx_eq_u32_e32 1, v8
; %bb.6:
	v_cndmask_b32_e64 v5, v6, 1, s3
	v_cmp_lt_i64_e32 vcc_lo, v[1:2], v[3:4]
	s_delay_alu instid0(VALU_DEP_2)
	v_and_b32_e32 v6, 1, v5
	v_and_b32_e32 v5, 0xff, v5
	s_and_b32 vcc_lo, s3, vcc_lo
	s_and_not1_b32 s3, s3, exec_lo
	v_dual_cndmask_b32 v2, v4, v2 :: v_dual_cndmask_b32 v1, v3, v1
	v_cmp_eq_u32_e64 s2, 1, v6
	s_delay_alu instid0(VALU_DEP_1) | instskip(NEXT) | instid1(SALU_CYCLE_1)
	s_and_b32 s2, s2, exec_lo
	s_or_b32 s3, s3, s2
; %bb.7:
	s_or_b32 exec_lo, exec_lo, s4
	v_mov_b32_dpp v6, v5 row_ror:8 row_mask:0xf bank_mask:0xf
	v_mov_b32_dpp v3, v1 row_ror:8 row_mask:0xf bank_mask:0xf
	;; [unrolled: 1-line block ×3, first 2 shown]
	s_mov_b32 s4, exec_lo
	s_delay_alu instid0(VALU_DEP_3) | instskip(NEXT) | instid1(VALU_DEP_1)
	v_and_b32_e32 v8, 1, v6
	v_cmpx_eq_u32_e32 1, v8
; %bb.8:
	v_cndmask_b32_e64 v5, v6, 1, s3
	v_cmp_lt_i64_e32 vcc_lo, v[1:2], v[3:4]
	s_delay_alu instid0(VALU_DEP_2)
	v_and_b32_e32 v6, 1, v5
	v_and_b32_e32 v5, 0xff, v5
	s_and_b32 vcc_lo, s3, vcc_lo
	s_and_not1_b32 s3, s3, exec_lo
	v_dual_cndmask_b32 v2, v4, v2 :: v_dual_cndmask_b32 v1, v3, v1
	v_cmp_eq_u32_e64 s2, 1, v6
	s_delay_alu instid0(VALU_DEP_1) | instskip(NEXT) | instid1(SALU_CYCLE_1)
	s_and_b32 s2, s2, exec_lo
	s_or_b32 s3, s3, s2
; %bb.9:
	s_or_b32 exec_lo, exec_lo, s4
	ds_swizzle_b32 v6, v5 offset:swizzle(BROADCAST,32,15)
	ds_swizzle_b32 v3, v1 offset:swizzle(BROADCAST,32,15)
	;; [unrolled: 1-line block ×3, first 2 shown]
	s_mov_b32 s2, exec_lo
	s_waitcnt lgkmcnt(2)
	v_and_b32_e32 v8, 1, v6
	s_delay_alu instid0(VALU_DEP_1)
	v_cmpx_eq_u32_e32 1, v8
	s_cbranch_execz .LBB472_11
; %bb.10:
	s_waitcnt lgkmcnt(0)
	v_cmp_lt_i64_e32 vcc_lo, v[1:2], v[3:4]
	v_and_b32_e32 v5, 0xff, v6
	s_delay_alu instid0(VALU_DEP_1)
	v_cndmask_b32_e64 v5, v5, 1, s3
	s_and_b32 vcc_lo, s3, vcc_lo
	v_dual_cndmask_b32 v1, v3, v1 :: v_dual_cndmask_b32 v2, v4, v2
.LBB472_11:
	s_or_b32 exec_lo, exec_lo, s2
	s_waitcnt lgkmcnt(1)
	v_mov_b32_e32 v3, 0
	s_mov_b32 s2, exec_lo
	ds_bpermute_b32 v6, v3, v5 offset:124
	ds_bpermute_b32 v1, v3, v1 offset:124
	ds_bpermute_b32 v2, v3, v2 offset:124
	v_mbcnt_lo_u32_b32 v3, -1, 0
	s_delay_alu instid0(VALU_DEP_1)
	v_cmpx_eq_u32_e32 0, v3
	s_cbranch_execz .LBB472_13
; %bb.12:
	s_waitcnt lgkmcnt(3)
	v_lshrrev_b32_e32 v4, 1, v0
	s_delay_alu instid0(VALU_DEP_1)
	v_and_b32_e32 v4, 0x70, v4
	s_waitcnt lgkmcnt(2)
	ds_store_b8 v4, v6
	s_waitcnt lgkmcnt(1)
	ds_store_b64 v4, v[1:2] offset:8
.LBB472_13:
	s_or_b32 exec_lo, exec_lo, s2
	s_delay_alu instid0(SALU_CYCLE_1)
	s_mov_b32 s4, exec_lo
	s_waitcnt lgkmcnt(0)
	s_barrier
	buffer_gl0_inv
	v_cmpx_gt_u32_e32 32, v0
	s_cbranch_execz .LBB472_15
; %bb.14:
	v_and_b32_e32 v6, 7, v3
	s_delay_alu instid0(VALU_DEP_1)
	v_lshlrev_b32_e32 v1, 4, v6
	v_cmp_ne_u32_e32 vcc_lo, 7, v6
	ds_load_u8 v8, v1
	ds_load_b64 v[1:2], v1 offset:8
	v_add_co_ci_u32_e32 v4, vcc_lo, 0, v3, vcc_lo
	v_cmp_gt_u32_e32 vcc_lo, 6, v6
	s_delay_alu instid0(VALU_DEP_2)
	v_lshlrev_b32_e32 v5, 2, v4
	v_cndmask_b32_e64 v11, 0, 1, vcc_lo
	s_waitcnt lgkmcnt(1)
	v_and_b32_e32 v4, 0xff, v8
	v_and_b32_e32 v12, 1, v8
	ds_bpermute_b32 v9, v5, v4
	s_waitcnt lgkmcnt(1)
	ds_bpermute_b32 v4, v5, v1
	ds_bpermute_b32 v5, v5, v2
	v_cmp_eq_u32_e64 s3, 1, v12
	s_waitcnt lgkmcnt(2)
	v_and_b32_e32 v10, 1, v9
	s_waitcnt lgkmcnt(0)
	v_cmp_lt_i64_e64 s2, v[4:5], v[1:2]
	s_delay_alu instid0(VALU_DEP_2) | instskip(SKIP_2) | instid1(VALU_DEP_4)
	v_cmp_eq_u32_e32 vcc_lo, 1, v10
	v_lshlrev_b32_e32 v10, 1, v11
	v_cndmask_b32_e64 v8, v8, 1, vcc_lo
	s_and_b32 vcc_lo, vcc_lo, s2
	v_dual_cndmask_b32 v1, v1, v4 :: v_dual_cndmask_b32 v2, v2, v5
	s_delay_alu instid0(VALU_DEP_2) | instskip(SKIP_2) | instid1(VALU_DEP_4)
	v_cndmask_b32_e64 v8, v9, v8, s3
	v_add_lshl_u32 v9, v10, v3, 2
	v_cmp_gt_u32_e32 vcc_lo, 4, v6
	v_cndmask_b32_e64 v1, v4, v1, s3
	v_cndmask_b32_e64 v2, v5, v2, s3
	v_and_b32_e32 v10, 0xff, v8
	v_and_b32_e32 v11, 1, v8
	v_cndmask_b32_e64 v6, 0, 1, vcc_lo
	ds_bpermute_b32 v4, v9, v1
	ds_bpermute_b32 v5, v9, v2
	;; [unrolled: 1-line block ×3, first 2 shown]
	v_cmp_eq_u32_e64 s3, 1, v11
	v_lshlrev_b32_e32 v6, 2, v6
	s_delay_alu instid0(VALU_DEP_1) | instskip(SKIP_4) | instid1(VALU_DEP_1)
	v_add_lshl_u32 v6, v6, v3, 2
	s_waitcnt lgkmcnt(1)
	v_cmp_lt_i64_e64 s2, v[4:5], v[1:2]
	s_waitcnt lgkmcnt(0)
	v_and_b32_e32 v9, 1, v10
	v_cmp_eq_u32_e32 vcc_lo, 1, v9
	v_cndmask_b32_e64 v8, v8, 1, vcc_lo
	s_delay_alu instid0(VALU_DEP_4) | instskip(SKIP_1) | instid1(VALU_DEP_2)
	s_and_b32 vcc_lo, vcc_lo, s2
	v_dual_cndmask_b32 v2, v2, v5 :: v_dual_cndmask_b32 v1, v1, v4
	v_cndmask_b32_e64 v8, v10, v8, s3
	s_delay_alu instid0(VALU_DEP_2) | instskip(NEXT) | instid1(VALU_DEP_3)
	v_cndmask_b32_e64 v2, v5, v2, s3
	v_cndmask_b32_e64 v1, v4, v1, s3
	s_delay_alu instid0(VALU_DEP_3)
	v_and_b32_e32 v3, 0xff, v8
	ds_bpermute_b32 v4, v6, v2
	ds_bpermute_b32 v5, v6, v3
	;; [unrolled: 1-line block ×3, first 2 shown]
	s_waitcnt lgkmcnt(1)
	v_and_b32_e32 v6, 1, v5
	s_waitcnt lgkmcnt(0)
	v_cmp_lt_i64_e32 vcc_lo, v[3:4], v[1:2]
	s_delay_alu instid0(VALU_DEP_2) | instskip(SKIP_1) | instid1(VALU_DEP_2)
	v_cmp_eq_u32_e64 s2, 1, v6
	v_and_b32_e32 v6, 1, v8
	v_cndmask_b32_e64 v8, v8, 1, s2
	s_and_b32 vcc_lo, s2, vcc_lo
	s_delay_alu instid0(VALU_DEP_2) | instskip(SKIP_1) | instid1(VALU_DEP_2)
	v_cmp_eq_u32_e64 s2, 1, v6
	v_dual_cndmask_b32 v1, v1, v3 :: v_dual_cndmask_b32 v2, v2, v4
	v_cndmask_b32_e64 v5, v5, v8, s2
	s_delay_alu instid0(VALU_DEP_2) | instskip(NEXT) | instid1(VALU_DEP_3)
	v_cndmask_b32_e64 v1, v3, v1, s2
	v_cndmask_b32_e64 v2, v4, v2, s2
	s_delay_alu instid0(VALU_DEP_3)
	v_and_b32_e32 v6, 0xff, v5
.LBB472_15:
	s_or_b32 exec_lo, exec_lo, s4
	s_load_b64 s[6:7], s[0:1], 0x58
	s_branch .LBB472_49
.LBB472_16:
                                        ; implicit-def: $vgpr1_vgpr2
                                        ; implicit-def: $vgpr6
	s_load_b64 s[6:7], s[0:1], 0x58
	s_cbranch_execz .LBB472_49
; %bb.17:
	v_mov_b32_e32 v5, 0
	v_dual_mov_b32 v6, 0 :: v_dual_mov_b32 v11, 0
	s_delay_alu instid0(VALU_DEP_2) | instskip(SKIP_2) | instid1(VALU_DEP_3)
	v_mov_b32_e32 v1, v5
	v_mov_b32_e32 v9, 0
	s_sub_i32 s22, s8, s22
	v_mov_b32_e32 v2, v6
	s_mov_b32 s2, exec_lo
	v_cmpx_gt_u32_e64 s22, v0
	s_cbranch_execz .LBB472_19
; %bb.18:
	s_clause 0x1
	global_load_b64 v[3:4], v7, s[18:19]
	global_load_b64 v[8:9], v7, s[20:21]
	v_add_co_u32 v1, s3, s5, v0
	s_delay_alu instid0(VALU_DEP_1)
	v_add_co_ci_u32_e64 v2, null, s23, 0, s3
	s_waitcnt vmcnt(0)
	v_cmp_ne_u64_e32 vcc_lo, v[3:4], v[8:9]
	v_cndmask_b32_e64 v9, 0, 1, vcc_lo
.LBB472_19:
	s_or_b32 exec_lo, exec_lo, s2
	v_or_b32_e32 v3, 0x100, v0
	s_delay_alu instid0(VALU_DEP_1) | instskip(NEXT) | instid1(VALU_DEP_1)
	v_cmp_gt_u32_e64 s3, s22, v3
	s_and_saveexec_b32 s2, s3
	s_cbranch_execz .LBB472_21
; %bb.20:
	s_clause 0x1
	global_load_b64 v[10:11], v7, s[18:19] offset:2048
	global_load_b64 v[7:8], v7, s[20:21] offset:2048
	v_add_co_u32 v5, s4, s5, v3
	s_delay_alu instid0(VALU_DEP_1)
	v_add_co_ci_u32_e64 v6, null, s23, 0, s4
	s_waitcnt vmcnt(0)
	v_cmp_ne_u64_e32 vcc_lo, v[10:11], v[7:8]
	v_cndmask_b32_e64 v11, 0, 1, vcc_lo
.LBB472_21:
	s_or_b32 exec_lo, exec_lo, s2
	v_dual_mov_b32 v3, 0 :: v_dual_mov_b32 v10, 0
	v_mov_b32_e32 v4, 0
	v_or_b32_e32 v13, 0x200, v0
	v_mov_b32_e32 v12, 0
	s_delay_alu instid0(VALU_DEP_3) | instskip(NEXT) | instid1(VALU_DEP_3)
	v_dual_mov_b32 v8, v4 :: v_dual_mov_b32 v7, v3
	v_cmp_gt_u32_e64 s2, s22, v13
	s_delay_alu instid0(VALU_DEP_1)
	s_and_saveexec_b32 s4, s2
	s_cbranch_execz .LBB472_23
; %bb.22:
	v_lshlrev_b32_e32 v7, 3, v13
	s_clause 0x1
	global_load_b64 v[14:15], v7, s[18:19]
	global_load_b64 v[16:17], v7, s[20:21]
	v_add_co_u32 v7, s24, s5, v13
	s_delay_alu instid0(VALU_DEP_1)
	v_add_co_ci_u32_e64 v8, null, s23, 0, s24
	s_waitcnt vmcnt(0)
	v_cmp_ne_u64_e32 vcc_lo, v[14:15], v[16:17]
	v_cndmask_b32_e64 v12, 0, 1, vcc_lo
.LBB472_23:
	s_or_b32 exec_lo, exec_lo, s4
	v_or_b32_e32 v13, 0x300, v0
	s_delay_alu instid0(VALU_DEP_1)
	v_cmp_gt_u32_e32 vcc_lo, s22, v13
	s_and_saveexec_b32 s24, vcc_lo
	s_cbranch_execnz .LBB472_52
; %bb.24:
	s_or_b32 exec_lo, exec_lo, s24
	s_and_saveexec_b32 s5, s3
	s_cbranch_execnz .LBB472_53
.LBB472_25:
	s_or_b32 exec_lo, exec_lo, s5
	s_and_saveexec_b32 s4, s2
	s_cbranch_execnz .LBB472_54
.LBB472_26:
	s_or_b32 exec_lo, exec_lo, s4
	s_and_saveexec_b32 s3, vcc_lo
.LBB472_27:
	v_and_b32_e32 v5, 1, v10
	v_cmp_lt_i64_e32 vcc_lo, v[3:4], v[1:2]
	s_delay_alu instid0(VALU_DEP_2) | instskip(NEXT) | instid1(VALU_DEP_1)
	v_cmp_eq_u32_e64 s2, 1, v5
	s_and_b32 vcc_lo, s2, vcc_lo
	v_cndmask_b32_e64 v6, v9, 1, s2
	v_dual_cndmask_b32 v2, v2, v4 :: v_dual_and_b32 v5, 1, v9
	v_cndmask_b32_e32 v1, v1, v3, vcc_lo
	s_delay_alu instid0(VALU_DEP_2) | instskip(NEXT) | instid1(VALU_DEP_3)
	v_cmp_eq_u32_e32 vcc_lo, 1, v5
	v_cndmask_b32_e32 v2, v4, v2, vcc_lo
	v_cndmask_b32_e32 v9, v10, v6, vcc_lo
	s_delay_alu instid0(VALU_DEP_4)
	v_cndmask_b32_e32 v1, v3, v1, vcc_lo
.LBB472_28:
	s_or_b32 exec_lo, exec_lo, s3
	v_mbcnt_lo_u32_b32 v5, -1, 0
	v_and_b32_e32 v7, 0xe0, v0
	s_min_u32 s3, s22, 0x100
	v_and_b32_e32 v6, 0xffff, v9
	s_delay_alu instid0(VALU_DEP_3) | instskip(NEXT) | instid1(VALU_DEP_3)
	v_cmp_ne_u32_e32 vcc_lo, 31, v5
	v_sub_nc_u32_e64 v8, s3, v7 clamp
	v_add_nc_u32_e32 v7, 1, v5
	v_add_co_ci_u32_e32 v3, vcc_lo, 0, v5, vcc_lo
	s_delay_alu instid0(VALU_DEP_2) | instskip(NEXT) | instid1(VALU_DEP_2)
	v_cmp_lt_u32_e32 vcc_lo, v7, v8
	v_dual_mov_b32 v7, v6 :: v_dual_lshlrev_b32 v4, 2, v3
	ds_bpermute_b32 v10, v4, v6
	ds_bpermute_b32 v3, v4, v1
	;; [unrolled: 1-line block ×3, first 2 shown]
	s_and_saveexec_b32 s2, vcc_lo
	s_delay_alu instid0(SALU_CYCLE_1)
	s_xor_b32 s4, exec_lo, s2
	s_cbranch_execz .LBB472_30
; %bb.29:
	s_waitcnt lgkmcnt(0)
	v_and_b32_e32 v7, 1, v10
	v_cmp_lt_i64_e32 vcc_lo, v[3:4], v[1:2]
	s_delay_alu instid0(VALU_DEP_2) | instskip(SKIP_1) | instid1(VALU_DEP_2)
	v_cmp_eq_u32_e64 s2, 1, v7
	v_and_b32_e32 v7, 1, v9
	v_cndmask_b32_e64 v6, v6, 1, s2
	s_and_b32 vcc_lo, s2, vcc_lo
	s_delay_alu instid0(VALU_DEP_2) | instskip(SKIP_1) | instid1(VALU_DEP_2)
	v_cmp_eq_u32_e64 s2, 1, v7
	v_dual_cndmask_b32 v2, v2, v4 :: v_dual_cndmask_b32 v1, v1, v3
	v_cndmask_b32_e64 v7, v10, v6, s2
	s_delay_alu instid0(VALU_DEP_2) | instskip(NEXT) | instid1(VALU_DEP_3)
	v_cndmask_b32_e64 v2, v4, v2, s2
	v_cndmask_b32_e64 v1, v3, v1, s2
	s_delay_alu instid0(VALU_DEP_3)
	v_and_b32_e32 v6, 0xff, v7
.LBB472_30:
	s_or_b32 exec_lo, exec_lo, s4
	v_cmp_gt_u32_e32 vcc_lo, 30, v5
	s_waitcnt lgkmcnt(0)
	v_add_nc_u32_e32 v10, 2, v5
	s_mov_b32 s4, exec_lo
	v_cndmask_b32_e64 v3, 0, 1, vcc_lo
	s_delay_alu instid0(VALU_DEP_1) | instskip(NEXT) | instid1(VALU_DEP_1)
	v_lshlrev_b32_e32 v3, 1, v3
	v_add_lshl_u32 v4, v3, v5, 2
	ds_bpermute_b32 v9, v4, v6
	ds_bpermute_b32 v3, v4, v1
	ds_bpermute_b32 v4, v4, v2
	v_cmpx_lt_u32_e64 v10, v8
	s_cbranch_execz .LBB472_32
; %bb.31:
	s_waitcnt lgkmcnt(2)
	v_and_b32_e32 v6, 1, v9
	s_waitcnt lgkmcnt(0)
	v_cmp_lt_i64_e32 vcc_lo, v[3:4], v[1:2]
	s_delay_alu instid0(VALU_DEP_2) | instskip(SKIP_1) | instid1(VALU_DEP_2)
	v_cmp_eq_u32_e64 s2, 1, v6
	v_and_b32_e32 v6, 1, v7
	v_cndmask_b32_e64 v7, v7, 1, s2
	s_and_b32 vcc_lo, s2, vcc_lo
	s_delay_alu instid0(VALU_DEP_2) | instskip(SKIP_1) | instid1(VALU_DEP_2)
	v_cmp_eq_u32_e64 s2, 1, v6
	v_dual_cndmask_b32 v1, v1, v3 :: v_dual_cndmask_b32 v2, v2, v4
	v_cndmask_b32_e64 v7, v9, v7, s2
	s_delay_alu instid0(VALU_DEP_2) | instskip(NEXT) | instid1(VALU_DEP_3)
	v_cndmask_b32_e64 v1, v3, v1, s2
	v_cndmask_b32_e64 v2, v4, v2, s2
	s_delay_alu instid0(VALU_DEP_3)
	v_and_b32_e32 v6, 0xff, v7
.LBB472_32:
	s_or_b32 exec_lo, exec_lo, s4
	v_cmp_gt_u32_e32 vcc_lo, 28, v5
	v_add_nc_u32_e32 v10, 4, v5
	s_mov_b32 s4, exec_lo
	s_waitcnt lgkmcnt(1)
	v_cndmask_b32_e64 v3, 0, 1, vcc_lo
	s_delay_alu instid0(VALU_DEP_1) | instskip(SKIP_1) | instid1(VALU_DEP_1)
	v_lshlrev_b32_e32 v3, 2, v3
	s_waitcnt lgkmcnt(0)
	v_add_lshl_u32 v4, v3, v5, 2
	ds_bpermute_b32 v9, v4, v6
	ds_bpermute_b32 v3, v4, v1
	ds_bpermute_b32 v4, v4, v2
	v_cmpx_lt_u32_e64 v10, v8
	s_cbranch_execz .LBB472_34
; %bb.33:
	s_waitcnt lgkmcnt(2)
	v_and_b32_e32 v6, 1, v9
	s_waitcnt lgkmcnt(0)
	v_cmp_lt_i64_e32 vcc_lo, v[3:4], v[1:2]
	s_delay_alu instid0(VALU_DEP_2) | instskip(SKIP_1) | instid1(VALU_DEP_2)
	v_cmp_eq_u32_e64 s2, 1, v6
	v_and_b32_e32 v6, 1, v7
	v_cndmask_b32_e64 v7, v7, 1, s2
	s_and_b32 vcc_lo, s2, vcc_lo
	s_delay_alu instid0(VALU_DEP_2) | instskip(SKIP_1) | instid1(VALU_DEP_2)
	v_cmp_eq_u32_e64 s2, 1, v6
	v_dual_cndmask_b32 v1, v1, v3 :: v_dual_cndmask_b32 v2, v2, v4
	v_cndmask_b32_e64 v7, v9, v7, s2
	s_delay_alu instid0(VALU_DEP_2) | instskip(NEXT) | instid1(VALU_DEP_3)
	v_cndmask_b32_e64 v1, v3, v1, s2
	v_cndmask_b32_e64 v2, v4, v2, s2
	s_delay_alu instid0(VALU_DEP_3)
	v_and_b32_e32 v6, 0xff, v7
.LBB472_34:
	s_or_b32 exec_lo, exec_lo, s4
	v_cmp_gt_u32_e32 vcc_lo, 24, v5
	v_add_nc_u32_e32 v10, 8, v5
	s_mov_b32 s4, exec_lo
	s_waitcnt lgkmcnt(1)
	v_cndmask_b32_e64 v3, 0, 1, vcc_lo
	s_delay_alu instid0(VALU_DEP_1) | instskip(SKIP_1) | instid1(VALU_DEP_1)
	v_lshlrev_b32_e32 v3, 3, v3
	s_waitcnt lgkmcnt(0)
	;; [unrolled: 35-line block ×3, first 2 shown]
	v_add_lshl_u32 v4, v3, v5, 2
	ds_bpermute_b32 v9, v4, v6
	ds_bpermute_b32 v3, v4, v1
	;; [unrolled: 1-line block ×3, first 2 shown]
	v_cmpx_lt_u32_e64 v10, v8
	s_cbranch_execz .LBB472_38
; %bb.37:
	s_waitcnt lgkmcnt(2)
	v_and_b32_e32 v6, 1, v9
	s_waitcnt lgkmcnt(0)
	v_cmp_lt_i64_e32 vcc_lo, v[3:4], v[1:2]
	s_delay_alu instid0(VALU_DEP_2) | instskip(SKIP_1) | instid1(VALU_DEP_2)
	v_cmp_eq_u32_e64 s2, 1, v6
	v_and_b32_e32 v6, 1, v7
	v_cndmask_b32_e64 v7, v7, 1, s2
	s_and_b32 vcc_lo, s2, vcc_lo
	s_delay_alu instid0(VALU_DEP_2) | instskip(SKIP_1) | instid1(VALU_DEP_2)
	v_cmp_eq_u32_e64 s2, 1, v6
	v_dual_cndmask_b32 v1, v1, v3 :: v_dual_cndmask_b32 v2, v2, v4
	v_cndmask_b32_e64 v7, v9, v7, s2
	s_delay_alu instid0(VALU_DEP_2) | instskip(NEXT) | instid1(VALU_DEP_3)
	v_cndmask_b32_e64 v1, v3, v1, s2
	v_cndmask_b32_e64 v2, v4, v2, s2
	s_delay_alu instid0(VALU_DEP_3)
	v_and_b32_e32 v6, 0xff, v7
.LBB472_38:
	s_or_b32 exec_lo, exec_lo, s4
	s_delay_alu instid0(SALU_CYCLE_1)
	s_mov_b32 s2, exec_lo
	v_cmpx_eq_u32_e32 0, v5
	s_cbranch_execz .LBB472_40
; %bb.39:
	s_waitcnt lgkmcnt(1)
	v_lshrrev_b32_e32 v3, 1, v0
	s_delay_alu instid0(VALU_DEP_1)
	v_and_b32_e32 v3, 0x70, v3
	ds_store_b8 v3, v7 offset:128
	ds_store_b64 v3, v[1:2] offset:136
.LBB472_40:
	s_or_b32 exec_lo, exec_lo, s2
	s_delay_alu instid0(SALU_CYCLE_1)
	s_mov_b32 s4, exec_lo
	s_waitcnt lgkmcnt(0)
	s_barrier
	buffer_gl0_inv
	v_cmpx_gt_u32_e32 8, v0
	s_cbranch_execz .LBB472_48
; %bb.41:
	v_lshlrev_b32_e32 v1, 4, v5
	v_and_b32_e32 v8, 7, v5
	s_add_i32 s3, s3, 31
	s_mov_b32 s5, exec_lo
	s_lshr_b32 s3, s3, 5
	ds_load_u8 v7, v1 offset:128
	ds_load_b64 v[1:2], v1 offset:136
	v_cmp_ne_u32_e32 vcc_lo, 7, v8
	v_add_nc_u32_e32 v10, 1, v8
	v_add_co_ci_u32_e32 v3, vcc_lo, 0, v5, vcc_lo
	s_delay_alu instid0(VALU_DEP_1)
	v_lshlrev_b32_e32 v4, 2, v3
	s_waitcnt lgkmcnt(1)
	v_and_b32_e32 v6, 0xff, v7
	s_waitcnt lgkmcnt(0)
	ds_bpermute_b32 v3, v4, v1
	ds_bpermute_b32 v9, v4, v6
	;; [unrolled: 1-line block ×3, first 2 shown]
	v_cmpx_gt_u32_e64 s3, v10
	s_cbranch_execz .LBB472_43
; %bb.42:
	s_waitcnt lgkmcnt(1)
	v_and_b32_e32 v6, 1, v9
	s_waitcnt lgkmcnt(0)
	v_cmp_lt_i64_e32 vcc_lo, v[3:4], v[1:2]
	s_delay_alu instid0(VALU_DEP_2) | instskip(SKIP_1) | instid1(VALU_DEP_2)
	v_cmp_eq_u32_e64 s2, 1, v6
	v_and_b32_e32 v6, 1, v7
	v_cndmask_b32_e64 v7, v7, 1, s2
	s_and_b32 vcc_lo, s2, vcc_lo
	s_delay_alu instid0(VALU_DEP_2) | instskip(SKIP_1) | instid1(VALU_DEP_2)
	v_cmp_eq_u32_e64 s2, 1, v6
	v_dual_cndmask_b32 v1, v1, v3 :: v_dual_cndmask_b32 v2, v2, v4
	v_cndmask_b32_e64 v7, v9, v7, s2
	s_delay_alu instid0(VALU_DEP_2) | instskip(NEXT) | instid1(VALU_DEP_3)
	v_cndmask_b32_e64 v1, v3, v1, s2
	v_cndmask_b32_e64 v2, v4, v2, s2
	s_delay_alu instid0(VALU_DEP_3)
	v_and_b32_e32 v6, 0xff, v7
.LBB472_43:
	s_or_b32 exec_lo, exec_lo, s5
	v_cmp_gt_u32_e32 vcc_lo, 6, v8
	v_add_nc_u32_e32 v10, 2, v8
	s_mov_b32 s5, exec_lo
	s_waitcnt lgkmcnt(2)
	v_cndmask_b32_e64 v3, 0, 1, vcc_lo
	s_delay_alu instid0(VALU_DEP_1) | instskip(SKIP_1) | instid1(VALU_DEP_1)
	v_lshlrev_b32_e32 v3, 1, v3
	s_waitcnt lgkmcnt(0)
	v_add_lshl_u32 v4, v3, v5, 2
	ds_bpermute_b32 v9, v4, v6
	ds_bpermute_b32 v3, v4, v1
	;; [unrolled: 1-line block ×3, first 2 shown]
	v_cmpx_gt_u32_e64 s3, v10
	s_cbranch_execz .LBB472_45
; %bb.44:
	s_waitcnt lgkmcnt(2)
	v_and_b32_e32 v6, 1, v9
	s_waitcnt lgkmcnt(0)
	v_cmp_lt_i64_e32 vcc_lo, v[3:4], v[1:2]
	s_delay_alu instid0(VALU_DEP_2) | instskip(SKIP_1) | instid1(VALU_DEP_2)
	v_cmp_eq_u32_e64 s2, 1, v6
	v_and_b32_e32 v6, 1, v7
	v_cndmask_b32_e64 v7, v7, 1, s2
	s_and_b32 vcc_lo, s2, vcc_lo
	s_delay_alu instid0(VALU_DEP_2) | instskip(SKIP_1) | instid1(VALU_DEP_2)
	v_cmp_eq_u32_e64 s2, 1, v6
	v_dual_cndmask_b32 v1, v1, v3 :: v_dual_cndmask_b32 v2, v2, v4
	v_cndmask_b32_e64 v7, v9, v7, s2
	s_delay_alu instid0(VALU_DEP_2) | instskip(NEXT) | instid1(VALU_DEP_3)
	v_cndmask_b32_e64 v1, v3, v1, s2
	v_cndmask_b32_e64 v2, v4, v2, s2
	s_delay_alu instid0(VALU_DEP_3)
	v_and_b32_e32 v6, 0xff, v7
.LBB472_45:
	s_or_b32 exec_lo, exec_lo, s5
	v_cmp_gt_u32_e32 vcc_lo, 4, v8
	v_add_nc_u32_e32 v8, 4, v8
	s_waitcnt lgkmcnt(1)
	v_cndmask_b32_e64 v3, 0, 1, vcc_lo
	s_delay_alu instid0(VALU_DEP_2) | instskip(NEXT) | instid1(VALU_DEP_2)
	v_cmp_gt_u32_e32 vcc_lo, s3, v8
	v_lshlrev_b32_e32 v3, 2, v3
	s_waitcnt lgkmcnt(0)
	s_delay_alu instid0(VALU_DEP_1)
	v_add_lshl_u32 v4, v3, v5, 2
	ds_bpermute_b32 v5, v4, v6
	ds_bpermute_b32 v3, v4, v1
	;; [unrolled: 1-line block ×3, first 2 shown]
	s_and_saveexec_b32 s3, vcc_lo
	s_cbranch_execz .LBB472_47
; %bb.46:
	s_waitcnt lgkmcnt(2)
	v_and_b32_e32 v6, 1, v5
	s_waitcnt lgkmcnt(0)
	v_cmp_lt_i64_e32 vcc_lo, v[3:4], v[1:2]
	s_delay_alu instid0(VALU_DEP_2) | instskip(SKIP_1) | instid1(VALU_DEP_2)
	v_cmp_eq_u32_e64 s2, 1, v6
	v_and_b32_e32 v6, 1, v7
	v_cndmask_b32_e64 v7, v7, 1, s2
	s_and_b32 vcc_lo, s2, vcc_lo
	s_delay_alu instid0(VALU_DEP_2) | instskip(SKIP_1) | instid1(VALU_DEP_2)
	v_cmp_eq_u32_e64 s2, 1, v6
	v_dual_cndmask_b32 v1, v1, v3 :: v_dual_cndmask_b32 v2, v2, v4
	v_cndmask_b32_e64 v5, v5, v7, s2
	s_delay_alu instid0(VALU_DEP_2) | instskip(NEXT) | instid1(VALU_DEP_3)
	v_cndmask_b32_e64 v1, v3, v1, s2
	v_cndmask_b32_e64 v2, v4, v2, s2
	s_delay_alu instid0(VALU_DEP_3)
	v_and_b32_e32 v6, 0xff, v5
.LBB472_47:
	s_or_b32 exec_lo, exec_lo, s3
.LBB472_48:
	s_delay_alu instid0(SALU_CYCLE_1)
	s_or_b32 exec_lo, exec_lo, s4
.LBB472_49:
	s_load_b32 s0, s[0:1], 0x50
	s_mov_b32 s1, exec_lo
	v_cmpx_eq_u32_e32 0, v0
	s_cbranch_execz .LBB472_51
; %bb.50:
	s_mul_i32 s1, s14, s13
	s_mul_hi_u32 s2, s14, s12
	s_mul_i32 s3, s15, s12
	s_add_i32 s1, s2, s1
	s_mul_i32 s2, s14, s12
	s_add_i32 s3, s1, s3
	v_mov_b32_e32 v0, 0
	s_lshl_b64 s[2:3], s[2:3], 4
	s_delay_alu instid0(SALU_CYCLE_1)
	s_add_u32 s1, s10, s2
	s_addc_u32 s4, s11, s3
	s_cmp_eq_u64 s[8:9], 0
	s_cselect_b32 s5, -1, 0
	s_lshl_b64 s[2:3], s[16:17], 4
	s_waitcnt lgkmcnt(0)
	v_cndmask_b32_e64 v3, v6, s0, s5
	v_cndmask_b32_e64 v2, v2, s7, s5
	;; [unrolled: 1-line block ×3, first 2 shown]
	s_add_u32 s0, s1, s2
	s_addc_u32 s1, s4, s3
	s_clause 0x1
	global_store_b8 v0, v3, s[0:1]
	global_store_b64 v0, v[1:2], s[0:1] offset:8
.LBB472_51:
	s_nop 0
	s_sendmsg sendmsg(MSG_DEALLOC_VGPRS)
	s_endpgm
.LBB472_52:
	v_lshlrev_b32_e32 v3, 3, v13
	s_clause 0x1
	global_load_b64 v[14:15], v3, s[18:19]
	global_load_b64 v[16:17], v3, s[20:21]
	v_add_co_u32 v3, s4, s5, v13
	s_delay_alu instid0(VALU_DEP_1) | instskip(SKIP_2) | instid1(VALU_DEP_1)
	v_add_co_ci_u32_e64 v4, null, s23, 0, s4
	s_waitcnt vmcnt(0)
	v_cmp_ne_u64_e64 s4, v[14:15], v[16:17]
	v_cndmask_b32_e64 v10, 0, 1, s4
	s_or_b32 exec_lo, exec_lo, s24
	s_and_saveexec_b32 s5, s3
	s_cbranch_execz .LBB472_25
.LBB472_53:
	v_and_b32_e32 v13, 1, v11
	v_cmp_lt_i64_e64 s3, v[5:6], v[1:2]
	s_delay_alu instid0(VALU_DEP_2) | instskip(SKIP_1) | instid1(VALU_DEP_2)
	v_cmp_eq_u32_e64 s4, 1, v13
	v_and_b32_e32 v13, 1, v9
	s_and_b32 s3, s4, s3
	v_cndmask_b32_e64 v9, v9, 1, s4
	v_cndmask_b32_e64 v1, v1, v5, s3
	;; [unrolled: 1-line block ×3, first 2 shown]
	v_cmp_eq_u32_e64 s3, 1, v13
	s_delay_alu instid0(VALU_DEP_1) | instskip(NEXT) | instid1(VALU_DEP_3)
	v_cndmask_b32_e64 v9, v11, v9, s3
	v_cndmask_b32_e64 v2, v6, v2, s3
	;; [unrolled: 1-line block ×3, first 2 shown]
	s_or_b32 exec_lo, exec_lo, s5
	s_and_saveexec_b32 s4, s2
	s_cbranch_execz .LBB472_26
.LBB472_54:
	v_and_b32_e32 v5, 1, v12
	v_cmp_lt_i64_e64 s2, v[7:8], v[1:2]
	s_delay_alu instid0(VALU_DEP_2) | instskip(SKIP_1) | instid1(VALU_DEP_2)
	v_cmp_eq_u32_e64 s3, 1, v5
	v_and_b32_e32 v5, 1, v9
	s_and_b32 s2, s3, s2
	v_cndmask_b32_e64 v6, v9, 1, s3
	v_cndmask_b32_e64 v1, v1, v7, s2
	;; [unrolled: 1-line block ×3, first 2 shown]
	v_cmp_eq_u32_e64 s2, 1, v5
	s_delay_alu instid0(VALU_DEP_1) | instskip(NEXT) | instid1(VALU_DEP_3)
	v_cndmask_b32_e64 v9, v12, v6, s2
	v_cndmask_b32_e64 v2, v8, v2, s2
	;; [unrolled: 1-line block ×3, first 2 shown]
	s_or_b32 exec_lo, exec_lo, s4
	s_and_saveexec_b32 s3, vcc_lo
	s_cbranch_execnz .LBB472_27
	s_branch .LBB472_28
	.section	.rodata,"a",@progbits
	.p2align	6, 0x0
	.amdhsa_kernel _ZN7rocprim17ROCPRIM_400000_NS6detail17trampoline_kernelINS0_14default_configENS1_22reduce_config_selectorIN6thrust23THRUST_200600_302600_NS5tupleIblNS6_9null_typeES8_S8_S8_S8_S8_S8_S8_EEEEZNS1_11reduce_implILb1ES3_NS6_12zip_iteratorINS7_INS6_11hip_rocprim26transform_input_iterator_tIbNSD_35transform_pair_of_input_iterators_tIbNS6_6detail15normal_iteratorINS6_10device_ptrIKyEEEESL_NS6_8equal_toIyEEEENSG_9not_fun_tINSD_8identityEEEEENSD_19counting_iterator_tIlEES8_S8_S8_S8_S8_S8_S8_S8_EEEEPS9_S9_NSD_9__find_if7functorIS9_EEEE10hipError_tPvRmT1_T2_T3_mT4_P12ihipStream_tbEUlT_E0_NS1_11comp_targetILNS1_3genE9ELNS1_11target_archE1100ELNS1_3gpuE3ELNS1_3repE0EEENS1_30default_config_static_selectorELNS0_4arch9wavefront6targetE0EEEvS14_
		.amdhsa_group_segment_fixed_size 256
		.amdhsa_private_segment_fixed_size 0
		.amdhsa_kernarg_size 104
		.amdhsa_user_sgpr_count 15
		.amdhsa_user_sgpr_dispatch_ptr 0
		.amdhsa_user_sgpr_queue_ptr 0
		.amdhsa_user_sgpr_kernarg_segment_ptr 1
		.amdhsa_user_sgpr_dispatch_id 0
		.amdhsa_user_sgpr_private_segment_size 0
		.amdhsa_wavefront_size32 1
		.amdhsa_uses_dynamic_stack 0
		.amdhsa_enable_private_segment 0
		.amdhsa_system_sgpr_workgroup_id_x 1
		.amdhsa_system_sgpr_workgroup_id_y 0
		.amdhsa_system_sgpr_workgroup_id_z 0
		.amdhsa_system_sgpr_workgroup_info 0
		.amdhsa_system_vgpr_workitem_id 0
		.amdhsa_next_free_vgpr 19
		.amdhsa_next_free_sgpr 28
		.amdhsa_reserve_vcc 1
		.amdhsa_float_round_mode_32 0
		.amdhsa_float_round_mode_16_64 0
		.amdhsa_float_denorm_mode_32 3
		.amdhsa_float_denorm_mode_16_64 3
		.amdhsa_dx10_clamp 1
		.amdhsa_ieee_mode 1
		.amdhsa_fp16_overflow 0
		.amdhsa_workgroup_processor_mode 1
		.amdhsa_memory_ordered 1
		.amdhsa_forward_progress 0
		.amdhsa_shared_vgpr_count 0
		.amdhsa_exception_fp_ieee_invalid_op 0
		.amdhsa_exception_fp_denorm_src 0
		.amdhsa_exception_fp_ieee_div_zero 0
		.amdhsa_exception_fp_ieee_overflow 0
		.amdhsa_exception_fp_ieee_underflow 0
		.amdhsa_exception_fp_ieee_inexact 0
		.amdhsa_exception_int_div_zero 0
	.end_amdhsa_kernel
	.section	.text._ZN7rocprim17ROCPRIM_400000_NS6detail17trampoline_kernelINS0_14default_configENS1_22reduce_config_selectorIN6thrust23THRUST_200600_302600_NS5tupleIblNS6_9null_typeES8_S8_S8_S8_S8_S8_S8_EEEEZNS1_11reduce_implILb1ES3_NS6_12zip_iteratorINS7_INS6_11hip_rocprim26transform_input_iterator_tIbNSD_35transform_pair_of_input_iterators_tIbNS6_6detail15normal_iteratorINS6_10device_ptrIKyEEEESL_NS6_8equal_toIyEEEENSG_9not_fun_tINSD_8identityEEEEENSD_19counting_iterator_tIlEES8_S8_S8_S8_S8_S8_S8_S8_EEEEPS9_S9_NSD_9__find_if7functorIS9_EEEE10hipError_tPvRmT1_T2_T3_mT4_P12ihipStream_tbEUlT_E0_NS1_11comp_targetILNS1_3genE9ELNS1_11target_archE1100ELNS1_3gpuE3ELNS1_3repE0EEENS1_30default_config_static_selectorELNS0_4arch9wavefront6targetE0EEEvS14_,"axG",@progbits,_ZN7rocprim17ROCPRIM_400000_NS6detail17trampoline_kernelINS0_14default_configENS1_22reduce_config_selectorIN6thrust23THRUST_200600_302600_NS5tupleIblNS6_9null_typeES8_S8_S8_S8_S8_S8_S8_EEEEZNS1_11reduce_implILb1ES3_NS6_12zip_iteratorINS7_INS6_11hip_rocprim26transform_input_iterator_tIbNSD_35transform_pair_of_input_iterators_tIbNS6_6detail15normal_iteratorINS6_10device_ptrIKyEEEESL_NS6_8equal_toIyEEEENSG_9not_fun_tINSD_8identityEEEEENSD_19counting_iterator_tIlEES8_S8_S8_S8_S8_S8_S8_S8_EEEEPS9_S9_NSD_9__find_if7functorIS9_EEEE10hipError_tPvRmT1_T2_T3_mT4_P12ihipStream_tbEUlT_E0_NS1_11comp_targetILNS1_3genE9ELNS1_11target_archE1100ELNS1_3gpuE3ELNS1_3repE0EEENS1_30default_config_static_selectorELNS0_4arch9wavefront6targetE0EEEvS14_,comdat
.Lfunc_end472:
	.size	_ZN7rocprim17ROCPRIM_400000_NS6detail17trampoline_kernelINS0_14default_configENS1_22reduce_config_selectorIN6thrust23THRUST_200600_302600_NS5tupleIblNS6_9null_typeES8_S8_S8_S8_S8_S8_S8_EEEEZNS1_11reduce_implILb1ES3_NS6_12zip_iteratorINS7_INS6_11hip_rocprim26transform_input_iterator_tIbNSD_35transform_pair_of_input_iterators_tIbNS6_6detail15normal_iteratorINS6_10device_ptrIKyEEEESL_NS6_8equal_toIyEEEENSG_9not_fun_tINSD_8identityEEEEENSD_19counting_iterator_tIlEES8_S8_S8_S8_S8_S8_S8_S8_EEEEPS9_S9_NSD_9__find_if7functorIS9_EEEE10hipError_tPvRmT1_T2_T3_mT4_P12ihipStream_tbEUlT_E0_NS1_11comp_targetILNS1_3genE9ELNS1_11target_archE1100ELNS1_3gpuE3ELNS1_3repE0EEENS1_30default_config_static_selectorELNS0_4arch9wavefront6targetE0EEEvS14_, .Lfunc_end472-_ZN7rocprim17ROCPRIM_400000_NS6detail17trampoline_kernelINS0_14default_configENS1_22reduce_config_selectorIN6thrust23THRUST_200600_302600_NS5tupleIblNS6_9null_typeES8_S8_S8_S8_S8_S8_S8_EEEEZNS1_11reduce_implILb1ES3_NS6_12zip_iteratorINS7_INS6_11hip_rocprim26transform_input_iterator_tIbNSD_35transform_pair_of_input_iterators_tIbNS6_6detail15normal_iteratorINS6_10device_ptrIKyEEEESL_NS6_8equal_toIyEEEENSG_9not_fun_tINSD_8identityEEEEENSD_19counting_iterator_tIlEES8_S8_S8_S8_S8_S8_S8_S8_EEEEPS9_S9_NSD_9__find_if7functorIS9_EEEE10hipError_tPvRmT1_T2_T3_mT4_P12ihipStream_tbEUlT_E0_NS1_11comp_targetILNS1_3genE9ELNS1_11target_archE1100ELNS1_3gpuE3ELNS1_3repE0EEENS1_30default_config_static_selectorELNS0_4arch9wavefront6targetE0EEEvS14_
                                        ; -- End function
	.section	.AMDGPU.csdata,"",@progbits
; Kernel info:
; codeLenInByte = 4108
; NumSgprs: 30
; NumVgprs: 19
; ScratchSize: 0
; MemoryBound: 0
; FloatMode: 240
; IeeeMode: 1
; LDSByteSize: 256 bytes/workgroup (compile time only)
; SGPRBlocks: 3
; VGPRBlocks: 2
; NumSGPRsForWavesPerEU: 30
; NumVGPRsForWavesPerEU: 19
; Occupancy: 16
; WaveLimiterHint : 0
; COMPUTE_PGM_RSRC2:SCRATCH_EN: 0
; COMPUTE_PGM_RSRC2:USER_SGPR: 15
; COMPUTE_PGM_RSRC2:TRAP_HANDLER: 0
; COMPUTE_PGM_RSRC2:TGID_X_EN: 1
; COMPUTE_PGM_RSRC2:TGID_Y_EN: 0
; COMPUTE_PGM_RSRC2:TGID_Z_EN: 0
; COMPUTE_PGM_RSRC2:TIDIG_COMP_CNT: 0
	.section	.text._ZN7rocprim17ROCPRIM_400000_NS6detail17trampoline_kernelINS0_14default_configENS1_22reduce_config_selectorIN6thrust23THRUST_200600_302600_NS5tupleIblNS6_9null_typeES8_S8_S8_S8_S8_S8_S8_EEEEZNS1_11reduce_implILb1ES3_NS6_12zip_iteratorINS7_INS6_11hip_rocprim26transform_input_iterator_tIbNSD_35transform_pair_of_input_iterators_tIbNS6_6detail15normal_iteratorINS6_10device_ptrIKyEEEESL_NS6_8equal_toIyEEEENSG_9not_fun_tINSD_8identityEEEEENSD_19counting_iterator_tIlEES8_S8_S8_S8_S8_S8_S8_S8_EEEEPS9_S9_NSD_9__find_if7functorIS9_EEEE10hipError_tPvRmT1_T2_T3_mT4_P12ihipStream_tbEUlT_E0_NS1_11comp_targetILNS1_3genE8ELNS1_11target_archE1030ELNS1_3gpuE2ELNS1_3repE0EEENS1_30default_config_static_selectorELNS0_4arch9wavefront6targetE0EEEvS14_,"axG",@progbits,_ZN7rocprim17ROCPRIM_400000_NS6detail17trampoline_kernelINS0_14default_configENS1_22reduce_config_selectorIN6thrust23THRUST_200600_302600_NS5tupleIblNS6_9null_typeES8_S8_S8_S8_S8_S8_S8_EEEEZNS1_11reduce_implILb1ES3_NS6_12zip_iteratorINS7_INS6_11hip_rocprim26transform_input_iterator_tIbNSD_35transform_pair_of_input_iterators_tIbNS6_6detail15normal_iteratorINS6_10device_ptrIKyEEEESL_NS6_8equal_toIyEEEENSG_9not_fun_tINSD_8identityEEEEENSD_19counting_iterator_tIlEES8_S8_S8_S8_S8_S8_S8_S8_EEEEPS9_S9_NSD_9__find_if7functorIS9_EEEE10hipError_tPvRmT1_T2_T3_mT4_P12ihipStream_tbEUlT_E0_NS1_11comp_targetILNS1_3genE8ELNS1_11target_archE1030ELNS1_3gpuE2ELNS1_3repE0EEENS1_30default_config_static_selectorELNS0_4arch9wavefront6targetE0EEEvS14_,comdat
	.protected	_ZN7rocprim17ROCPRIM_400000_NS6detail17trampoline_kernelINS0_14default_configENS1_22reduce_config_selectorIN6thrust23THRUST_200600_302600_NS5tupleIblNS6_9null_typeES8_S8_S8_S8_S8_S8_S8_EEEEZNS1_11reduce_implILb1ES3_NS6_12zip_iteratorINS7_INS6_11hip_rocprim26transform_input_iterator_tIbNSD_35transform_pair_of_input_iterators_tIbNS6_6detail15normal_iteratorINS6_10device_ptrIKyEEEESL_NS6_8equal_toIyEEEENSG_9not_fun_tINSD_8identityEEEEENSD_19counting_iterator_tIlEES8_S8_S8_S8_S8_S8_S8_S8_EEEEPS9_S9_NSD_9__find_if7functorIS9_EEEE10hipError_tPvRmT1_T2_T3_mT4_P12ihipStream_tbEUlT_E0_NS1_11comp_targetILNS1_3genE8ELNS1_11target_archE1030ELNS1_3gpuE2ELNS1_3repE0EEENS1_30default_config_static_selectorELNS0_4arch9wavefront6targetE0EEEvS14_ ; -- Begin function _ZN7rocprim17ROCPRIM_400000_NS6detail17trampoline_kernelINS0_14default_configENS1_22reduce_config_selectorIN6thrust23THRUST_200600_302600_NS5tupleIblNS6_9null_typeES8_S8_S8_S8_S8_S8_S8_EEEEZNS1_11reduce_implILb1ES3_NS6_12zip_iteratorINS7_INS6_11hip_rocprim26transform_input_iterator_tIbNSD_35transform_pair_of_input_iterators_tIbNS6_6detail15normal_iteratorINS6_10device_ptrIKyEEEESL_NS6_8equal_toIyEEEENSG_9not_fun_tINSD_8identityEEEEENSD_19counting_iterator_tIlEES8_S8_S8_S8_S8_S8_S8_S8_EEEEPS9_S9_NSD_9__find_if7functorIS9_EEEE10hipError_tPvRmT1_T2_T3_mT4_P12ihipStream_tbEUlT_E0_NS1_11comp_targetILNS1_3genE8ELNS1_11target_archE1030ELNS1_3gpuE2ELNS1_3repE0EEENS1_30default_config_static_selectorELNS0_4arch9wavefront6targetE0EEEvS14_
	.globl	_ZN7rocprim17ROCPRIM_400000_NS6detail17trampoline_kernelINS0_14default_configENS1_22reduce_config_selectorIN6thrust23THRUST_200600_302600_NS5tupleIblNS6_9null_typeES8_S8_S8_S8_S8_S8_S8_EEEEZNS1_11reduce_implILb1ES3_NS6_12zip_iteratorINS7_INS6_11hip_rocprim26transform_input_iterator_tIbNSD_35transform_pair_of_input_iterators_tIbNS6_6detail15normal_iteratorINS6_10device_ptrIKyEEEESL_NS6_8equal_toIyEEEENSG_9not_fun_tINSD_8identityEEEEENSD_19counting_iterator_tIlEES8_S8_S8_S8_S8_S8_S8_S8_EEEEPS9_S9_NSD_9__find_if7functorIS9_EEEE10hipError_tPvRmT1_T2_T3_mT4_P12ihipStream_tbEUlT_E0_NS1_11comp_targetILNS1_3genE8ELNS1_11target_archE1030ELNS1_3gpuE2ELNS1_3repE0EEENS1_30default_config_static_selectorELNS0_4arch9wavefront6targetE0EEEvS14_
	.p2align	8
	.type	_ZN7rocprim17ROCPRIM_400000_NS6detail17trampoline_kernelINS0_14default_configENS1_22reduce_config_selectorIN6thrust23THRUST_200600_302600_NS5tupleIblNS6_9null_typeES8_S8_S8_S8_S8_S8_S8_EEEEZNS1_11reduce_implILb1ES3_NS6_12zip_iteratorINS7_INS6_11hip_rocprim26transform_input_iterator_tIbNSD_35transform_pair_of_input_iterators_tIbNS6_6detail15normal_iteratorINS6_10device_ptrIKyEEEESL_NS6_8equal_toIyEEEENSG_9not_fun_tINSD_8identityEEEEENSD_19counting_iterator_tIlEES8_S8_S8_S8_S8_S8_S8_S8_EEEEPS9_S9_NSD_9__find_if7functorIS9_EEEE10hipError_tPvRmT1_T2_T3_mT4_P12ihipStream_tbEUlT_E0_NS1_11comp_targetILNS1_3genE8ELNS1_11target_archE1030ELNS1_3gpuE2ELNS1_3repE0EEENS1_30default_config_static_selectorELNS0_4arch9wavefront6targetE0EEEvS14_,@function
_ZN7rocprim17ROCPRIM_400000_NS6detail17trampoline_kernelINS0_14default_configENS1_22reduce_config_selectorIN6thrust23THRUST_200600_302600_NS5tupleIblNS6_9null_typeES8_S8_S8_S8_S8_S8_S8_EEEEZNS1_11reduce_implILb1ES3_NS6_12zip_iteratorINS7_INS6_11hip_rocprim26transform_input_iterator_tIbNSD_35transform_pair_of_input_iterators_tIbNS6_6detail15normal_iteratorINS6_10device_ptrIKyEEEESL_NS6_8equal_toIyEEEENSG_9not_fun_tINSD_8identityEEEEENSD_19counting_iterator_tIlEES8_S8_S8_S8_S8_S8_S8_S8_EEEEPS9_S9_NSD_9__find_if7functorIS9_EEEE10hipError_tPvRmT1_T2_T3_mT4_P12ihipStream_tbEUlT_E0_NS1_11comp_targetILNS1_3genE8ELNS1_11target_archE1030ELNS1_3gpuE2ELNS1_3repE0EEENS1_30default_config_static_selectorELNS0_4arch9wavefront6targetE0EEEvS14_: ; @_ZN7rocprim17ROCPRIM_400000_NS6detail17trampoline_kernelINS0_14default_configENS1_22reduce_config_selectorIN6thrust23THRUST_200600_302600_NS5tupleIblNS6_9null_typeES8_S8_S8_S8_S8_S8_S8_EEEEZNS1_11reduce_implILb1ES3_NS6_12zip_iteratorINS7_INS6_11hip_rocprim26transform_input_iterator_tIbNSD_35transform_pair_of_input_iterators_tIbNS6_6detail15normal_iteratorINS6_10device_ptrIKyEEEESL_NS6_8equal_toIyEEEENSG_9not_fun_tINSD_8identityEEEEENSD_19counting_iterator_tIlEES8_S8_S8_S8_S8_S8_S8_S8_EEEEPS9_S9_NSD_9__find_if7functorIS9_EEEE10hipError_tPvRmT1_T2_T3_mT4_P12ihipStream_tbEUlT_E0_NS1_11comp_targetILNS1_3genE8ELNS1_11target_archE1030ELNS1_3gpuE2ELNS1_3repE0EEENS1_30default_config_static_selectorELNS0_4arch9wavefront6targetE0EEEvS14_
; %bb.0:
	.section	.rodata,"a",@progbits
	.p2align	6, 0x0
	.amdhsa_kernel _ZN7rocprim17ROCPRIM_400000_NS6detail17trampoline_kernelINS0_14default_configENS1_22reduce_config_selectorIN6thrust23THRUST_200600_302600_NS5tupleIblNS6_9null_typeES8_S8_S8_S8_S8_S8_S8_EEEEZNS1_11reduce_implILb1ES3_NS6_12zip_iteratorINS7_INS6_11hip_rocprim26transform_input_iterator_tIbNSD_35transform_pair_of_input_iterators_tIbNS6_6detail15normal_iteratorINS6_10device_ptrIKyEEEESL_NS6_8equal_toIyEEEENSG_9not_fun_tINSD_8identityEEEEENSD_19counting_iterator_tIlEES8_S8_S8_S8_S8_S8_S8_S8_EEEEPS9_S9_NSD_9__find_if7functorIS9_EEEE10hipError_tPvRmT1_T2_T3_mT4_P12ihipStream_tbEUlT_E0_NS1_11comp_targetILNS1_3genE8ELNS1_11target_archE1030ELNS1_3gpuE2ELNS1_3repE0EEENS1_30default_config_static_selectorELNS0_4arch9wavefront6targetE0EEEvS14_
		.amdhsa_group_segment_fixed_size 0
		.amdhsa_private_segment_fixed_size 0
		.amdhsa_kernarg_size 104
		.amdhsa_user_sgpr_count 15
		.amdhsa_user_sgpr_dispatch_ptr 0
		.amdhsa_user_sgpr_queue_ptr 0
		.amdhsa_user_sgpr_kernarg_segment_ptr 1
		.amdhsa_user_sgpr_dispatch_id 0
		.amdhsa_user_sgpr_private_segment_size 0
		.amdhsa_wavefront_size32 1
		.amdhsa_uses_dynamic_stack 0
		.amdhsa_enable_private_segment 0
		.amdhsa_system_sgpr_workgroup_id_x 1
		.amdhsa_system_sgpr_workgroup_id_y 0
		.amdhsa_system_sgpr_workgroup_id_z 0
		.amdhsa_system_sgpr_workgroup_info 0
		.amdhsa_system_vgpr_workitem_id 0
		.amdhsa_next_free_vgpr 1
		.amdhsa_next_free_sgpr 1
		.amdhsa_reserve_vcc 0
		.amdhsa_float_round_mode_32 0
		.amdhsa_float_round_mode_16_64 0
		.amdhsa_float_denorm_mode_32 3
		.amdhsa_float_denorm_mode_16_64 3
		.amdhsa_dx10_clamp 1
		.amdhsa_ieee_mode 1
		.amdhsa_fp16_overflow 0
		.amdhsa_workgroup_processor_mode 1
		.amdhsa_memory_ordered 1
		.amdhsa_forward_progress 0
		.amdhsa_shared_vgpr_count 0
		.amdhsa_exception_fp_ieee_invalid_op 0
		.amdhsa_exception_fp_denorm_src 0
		.amdhsa_exception_fp_ieee_div_zero 0
		.amdhsa_exception_fp_ieee_overflow 0
		.amdhsa_exception_fp_ieee_underflow 0
		.amdhsa_exception_fp_ieee_inexact 0
		.amdhsa_exception_int_div_zero 0
	.end_amdhsa_kernel
	.section	.text._ZN7rocprim17ROCPRIM_400000_NS6detail17trampoline_kernelINS0_14default_configENS1_22reduce_config_selectorIN6thrust23THRUST_200600_302600_NS5tupleIblNS6_9null_typeES8_S8_S8_S8_S8_S8_S8_EEEEZNS1_11reduce_implILb1ES3_NS6_12zip_iteratorINS7_INS6_11hip_rocprim26transform_input_iterator_tIbNSD_35transform_pair_of_input_iterators_tIbNS6_6detail15normal_iteratorINS6_10device_ptrIKyEEEESL_NS6_8equal_toIyEEEENSG_9not_fun_tINSD_8identityEEEEENSD_19counting_iterator_tIlEES8_S8_S8_S8_S8_S8_S8_S8_EEEEPS9_S9_NSD_9__find_if7functorIS9_EEEE10hipError_tPvRmT1_T2_T3_mT4_P12ihipStream_tbEUlT_E0_NS1_11comp_targetILNS1_3genE8ELNS1_11target_archE1030ELNS1_3gpuE2ELNS1_3repE0EEENS1_30default_config_static_selectorELNS0_4arch9wavefront6targetE0EEEvS14_,"axG",@progbits,_ZN7rocprim17ROCPRIM_400000_NS6detail17trampoline_kernelINS0_14default_configENS1_22reduce_config_selectorIN6thrust23THRUST_200600_302600_NS5tupleIblNS6_9null_typeES8_S8_S8_S8_S8_S8_S8_EEEEZNS1_11reduce_implILb1ES3_NS6_12zip_iteratorINS7_INS6_11hip_rocprim26transform_input_iterator_tIbNSD_35transform_pair_of_input_iterators_tIbNS6_6detail15normal_iteratorINS6_10device_ptrIKyEEEESL_NS6_8equal_toIyEEEENSG_9not_fun_tINSD_8identityEEEEENSD_19counting_iterator_tIlEES8_S8_S8_S8_S8_S8_S8_S8_EEEEPS9_S9_NSD_9__find_if7functorIS9_EEEE10hipError_tPvRmT1_T2_T3_mT4_P12ihipStream_tbEUlT_E0_NS1_11comp_targetILNS1_3genE8ELNS1_11target_archE1030ELNS1_3gpuE2ELNS1_3repE0EEENS1_30default_config_static_selectorELNS0_4arch9wavefront6targetE0EEEvS14_,comdat
.Lfunc_end473:
	.size	_ZN7rocprim17ROCPRIM_400000_NS6detail17trampoline_kernelINS0_14default_configENS1_22reduce_config_selectorIN6thrust23THRUST_200600_302600_NS5tupleIblNS6_9null_typeES8_S8_S8_S8_S8_S8_S8_EEEEZNS1_11reduce_implILb1ES3_NS6_12zip_iteratorINS7_INS6_11hip_rocprim26transform_input_iterator_tIbNSD_35transform_pair_of_input_iterators_tIbNS6_6detail15normal_iteratorINS6_10device_ptrIKyEEEESL_NS6_8equal_toIyEEEENSG_9not_fun_tINSD_8identityEEEEENSD_19counting_iterator_tIlEES8_S8_S8_S8_S8_S8_S8_S8_EEEEPS9_S9_NSD_9__find_if7functorIS9_EEEE10hipError_tPvRmT1_T2_T3_mT4_P12ihipStream_tbEUlT_E0_NS1_11comp_targetILNS1_3genE8ELNS1_11target_archE1030ELNS1_3gpuE2ELNS1_3repE0EEENS1_30default_config_static_selectorELNS0_4arch9wavefront6targetE0EEEvS14_, .Lfunc_end473-_ZN7rocprim17ROCPRIM_400000_NS6detail17trampoline_kernelINS0_14default_configENS1_22reduce_config_selectorIN6thrust23THRUST_200600_302600_NS5tupleIblNS6_9null_typeES8_S8_S8_S8_S8_S8_S8_EEEEZNS1_11reduce_implILb1ES3_NS6_12zip_iteratorINS7_INS6_11hip_rocprim26transform_input_iterator_tIbNSD_35transform_pair_of_input_iterators_tIbNS6_6detail15normal_iteratorINS6_10device_ptrIKyEEEESL_NS6_8equal_toIyEEEENSG_9not_fun_tINSD_8identityEEEEENSD_19counting_iterator_tIlEES8_S8_S8_S8_S8_S8_S8_S8_EEEEPS9_S9_NSD_9__find_if7functorIS9_EEEE10hipError_tPvRmT1_T2_T3_mT4_P12ihipStream_tbEUlT_E0_NS1_11comp_targetILNS1_3genE8ELNS1_11target_archE1030ELNS1_3gpuE2ELNS1_3repE0EEENS1_30default_config_static_selectorELNS0_4arch9wavefront6targetE0EEEvS14_
                                        ; -- End function
	.section	.AMDGPU.csdata,"",@progbits
; Kernel info:
; codeLenInByte = 0
; NumSgprs: 0
; NumVgprs: 0
; ScratchSize: 0
; MemoryBound: 0
; FloatMode: 240
; IeeeMode: 1
; LDSByteSize: 0 bytes/workgroup (compile time only)
; SGPRBlocks: 0
; VGPRBlocks: 0
; NumSGPRsForWavesPerEU: 1
; NumVGPRsForWavesPerEU: 1
; Occupancy: 16
; WaveLimiterHint : 0
; COMPUTE_PGM_RSRC2:SCRATCH_EN: 0
; COMPUTE_PGM_RSRC2:USER_SGPR: 15
; COMPUTE_PGM_RSRC2:TRAP_HANDLER: 0
; COMPUTE_PGM_RSRC2:TGID_X_EN: 1
; COMPUTE_PGM_RSRC2:TGID_Y_EN: 0
; COMPUTE_PGM_RSRC2:TGID_Z_EN: 0
; COMPUTE_PGM_RSRC2:TIDIG_COMP_CNT: 0
	.section	.text._ZN7rocprim17ROCPRIM_400000_NS6detail17trampoline_kernelINS0_14default_configENS1_22reduce_config_selectorIN6thrust23THRUST_200600_302600_NS5tupleIblNS6_9null_typeES8_S8_S8_S8_S8_S8_S8_EEEEZNS1_11reduce_implILb1ES3_NS6_12zip_iteratorINS7_INS6_11hip_rocprim26transform_input_iterator_tIbNSD_35transform_pair_of_input_iterators_tIbNS6_6detail15normal_iteratorINS6_10device_ptrIKyEEEESL_NS6_8equal_toIyEEEENSG_9not_fun_tINSD_8identityEEEEENSD_19counting_iterator_tIlEES8_S8_S8_S8_S8_S8_S8_S8_EEEEPS9_S9_NSD_9__find_if7functorIS9_EEEE10hipError_tPvRmT1_T2_T3_mT4_P12ihipStream_tbEUlT_E1_NS1_11comp_targetILNS1_3genE0ELNS1_11target_archE4294967295ELNS1_3gpuE0ELNS1_3repE0EEENS1_30default_config_static_selectorELNS0_4arch9wavefront6targetE0EEEvS14_,"axG",@progbits,_ZN7rocprim17ROCPRIM_400000_NS6detail17trampoline_kernelINS0_14default_configENS1_22reduce_config_selectorIN6thrust23THRUST_200600_302600_NS5tupleIblNS6_9null_typeES8_S8_S8_S8_S8_S8_S8_EEEEZNS1_11reduce_implILb1ES3_NS6_12zip_iteratorINS7_INS6_11hip_rocprim26transform_input_iterator_tIbNSD_35transform_pair_of_input_iterators_tIbNS6_6detail15normal_iteratorINS6_10device_ptrIKyEEEESL_NS6_8equal_toIyEEEENSG_9not_fun_tINSD_8identityEEEEENSD_19counting_iterator_tIlEES8_S8_S8_S8_S8_S8_S8_S8_EEEEPS9_S9_NSD_9__find_if7functorIS9_EEEE10hipError_tPvRmT1_T2_T3_mT4_P12ihipStream_tbEUlT_E1_NS1_11comp_targetILNS1_3genE0ELNS1_11target_archE4294967295ELNS1_3gpuE0ELNS1_3repE0EEENS1_30default_config_static_selectorELNS0_4arch9wavefront6targetE0EEEvS14_,comdat
	.protected	_ZN7rocprim17ROCPRIM_400000_NS6detail17trampoline_kernelINS0_14default_configENS1_22reduce_config_selectorIN6thrust23THRUST_200600_302600_NS5tupleIblNS6_9null_typeES8_S8_S8_S8_S8_S8_S8_EEEEZNS1_11reduce_implILb1ES3_NS6_12zip_iteratorINS7_INS6_11hip_rocprim26transform_input_iterator_tIbNSD_35transform_pair_of_input_iterators_tIbNS6_6detail15normal_iteratorINS6_10device_ptrIKyEEEESL_NS6_8equal_toIyEEEENSG_9not_fun_tINSD_8identityEEEEENSD_19counting_iterator_tIlEES8_S8_S8_S8_S8_S8_S8_S8_EEEEPS9_S9_NSD_9__find_if7functorIS9_EEEE10hipError_tPvRmT1_T2_T3_mT4_P12ihipStream_tbEUlT_E1_NS1_11comp_targetILNS1_3genE0ELNS1_11target_archE4294967295ELNS1_3gpuE0ELNS1_3repE0EEENS1_30default_config_static_selectorELNS0_4arch9wavefront6targetE0EEEvS14_ ; -- Begin function _ZN7rocprim17ROCPRIM_400000_NS6detail17trampoline_kernelINS0_14default_configENS1_22reduce_config_selectorIN6thrust23THRUST_200600_302600_NS5tupleIblNS6_9null_typeES8_S8_S8_S8_S8_S8_S8_EEEEZNS1_11reduce_implILb1ES3_NS6_12zip_iteratorINS7_INS6_11hip_rocprim26transform_input_iterator_tIbNSD_35transform_pair_of_input_iterators_tIbNS6_6detail15normal_iteratorINS6_10device_ptrIKyEEEESL_NS6_8equal_toIyEEEENSG_9not_fun_tINSD_8identityEEEEENSD_19counting_iterator_tIlEES8_S8_S8_S8_S8_S8_S8_S8_EEEEPS9_S9_NSD_9__find_if7functorIS9_EEEE10hipError_tPvRmT1_T2_T3_mT4_P12ihipStream_tbEUlT_E1_NS1_11comp_targetILNS1_3genE0ELNS1_11target_archE4294967295ELNS1_3gpuE0ELNS1_3repE0EEENS1_30default_config_static_selectorELNS0_4arch9wavefront6targetE0EEEvS14_
	.globl	_ZN7rocprim17ROCPRIM_400000_NS6detail17trampoline_kernelINS0_14default_configENS1_22reduce_config_selectorIN6thrust23THRUST_200600_302600_NS5tupleIblNS6_9null_typeES8_S8_S8_S8_S8_S8_S8_EEEEZNS1_11reduce_implILb1ES3_NS6_12zip_iteratorINS7_INS6_11hip_rocprim26transform_input_iterator_tIbNSD_35transform_pair_of_input_iterators_tIbNS6_6detail15normal_iteratorINS6_10device_ptrIKyEEEESL_NS6_8equal_toIyEEEENSG_9not_fun_tINSD_8identityEEEEENSD_19counting_iterator_tIlEES8_S8_S8_S8_S8_S8_S8_S8_EEEEPS9_S9_NSD_9__find_if7functorIS9_EEEE10hipError_tPvRmT1_T2_T3_mT4_P12ihipStream_tbEUlT_E1_NS1_11comp_targetILNS1_3genE0ELNS1_11target_archE4294967295ELNS1_3gpuE0ELNS1_3repE0EEENS1_30default_config_static_selectorELNS0_4arch9wavefront6targetE0EEEvS14_
	.p2align	8
	.type	_ZN7rocprim17ROCPRIM_400000_NS6detail17trampoline_kernelINS0_14default_configENS1_22reduce_config_selectorIN6thrust23THRUST_200600_302600_NS5tupleIblNS6_9null_typeES8_S8_S8_S8_S8_S8_S8_EEEEZNS1_11reduce_implILb1ES3_NS6_12zip_iteratorINS7_INS6_11hip_rocprim26transform_input_iterator_tIbNSD_35transform_pair_of_input_iterators_tIbNS6_6detail15normal_iteratorINS6_10device_ptrIKyEEEESL_NS6_8equal_toIyEEEENSG_9not_fun_tINSD_8identityEEEEENSD_19counting_iterator_tIlEES8_S8_S8_S8_S8_S8_S8_S8_EEEEPS9_S9_NSD_9__find_if7functorIS9_EEEE10hipError_tPvRmT1_T2_T3_mT4_P12ihipStream_tbEUlT_E1_NS1_11comp_targetILNS1_3genE0ELNS1_11target_archE4294967295ELNS1_3gpuE0ELNS1_3repE0EEENS1_30default_config_static_selectorELNS0_4arch9wavefront6targetE0EEEvS14_,@function
_ZN7rocprim17ROCPRIM_400000_NS6detail17trampoline_kernelINS0_14default_configENS1_22reduce_config_selectorIN6thrust23THRUST_200600_302600_NS5tupleIblNS6_9null_typeES8_S8_S8_S8_S8_S8_S8_EEEEZNS1_11reduce_implILb1ES3_NS6_12zip_iteratorINS7_INS6_11hip_rocprim26transform_input_iterator_tIbNSD_35transform_pair_of_input_iterators_tIbNS6_6detail15normal_iteratorINS6_10device_ptrIKyEEEESL_NS6_8equal_toIyEEEENSG_9not_fun_tINSD_8identityEEEEENSD_19counting_iterator_tIlEES8_S8_S8_S8_S8_S8_S8_S8_EEEEPS9_S9_NSD_9__find_if7functorIS9_EEEE10hipError_tPvRmT1_T2_T3_mT4_P12ihipStream_tbEUlT_E1_NS1_11comp_targetILNS1_3genE0ELNS1_11target_archE4294967295ELNS1_3gpuE0ELNS1_3repE0EEENS1_30default_config_static_selectorELNS0_4arch9wavefront6targetE0EEEvS14_: ; @_ZN7rocprim17ROCPRIM_400000_NS6detail17trampoline_kernelINS0_14default_configENS1_22reduce_config_selectorIN6thrust23THRUST_200600_302600_NS5tupleIblNS6_9null_typeES8_S8_S8_S8_S8_S8_S8_EEEEZNS1_11reduce_implILb1ES3_NS6_12zip_iteratorINS7_INS6_11hip_rocprim26transform_input_iterator_tIbNSD_35transform_pair_of_input_iterators_tIbNS6_6detail15normal_iteratorINS6_10device_ptrIKyEEEESL_NS6_8equal_toIyEEEENSG_9not_fun_tINSD_8identityEEEEENSD_19counting_iterator_tIlEES8_S8_S8_S8_S8_S8_S8_S8_EEEEPS9_S9_NSD_9__find_if7functorIS9_EEEE10hipError_tPvRmT1_T2_T3_mT4_P12ihipStream_tbEUlT_E1_NS1_11comp_targetILNS1_3genE0ELNS1_11target_archE4294967295ELNS1_3gpuE0ELNS1_3repE0EEENS1_30default_config_static_selectorELNS0_4arch9wavefront6targetE0EEEvS14_
; %bb.0:
	.section	.rodata,"a",@progbits
	.p2align	6, 0x0
	.amdhsa_kernel _ZN7rocprim17ROCPRIM_400000_NS6detail17trampoline_kernelINS0_14default_configENS1_22reduce_config_selectorIN6thrust23THRUST_200600_302600_NS5tupleIblNS6_9null_typeES8_S8_S8_S8_S8_S8_S8_EEEEZNS1_11reduce_implILb1ES3_NS6_12zip_iteratorINS7_INS6_11hip_rocprim26transform_input_iterator_tIbNSD_35transform_pair_of_input_iterators_tIbNS6_6detail15normal_iteratorINS6_10device_ptrIKyEEEESL_NS6_8equal_toIyEEEENSG_9not_fun_tINSD_8identityEEEEENSD_19counting_iterator_tIlEES8_S8_S8_S8_S8_S8_S8_S8_EEEEPS9_S9_NSD_9__find_if7functorIS9_EEEE10hipError_tPvRmT1_T2_T3_mT4_P12ihipStream_tbEUlT_E1_NS1_11comp_targetILNS1_3genE0ELNS1_11target_archE4294967295ELNS1_3gpuE0ELNS1_3repE0EEENS1_30default_config_static_selectorELNS0_4arch9wavefront6targetE0EEEvS14_
		.amdhsa_group_segment_fixed_size 0
		.amdhsa_private_segment_fixed_size 0
		.amdhsa_kernarg_size 88
		.amdhsa_user_sgpr_count 15
		.amdhsa_user_sgpr_dispatch_ptr 0
		.amdhsa_user_sgpr_queue_ptr 0
		.amdhsa_user_sgpr_kernarg_segment_ptr 1
		.amdhsa_user_sgpr_dispatch_id 0
		.amdhsa_user_sgpr_private_segment_size 0
		.amdhsa_wavefront_size32 1
		.amdhsa_uses_dynamic_stack 0
		.amdhsa_enable_private_segment 0
		.amdhsa_system_sgpr_workgroup_id_x 1
		.amdhsa_system_sgpr_workgroup_id_y 0
		.amdhsa_system_sgpr_workgroup_id_z 0
		.amdhsa_system_sgpr_workgroup_info 0
		.amdhsa_system_vgpr_workitem_id 0
		.amdhsa_next_free_vgpr 1
		.amdhsa_next_free_sgpr 1
		.amdhsa_reserve_vcc 0
		.amdhsa_float_round_mode_32 0
		.amdhsa_float_round_mode_16_64 0
		.amdhsa_float_denorm_mode_32 3
		.amdhsa_float_denorm_mode_16_64 3
		.amdhsa_dx10_clamp 1
		.amdhsa_ieee_mode 1
		.amdhsa_fp16_overflow 0
		.amdhsa_workgroup_processor_mode 1
		.amdhsa_memory_ordered 1
		.amdhsa_forward_progress 0
		.amdhsa_shared_vgpr_count 0
		.amdhsa_exception_fp_ieee_invalid_op 0
		.amdhsa_exception_fp_denorm_src 0
		.amdhsa_exception_fp_ieee_div_zero 0
		.amdhsa_exception_fp_ieee_overflow 0
		.amdhsa_exception_fp_ieee_underflow 0
		.amdhsa_exception_fp_ieee_inexact 0
		.amdhsa_exception_int_div_zero 0
	.end_amdhsa_kernel
	.section	.text._ZN7rocprim17ROCPRIM_400000_NS6detail17trampoline_kernelINS0_14default_configENS1_22reduce_config_selectorIN6thrust23THRUST_200600_302600_NS5tupleIblNS6_9null_typeES8_S8_S8_S8_S8_S8_S8_EEEEZNS1_11reduce_implILb1ES3_NS6_12zip_iteratorINS7_INS6_11hip_rocprim26transform_input_iterator_tIbNSD_35transform_pair_of_input_iterators_tIbNS6_6detail15normal_iteratorINS6_10device_ptrIKyEEEESL_NS6_8equal_toIyEEEENSG_9not_fun_tINSD_8identityEEEEENSD_19counting_iterator_tIlEES8_S8_S8_S8_S8_S8_S8_S8_EEEEPS9_S9_NSD_9__find_if7functorIS9_EEEE10hipError_tPvRmT1_T2_T3_mT4_P12ihipStream_tbEUlT_E1_NS1_11comp_targetILNS1_3genE0ELNS1_11target_archE4294967295ELNS1_3gpuE0ELNS1_3repE0EEENS1_30default_config_static_selectorELNS0_4arch9wavefront6targetE0EEEvS14_,"axG",@progbits,_ZN7rocprim17ROCPRIM_400000_NS6detail17trampoline_kernelINS0_14default_configENS1_22reduce_config_selectorIN6thrust23THRUST_200600_302600_NS5tupleIblNS6_9null_typeES8_S8_S8_S8_S8_S8_S8_EEEEZNS1_11reduce_implILb1ES3_NS6_12zip_iteratorINS7_INS6_11hip_rocprim26transform_input_iterator_tIbNSD_35transform_pair_of_input_iterators_tIbNS6_6detail15normal_iteratorINS6_10device_ptrIKyEEEESL_NS6_8equal_toIyEEEENSG_9not_fun_tINSD_8identityEEEEENSD_19counting_iterator_tIlEES8_S8_S8_S8_S8_S8_S8_S8_EEEEPS9_S9_NSD_9__find_if7functorIS9_EEEE10hipError_tPvRmT1_T2_T3_mT4_P12ihipStream_tbEUlT_E1_NS1_11comp_targetILNS1_3genE0ELNS1_11target_archE4294967295ELNS1_3gpuE0ELNS1_3repE0EEENS1_30default_config_static_selectorELNS0_4arch9wavefront6targetE0EEEvS14_,comdat
.Lfunc_end474:
	.size	_ZN7rocprim17ROCPRIM_400000_NS6detail17trampoline_kernelINS0_14default_configENS1_22reduce_config_selectorIN6thrust23THRUST_200600_302600_NS5tupleIblNS6_9null_typeES8_S8_S8_S8_S8_S8_S8_EEEEZNS1_11reduce_implILb1ES3_NS6_12zip_iteratorINS7_INS6_11hip_rocprim26transform_input_iterator_tIbNSD_35transform_pair_of_input_iterators_tIbNS6_6detail15normal_iteratorINS6_10device_ptrIKyEEEESL_NS6_8equal_toIyEEEENSG_9not_fun_tINSD_8identityEEEEENSD_19counting_iterator_tIlEES8_S8_S8_S8_S8_S8_S8_S8_EEEEPS9_S9_NSD_9__find_if7functorIS9_EEEE10hipError_tPvRmT1_T2_T3_mT4_P12ihipStream_tbEUlT_E1_NS1_11comp_targetILNS1_3genE0ELNS1_11target_archE4294967295ELNS1_3gpuE0ELNS1_3repE0EEENS1_30default_config_static_selectorELNS0_4arch9wavefront6targetE0EEEvS14_, .Lfunc_end474-_ZN7rocprim17ROCPRIM_400000_NS6detail17trampoline_kernelINS0_14default_configENS1_22reduce_config_selectorIN6thrust23THRUST_200600_302600_NS5tupleIblNS6_9null_typeES8_S8_S8_S8_S8_S8_S8_EEEEZNS1_11reduce_implILb1ES3_NS6_12zip_iteratorINS7_INS6_11hip_rocprim26transform_input_iterator_tIbNSD_35transform_pair_of_input_iterators_tIbNS6_6detail15normal_iteratorINS6_10device_ptrIKyEEEESL_NS6_8equal_toIyEEEENSG_9not_fun_tINSD_8identityEEEEENSD_19counting_iterator_tIlEES8_S8_S8_S8_S8_S8_S8_S8_EEEEPS9_S9_NSD_9__find_if7functorIS9_EEEE10hipError_tPvRmT1_T2_T3_mT4_P12ihipStream_tbEUlT_E1_NS1_11comp_targetILNS1_3genE0ELNS1_11target_archE4294967295ELNS1_3gpuE0ELNS1_3repE0EEENS1_30default_config_static_selectorELNS0_4arch9wavefront6targetE0EEEvS14_
                                        ; -- End function
	.section	.AMDGPU.csdata,"",@progbits
; Kernel info:
; codeLenInByte = 0
; NumSgprs: 0
; NumVgprs: 0
; ScratchSize: 0
; MemoryBound: 0
; FloatMode: 240
; IeeeMode: 1
; LDSByteSize: 0 bytes/workgroup (compile time only)
; SGPRBlocks: 0
; VGPRBlocks: 0
; NumSGPRsForWavesPerEU: 1
; NumVGPRsForWavesPerEU: 1
; Occupancy: 16
; WaveLimiterHint : 0
; COMPUTE_PGM_RSRC2:SCRATCH_EN: 0
; COMPUTE_PGM_RSRC2:USER_SGPR: 15
; COMPUTE_PGM_RSRC2:TRAP_HANDLER: 0
; COMPUTE_PGM_RSRC2:TGID_X_EN: 1
; COMPUTE_PGM_RSRC2:TGID_Y_EN: 0
; COMPUTE_PGM_RSRC2:TGID_Z_EN: 0
; COMPUTE_PGM_RSRC2:TIDIG_COMP_CNT: 0
	.section	.text._ZN7rocprim17ROCPRIM_400000_NS6detail17trampoline_kernelINS0_14default_configENS1_22reduce_config_selectorIN6thrust23THRUST_200600_302600_NS5tupleIblNS6_9null_typeES8_S8_S8_S8_S8_S8_S8_EEEEZNS1_11reduce_implILb1ES3_NS6_12zip_iteratorINS7_INS6_11hip_rocprim26transform_input_iterator_tIbNSD_35transform_pair_of_input_iterators_tIbNS6_6detail15normal_iteratorINS6_10device_ptrIKyEEEESL_NS6_8equal_toIyEEEENSG_9not_fun_tINSD_8identityEEEEENSD_19counting_iterator_tIlEES8_S8_S8_S8_S8_S8_S8_S8_EEEEPS9_S9_NSD_9__find_if7functorIS9_EEEE10hipError_tPvRmT1_T2_T3_mT4_P12ihipStream_tbEUlT_E1_NS1_11comp_targetILNS1_3genE5ELNS1_11target_archE942ELNS1_3gpuE9ELNS1_3repE0EEENS1_30default_config_static_selectorELNS0_4arch9wavefront6targetE0EEEvS14_,"axG",@progbits,_ZN7rocprim17ROCPRIM_400000_NS6detail17trampoline_kernelINS0_14default_configENS1_22reduce_config_selectorIN6thrust23THRUST_200600_302600_NS5tupleIblNS6_9null_typeES8_S8_S8_S8_S8_S8_S8_EEEEZNS1_11reduce_implILb1ES3_NS6_12zip_iteratorINS7_INS6_11hip_rocprim26transform_input_iterator_tIbNSD_35transform_pair_of_input_iterators_tIbNS6_6detail15normal_iteratorINS6_10device_ptrIKyEEEESL_NS6_8equal_toIyEEEENSG_9not_fun_tINSD_8identityEEEEENSD_19counting_iterator_tIlEES8_S8_S8_S8_S8_S8_S8_S8_EEEEPS9_S9_NSD_9__find_if7functorIS9_EEEE10hipError_tPvRmT1_T2_T3_mT4_P12ihipStream_tbEUlT_E1_NS1_11comp_targetILNS1_3genE5ELNS1_11target_archE942ELNS1_3gpuE9ELNS1_3repE0EEENS1_30default_config_static_selectorELNS0_4arch9wavefront6targetE0EEEvS14_,comdat
	.protected	_ZN7rocprim17ROCPRIM_400000_NS6detail17trampoline_kernelINS0_14default_configENS1_22reduce_config_selectorIN6thrust23THRUST_200600_302600_NS5tupleIblNS6_9null_typeES8_S8_S8_S8_S8_S8_S8_EEEEZNS1_11reduce_implILb1ES3_NS6_12zip_iteratorINS7_INS6_11hip_rocprim26transform_input_iterator_tIbNSD_35transform_pair_of_input_iterators_tIbNS6_6detail15normal_iteratorINS6_10device_ptrIKyEEEESL_NS6_8equal_toIyEEEENSG_9not_fun_tINSD_8identityEEEEENSD_19counting_iterator_tIlEES8_S8_S8_S8_S8_S8_S8_S8_EEEEPS9_S9_NSD_9__find_if7functorIS9_EEEE10hipError_tPvRmT1_T2_T3_mT4_P12ihipStream_tbEUlT_E1_NS1_11comp_targetILNS1_3genE5ELNS1_11target_archE942ELNS1_3gpuE9ELNS1_3repE0EEENS1_30default_config_static_selectorELNS0_4arch9wavefront6targetE0EEEvS14_ ; -- Begin function _ZN7rocprim17ROCPRIM_400000_NS6detail17trampoline_kernelINS0_14default_configENS1_22reduce_config_selectorIN6thrust23THRUST_200600_302600_NS5tupleIblNS6_9null_typeES8_S8_S8_S8_S8_S8_S8_EEEEZNS1_11reduce_implILb1ES3_NS6_12zip_iteratorINS7_INS6_11hip_rocprim26transform_input_iterator_tIbNSD_35transform_pair_of_input_iterators_tIbNS6_6detail15normal_iteratorINS6_10device_ptrIKyEEEESL_NS6_8equal_toIyEEEENSG_9not_fun_tINSD_8identityEEEEENSD_19counting_iterator_tIlEES8_S8_S8_S8_S8_S8_S8_S8_EEEEPS9_S9_NSD_9__find_if7functorIS9_EEEE10hipError_tPvRmT1_T2_T3_mT4_P12ihipStream_tbEUlT_E1_NS1_11comp_targetILNS1_3genE5ELNS1_11target_archE942ELNS1_3gpuE9ELNS1_3repE0EEENS1_30default_config_static_selectorELNS0_4arch9wavefront6targetE0EEEvS14_
	.globl	_ZN7rocprim17ROCPRIM_400000_NS6detail17trampoline_kernelINS0_14default_configENS1_22reduce_config_selectorIN6thrust23THRUST_200600_302600_NS5tupleIblNS6_9null_typeES8_S8_S8_S8_S8_S8_S8_EEEEZNS1_11reduce_implILb1ES3_NS6_12zip_iteratorINS7_INS6_11hip_rocprim26transform_input_iterator_tIbNSD_35transform_pair_of_input_iterators_tIbNS6_6detail15normal_iteratorINS6_10device_ptrIKyEEEESL_NS6_8equal_toIyEEEENSG_9not_fun_tINSD_8identityEEEEENSD_19counting_iterator_tIlEES8_S8_S8_S8_S8_S8_S8_S8_EEEEPS9_S9_NSD_9__find_if7functorIS9_EEEE10hipError_tPvRmT1_T2_T3_mT4_P12ihipStream_tbEUlT_E1_NS1_11comp_targetILNS1_3genE5ELNS1_11target_archE942ELNS1_3gpuE9ELNS1_3repE0EEENS1_30default_config_static_selectorELNS0_4arch9wavefront6targetE0EEEvS14_
	.p2align	8
	.type	_ZN7rocprim17ROCPRIM_400000_NS6detail17trampoline_kernelINS0_14default_configENS1_22reduce_config_selectorIN6thrust23THRUST_200600_302600_NS5tupleIblNS6_9null_typeES8_S8_S8_S8_S8_S8_S8_EEEEZNS1_11reduce_implILb1ES3_NS6_12zip_iteratorINS7_INS6_11hip_rocprim26transform_input_iterator_tIbNSD_35transform_pair_of_input_iterators_tIbNS6_6detail15normal_iteratorINS6_10device_ptrIKyEEEESL_NS6_8equal_toIyEEEENSG_9not_fun_tINSD_8identityEEEEENSD_19counting_iterator_tIlEES8_S8_S8_S8_S8_S8_S8_S8_EEEEPS9_S9_NSD_9__find_if7functorIS9_EEEE10hipError_tPvRmT1_T2_T3_mT4_P12ihipStream_tbEUlT_E1_NS1_11comp_targetILNS1_3genE5ELNS1_11target_archE942ELNS1_3gpuE9ELNS1_3repE0EEENS1_30default_config_static_selectorELNS0_4arch9wavefront6targetE0EEEvS14_,@function
_ZN7rocprim17ROCPRIM_400000_NS6detail17trampoline_kernelINS0_14default_configENS1_22reduce_config_selectorIN6thrust23THRUST_200600_302600_NS5tupleIblNS6_9null_typeES8_S8_S8_S8_S8_S8_S8_EEEEZNS1_11reduce_implILb1ES3_NS6_12zip_iteratorINS7_INS6_11hip_rocprim26transform_input_iterator_tIbNSD_35transform_pair_of_input_iterators_tIbNS6_6detail15normal_iteratorINS6_10device_ptrIKyEEEESL_NS6_8equal_toIyEEEENSG_9not_fun_tINSD_8identityEEEEENSD_19counting_iterator_tIlEES8_S8_S8_S8_S8_S8_S8_S8_EEEEPS9_S9_NSD_9__find_if7functorIS9_EEEE10hipError_tPvRmT1_T2_T3_mT4_P12ihipStream_tbEUlT_E1_NS1_11comp_targetILNS1_3genE5ELNS1_11target_archE942ELNS1_3gpuE9ELNS1_3repE0EEENS1_30default_config_static_selectorELNS0_4arch9wavefront6targetE0EEEvS14_: ; @_ZN7rocprim17ROCPRIM_400000_NS6detail17trampoline_kernelINS0_14default_configENS1_22reduce_config_selectorIN6thrust23THRUST_200600_302600_NS5tupleIblNS6_9null_typeES8_S8_S8_S8_S8_S8_S8_EEEEZNS1_11reduce_implILb1ES3_NS6_12zip_iteratorINS7_INS6_11hip_rocprim26transform_input_iterator_tIbNSD_35transform_pair_of_input_iterators_tIbNS6_6detail15normal_iteratorINS6_10device_ptrIKyEEEESL_NS6_8equal_toIyEEEENSG_9not_fun_tINSD_8identityEEEEENSD_19counting_iterator_tIlEES8_S8_S8_S8_S8_S8_S8_S8_EEEEPS9_S9_NSD_9__find_if7functorIS9_EEEE10hipError_tPvRmT1_T2_T3_mT4_P12ihipStream_tbEUlT_E1_NS1_11comp_targetILNS1_3genE5ELNS1_11target_archE942ELNS1_3gpuE9ELNS1_3repE0EEENS1_30default_config_static_selectorELNS0_4arch9wavefront6targetE0EEEvS14_
; %bb.0:
	.section	.rodata,"a",@progbits
	.p2align	6, 0x0
	.amdhsa_kernel _ZN7rocprim17ROCPRIM_400000_NS6detail17trampoline_kernelINS0_14default_configENS1_22reduce_config_selectorIN6thrust23THRUST_200600_302600_NS5tupleIblNS6_9null_typeES8_S8_S8_S8_S8_S8_S8_EEEEZNS1_11reduce_implILb1ES3_NS6_12zip_iteratorINS7_INS6_11hip_rocprim26transform_input_iterator_tIbNSD_35transform_pair_of_input_iterators_tIbNS6_6detail15normal_iteratorINS6_10device_ptrIKyEEEESL_NS6_8equal_toIyEEEENSG_9not_fun_tINSD_8identityEEEEENSD_19counting_iterator_tIlEES8_S8_S8_S8_S8_S8_S8_S8_EEEEPS9_S9_NSD_9__find_if7functorIS9_EEEE10hipError_tPvRmT1_T2_T3_mT4_P12ihipStream_tbEUlT_E1_NS1_11comp_targetILNS1_3genE5ELNS1_11target_archE942ELNS1_3gpuE9ELNS1_3repE0EEENS1_30default_config_static_selectorELNS0_4arch9wavefront6targetE0EEEvS14_
		.amdhsa_group_segment_fixed_size 0
		.amdhsa_private_segment_fixed_size 0
		.amdhsa_kernarg_size 88
		.amdhsa_user_sgpr_count 15
		.amdhsa_user_sgpr_dispatch_ptr 0
		.amdhsa_user_sgpr_queue_ptr 0
		.amdhsa_user_sgpr_kernarg_segment_ptr 1
		.amdhsa_user_sgpr_dispatch_id 0
		.amdhsa_user_sgpr_private_segment_size 0
		.amdhsa_wavefront_size32 1
		.amdhsa_uses_dynamic_stack 0
		.amdhsa_enable_private_segment 0
		.amdhsa_system_sgpr_workgroup_id_x 1
		.amdhsa_system_sgpr_workgroup_id_y 0
		.amdhsa_system_sgpr_workgroup_id_z 0
		.amdhsa_system_sgpr_workgroup_info 0
		.amdhsa_system_vgpr_workitem_id 0
		.amdhsa_next_free_vgpr 1
		.amdhsa_next_free_sgpr 1
		.amdhsa_reserve_vcc 0
		.amdhsa_float_round_mode_32 0
		.amdhsa_float_round_mode_16_64 0
		.amdhsa_float_denorm_mode_32 3
		.amdhsa_float_denorm_mode_16_64 3
		.amdhsa_dx10_clamp 1
		.amdhsa_ieee_mode 1
		.amdhsa_fp16_overflow 0
		.amdhsa_workgroup_processor_mode 1
		.amdhsa_memory_ordered 1
		.amdhsa_forward_progress 0
		.amdhsa_shared_vgpr_count 0
		.amdhsa_exception_fp_ieee_invalid_op 0
		.amdhsa_exception_fp_denorm_src 0
		.amdhsa_exception_fp_ieee_div_zero 0
		.amdhsa_exception_fp_ieee_overflow 0
		.amdhsa_exception_fp_ieee_underflow 0
		.amdhsa_exception_fp_ieee_inexact 0
		.amdhsa_exception_int_div_zero 0
	.end_amdhsa_kernel
	.section	.text._ZN7rocprim17ROCPRIM_400000_NS6detail17trampoline_kernelINS0_14default_configENS1_22reduce_config_selectorIN6thrust23THRUST_200600_302600_NS5tupleIblNS6_9null_typeES8_S8_S8_S8_S8_S8_S8_EEEEZNS1_11reduce_implILb1ES3_NS6_12zip_iteratorINS7_INS6_11hip_rocprim26transform_input_iterator_tIbNSD_35transform_pair_of_input_iterators_tIbNS6_6detail15normal_iteratorINS6_10device_ptrIKyEEEESL_NS6_8equal_toIyEEEENSG_9not_fun_tINSD_8identityEEEEENSD_19counting_iterator_tIlEES8_S8_S8_S8_S8_S8_S8_S8_EEEEPS9_S9_NSD_9__find_if7functorIS9_EEEE10hipError_tPvRmT1_T2_T3_mT4_P12ihipStream_tbEUlT_E1_NS1_11comp_targetILNS1_3genE5ELNS1_11target_archE942ELNS1_3gpuE9ELNS1_3repE0EEENS1_30default_config_static_selectorELNS0_4arch9wavefront6targetE0EEEvS14_,"axG",@progbits,_ZN7rocprim17ROCPRIM_400000_NS6detail17trampoline_kernelINS0_14default_configENS1_22reduce_config_selectorIN6thrust23THRUST_200600_302600_NS5tupleIblNS6_9null_typeES8_S8_S8_S8_S8_S8_S8_EEEEZNS1_11reduce_implILb1ES3_NS6_12zip_iteratorINS7_INS6_11hip_rocprim26transform_input_iterator_tIbNSD_35transform_pair_of_input_iterators_tIbNS6_6detail15normal_iteratorINS6_10device_ptrIKyEEEESL_NS6_8equal_toIyEEEENSG_9not_fun_tINSD_8identityEEEEENSD_19counting_iterator_tIlEES8_S8_S8_S8_S8_S8_S8_S8_EEEEPS9_S9_NSD_9__find_if7functorIS9_EEEE10hipError_tPvRmT1_T2_T3_mT4_P12ihipStream_tbEUlT_E1_NS1_11comp_targetILNS1_3genE5ELNS1_11target_archE942ELNS1_3gpuE9ELNS1_3repE0EEENS1_30default_config_static_selectorELNS0_4arch9wavefront6targetE0EEEvS14_,comdat
.Lfunc_end475:
	.size	_ZN7rocprim17ROCPRIM_400000_NS6detail17trampoline_kernelINS0_14default_configENS1_22reduce_config_selectorIN6thrust23THRUST_200600_302600_NS5tupleIblNS6_9null_typeES8_S8_S8_S8_S8_S8_S8_EEEEZNS1_11reduce_implILb1ES3_NS6_12zip_iteratorINS7_INS6_11hip_rocprim26transform_input_iterator_tIbNSD_35transform_pair_of_input_iterators_tIbNS6_6detail15normal_iteratorINS6_10device_ptrIKyEEEESL_NS6_8equal_toIyEEEENSG_9not_fun_tINSD_8identityEEEEENSD_19counting_iterator_tIlEES8_S8_S8_S8_S8_S8_S8_S8_EEEEPS9_S9_NSD_9__find_if7functorIS9_EEEE10hipError_tPvRmT1_T2_T3_mT4_P12ihipStream_tbEUlT_E1_NS1_11comp_targetILNS1_3genE5ELNS1_11target_archE942ELNS1_3gpuE9ELNS1_3repE0EEENS1_30default_config_static_selectorELNS0_4arch9wavefront6targetE0EEEvS14_, .Lfunc_end475-_ZN7rocprim17ROCPRIM_400000_NS6detail17trampoline_kernelINS0_14default_configENS1_22reduce_config_selectorIN6thrust23THRUST_200600_302600_NS5tupleIblNS6_9null_typeES8_S8_S8_S8_S8_S8_S8_EEEEZNS1_11reduce_implILb1ES3_NS6_12zip_iteratorINS7_INS6_11hip_rocprim26transform_input_iterator_tIbNSD_35transform_pair_of_input_iterators_tIbNS6_6detail15normal_iteratorINS6_10device_ptrIKyEEEESL_NS6_8equal_toIyEEEENSG_9not_fun_tINSD_8identityEEEEENSD_19counting_iterator_tIlEES8_S8_S8_S8_S8_S8_S8_S8_EEEEPS9_S9_NSD_9__find_if7functorIS9_EEEE10hipError_tPvRmT1_T2_T3_mT4_P12ihipStream_tbEUlT_E1_NS1_11comp_targetILNS1_3genE5ELNS1_11target_archE942ELNS1_3gpuE9ELNS1_3repE0EEENS1_30default_config_static_selectorELNS0_4arch9wavefront6targetE0EEEvS14_
                                        ; -- End function
	.section	.AMDGPU.csdata,"",@progbits
; Kernel info:
; codeLenInByte = 0
; NumSgprs: 0
; NumVgprs: 0
; ScratchSize: 0
; MemoryBound: 0
; FloatMode: 240
; IeeeMode: 1
; LDSByteSize: 0 bytes/workgroup (compile time only)
; SGPRBlocks: 0
; VGPRBlocks: 0
; NumSGPRsForWavesPerEU: 1
; NumVGPRsForWavesPerEU: 1
; Occupancy: 16
; WaveLimiterHint : 0
; COMPUTE_PGM_RSRC2:SCRATCH_EN: 0
; COMPUTE_PGM_RSRC2:USER_SGPR: 15
; COMPUTE_PGM_RSRC2:TRAP_HANDLER: 0
; COMPUTE_PGM_RSRC2:TGID_X_EN: 1
; COMPUTE_PGM_RSRC2:TGID_Y_EN: 0
; COMPUTE_PGM_RSRC2:TGID_Z_EN: 0
; COMPUTE_PGM_RSRC2:TIDIG_COMP_CNT: 0
	.section	.text._ZN7rocprim17ROCPRIM_400000_NS6detail17trampoline_kernelINS0_14default_configENS1_22reduce_config_selectorIN6thrust23THRUST_200600_302600_NS5tupleIblNS6_9null_typeES8_S8_S8_S8_S8_S8_S8_EEEEZNS1_11reduce_implILb1ES3_NS6_12zip_iteratorINS7_INS6_11hip_rocprim26transform_input_iterator_tIbNSD_35transform_pair_of_input_iterators_tIbNS6_6detail15normal_iteratorINS6_10device_ptrIKyEEEESL_NS6_8equal_toIyEEEENSG_9not_fun_tINSD_8identityEEEEENSD_19counting_iterator_tIlEES8_S8_S8_S8_S8_S8_S8_S8_EEEEPS9_S9_NSD_9__find_if7functorIS9_EEEE10hipError_tPvRmT1_T2_T3_mT4_P12ihipStream_tbEUlT_E1_NS1_11comp_targetILNS1_3genE4ELNS1_11target_archE910ELNS1_3gpuE8ELNS1_3repE0EEENS1_30default_config_static_selectorELNS0_4arch9wavefront6targetE0EEEvS14_,"axG",@progbits,_ZN7rocprim17ROCPRIM_400000_NS6detail17trampoline_kernelINS0_14default_configENS1_22reduce_config_selectorIN6thrust23THRUST_200600_302600_NS5tupleIblNS6_9null_typeES8_S8_S8_S8_S8_S8_S8_EEEEZNS1_11reduce_implILb1ES3_NS6_12zip_iteratorINS7_INS6_11hip_rocprim26transform_input_iterator_tIbNSD_35transform_pair_of_input_iterators_tIbNS6_6detail15normal_iteratorINS6_10device_ptrIKyEEEESL_NS6_8equal_toIyEEEENSG_9not_fun_tINSD_8identityEEEEENSD_19counting_iterator_tIlEES8_S8_S8_S8_S8_S8_S8_S8_EEEEPS9_S9_NSD_9__find_if7functorIS9_EEEE10hipError_tPvRmT1_T2_T3_mT4_P12ihipStream_tbEUlT_E1_NS1_11comp_targetILNS1_3genE4ELNS1_11target_archE910ELNS1_3gpuE8ELNS1_3repE0EEENS1_30default_config_static_selectorELNS0_4arch9wavefront6targetE0EEEvS14_,comdat
	.protected	_ZN7rocprim17ROCPRIM_400000_NS6detail17trampoline_kernelINS0_14default_configENS1_22reduce_config_selectorIN6thrust23THRUST_200600_302600_NS5tupleIblNS6_9null_typeES8_S8_S8_S8_S8_S8_S8_EEEEZNS1_11reduce_implILb1ES3_NS6_12zip_iteratorINS7_INS6_11hip_rocprim26transform_input_iterator_tIbNSD_35transform_pair_of_input_iterators_tIbNS6_6detail15normal_iteratorINS6_10device_ptrIKyEEEESL_NS6_8equal_toIyEEEENSG_9not_fun_tINSD_8identityEEEEENSD_19counting_iterator_tIlEES8_S8_S8_S8_S8_S8_S8_S8_EEEEPS9_S9_NSD_9__find_if7functorIS9_EEEE10hipError_tPvRmT1_T2_T3_mT4_P12ihipStream_tbEUlT_E1_NS1_11comp_targetILNS1_3genE4ELNS1_11target_archE910ELNS1_3gpuE8ELNS1_3repE0EEENS1_30default_config_static_selectorELNS0_4arch9wavefront6targetE0EEEvS14_ ; -- Begin function _ZN7rocprim17ROCPRIM_400000_NS6detail17trampoline_kernelINS0_14default_configENS1_22reduce_config_selectorIN6thrust23THRUST_200600_302600_NS5tupleIblNS6_9null_typeES8_S8_S8_S8_S8_S8_S8_EEEEZNS1_11reduce_implILb1ES3_NS6_12zip_iteratorINS7_INS6_11hip_rocprim26transform_input_iterator_tIbNSD_35transform_pair_of_input_iterators_tIbNS6_6detail15normal_iteratorINS6_10device_ptrIKyEEEESL_NS6_8equal_toIyEEEENSG_9not_fun_tINSD_8identityEEEEENSD_19counting_iterator_tIlEES8_S8_S8_S8_S8_S8_S8_S8_EEEEPS9_S9_NSD_9__find_if7functorIS9_EEEE10hipError_tPvRmT1_T2_T3_mT4_P12ihipStream_tbEUlT_E1_NS1_11comp_targetILNS1_3genE4ELNS1_11target_archE910ELNS1_3gpuE8ELNS1_3repE0EEENS1_30default_config_static_selectorELNS0_4arch9wavefront6targetE0EEEvS14_
	.globl	_ZN7rocprim17ROCPRIM_400000_NS6detail17trampoline_kernelINS0_14default_configENS1_22reduce_config_selectorIN6thrust23THRUST_200600_302600_NS5tupleIblNS6_9null_typeES8_S8_S8_S8_S8_S8_S8_EEEEZNS1_11reduce_implILb1ES3_NS6_12zip_iteratorINS7_INS6_11hip_rocprim26transform_input_iterator_tIbNSD_35transform_pair_of_input_iterators_tIbNS6_6detail15normal_iteratorINS6_10device_ptrIKyEEEESL_NS6_8equal_toIyEEEENSG_9not_fun_tINSD_8identityEEEEENSD_19counting_iterator_tIlEES8_S8_S8_S8_S8_S8_S8_S8_EEEEPS9_S9_NSD_9__find_if7functorIS9_EEEE10hipError_tPvRmT1_T2_T3_mT4_P12ihipStream_tbEUlT_E1_NS1_11comp_targetILNS1_3genE4ELNS1_11target_archE910ELNS1_3gpuE8ELNS1_3repE0EEENS1_30default_config_static_selectorELNS0_4arch9wavefront6targetE0EEEvS14_
	.p2align	8
	.type	_ZN7rocprim17ROCPRIM_400000_NS6detail17trampoline_kernelINS0_14default_configENS1_22reduce_config_selectorIN6thrust23THRUST_200600_302600_NS5tupleIblNS6_9null_typeES8_S8_S8_S8_S8_S8_S8_EEEEZNS1_11reduce_implILb1ES3_NS6_12zip_iteratorINS7_INS6_11hip_rocprim26transform_input_iterator_tIbNSD_35transform_pair_of_input_iterators_tIbNS6_6detail15normal_iteratorINS6_10device_ptrIKyEEEESL_NS6_8equal_toIyEEEENSG_9not_fun_tINSD_8identityEEEEENSD_19counting_iterator_tIlEES8_S8_S8_S8_S8_S8_S8_S8_EEEEPS9_S9_NSD_9__find_if7functorIS9_EEEE10hipError_tPvRmT1_T2_T3_mT4_P12ihipStream_tbEUlT_E1_NS1_11comp_targetILNS1_3genE4ELNS1_11target_archE910ELNS1_3gpuE8ELNS1_3repE0EEENS1_30default_config_static_selectorELNS0_4arch9wavefront6targetE0EEEvS14_,@function
_ZN7rocprim17ROCPRIM_400000_NS6detail17trampoline_kernelINS0_14default_configENS1_22reduce_config_selectorIN6thrust23THRUST_200600_302600_NS5tupleIblNS6_9null_typeES8_S8_S8_S8_S8_S8_S8_EEEEZNS1_11reduce_implILb1ES3_NS6_12zip_iteratorINS7_INS6_11hip_rocprim26transform_input_iterator_tIbNSD_35transform_pair_of_input_iterators_tIbNS6_6detail15normal_iteratorINS6_10device_ptrIKyEEEESL_NS6_8equal_toIyEEEENSG_9not_fun_tINSD_8identityEEEEENSD_19counting_iterator_tIlEES8_S8_S8_S8_S8_S8_S8_S8_EEEEPS9_S9_NSD_9__find_if7functorIS9_EEEE10hipError_tPvRmT1_T2_T3_mT4_P12ihipStream_tbEUlT_E1_NS1_11comp_targetILNS1_3genE4ELNS1_11target_archE910ELNS1_3gpuE8ELNS1_3repE0EEENS1_30default_config_static_selectorELNS0_4arch9wavefront6targetE0EEEvS14_: ; @_ZN7rocprim17ROCPRIM_400000_NS6detail17trampoline_kernelINS0_14default_configENS1_22reduce_config_selectorIN6thrust23THRUST_200600_302600_NS5tupleIblNS6_9null_typeES8_S8_S8_S8_S8_S8_S8_EEEEZNS1_11reduce_implILb1ES3_NS6_12zip_iteratorINS7_INS6_11hip_rocprim26transform_input_iterator_tIbNSD_35transform_pair_of_input_iterators_tIbNS6_6detail15normal_iteratorINS6_10device_ptrIKyEEEESL_NS6_8equal_toIyEEEENSG_9not_fun_tINSD_8identityEEEEENSD_19counting_iterator_tIlEES8_S8_S8_S8_S8_S8_S8_S8_EEEEPS9_S9_NSD_9__find_if7functorIS9_EEEE10hipError_tPvRmT1_T2_T3_mT4_P12ihipStream_tbEUlT_E1_NS1_11comp_targetILNS1_3genE4ELNS1_11target_archE910ELNS1_3gpuE8ELNS1_3repE0EEENS1_30default_config_static_selectorELNS0_4arch9wavefront6targetE0EEEvS14_
; %bb.0:
	.section	.rodata,"a",@progbits
	.p2align	6, 0x0
	.amdhsa_kernel _ZN7rocprim17ROCPRIM_400000_NS6detail17trampoline_kernelINS0_14default_configENS1_22reduce_config_selectorIN6thrust23THRUST_200600_302600_NS5tupleIblNS6_9null_typeES8_S8_S8_S8_S8_S8_S8_EEEEZNS1_11reduce_implILb1ES3_NS6_12zip_iteratorINS7_INS6_11hip_rocprim26transform_input_iterator_tIbNSD_35transform_pair_of_input_iterators_tIbNS6_6detail15normal_iteratorINS6_10device_ptrIKyEEEESL_NS6_8equal_toIyEEEENSG_9not_fun_tINSD_8identityEEEEENSD_19counting_iterator_tIlEES8_S8_S8_S8_S8_S8_S8_S8_EEEEPS9_S9_NSD_9__find_if7functorIS9_EEEE10hipError_tPvRmT1_T2_T3_mT4_P12ihipStream_tbEUlT_E1_NS1_11comp_targetILNS1_3genE4ELNS1_11target_archE910ELNS1_3gpuE8ELNS1_3repE0EEENS1_30default_config_static_selectorELNS0_4arch9wavefront6targetE0EEEvS14_
		.amdhsa_group_segment_fixed_size 0
		.amdhsa_private_segment_fixed_size 0
		.amdhsa_kernarg_size 88
		.amdhsa_user_sgpr_count 15
		.amdhsa_user_sgpr_dispatch_ptr 0
		.amdhsa_user_sgpr_queue_ptr 0
		.amdhsa_user_sgpr_kernarg_segment_ptr 1
		.amdhsa_user_sgpr_dispatch_id 0
		.amdhsa_user_sgpr_private_segment_size 0
		.amdhsa_wavefront_size32 1
		.amdhsa_uses_dynamic_stack 0
		.amdhsa_enable_private_segment 0
		.amdhsa_system_sgpr_workgroup_id_x 1
		.amdhsa_system_sgpr_workgroup_id_y 0
		.amdhsa_system_sgpr_workgroup_id_z 0
		.amdhsa_system_sgpr_workgroup_info 0
		.amdhsa_system_vgpr_workitem_id 0
		.amdhsa_next_free_vgpr 1
		.amdhsa_next_free_sgpr 1
		.amdhsa_reserve_vcc 0
		.amdhsa_float_round_mode_32 0
		.amdhsa_float_round_mode_16_64 0
		.amdhsa_float_denorm_mode_32 3
		.amdhsa_float_denorm_mode_16_64 3
		.amdhsa_dx10_clamp 1
		.amdhsa_ieee_mode 1
		.amdhsa_fp16_overflow 0
		.amdhsa_workgroup_processor_mode 1
		.amdhsa_memory_ordered 1
		.amdhsa_forward_progress 0
		.amdhsa_shared_vgpr_count 0
		.amdhsa_exception_fp_ieee_invalid_op 0
		.amdhsa_exception_fp_denorm_src 0
		.amdhsa_exception_fp_ieee_div_zero 0
		.amdhsa_exception_fp_ieee_overflow 0
		.amdhsa_exception_fp_ieee_underflow 0
		.amdhsa_exception_fp_ieee_inexact 0
		.amdhsa_exception_int_div_zero 0
	.end_amdhsa_kernel
	.section	.text._ZN7rocprim17ROCPRIM_400000_NS6detail17trampoline_kernelINS0_14default_configENS1_22reduce_config_selectorIN6thrust23THRUST_200600_302600_NS5tupleIblNS6_9null_typeES8_S8_S8_S8_S8_S8_S8_EEEEZNS1_11reduce_implILb1ES3_NS6_12zip_iteratorINS7_INS6_11hip_rocprim26transform_input_iterator_tIbNSD_35transform_pair_of_input_iterators_tIbNS6_6detail15normal_iteratorINS6_10device_ptrIKyEEEESL_NS6_8equal_toIyEEEENSG_9not_fun_tINSD_8identityEEEEENSD_19counting_iterator_tIlEES8_S8_S8_S8_S8_S8_S8_S8_EEEEPS9_S9_NSD_9__find_if7functorIS9_EEEE10hipError_tPvRmT1_T2_T3_mT4_P12ihipStream_tbEUlT_E1_NS1_11comp_targetILNS1_3genE4ELNS1_11target_archE910ELNS1_3gpuE8ELNS1_3repE0EEENS1_30default_config_static_selectorELNS0_4arch9wavefront6targetE0EEEvS14_,"axG",@progbits,_ZN7rocprim17ROCPRIM_400000_NS6detail17trampoline_kernelINS0_14default_configENS1_22reduce_config_selectorIN6thrust23THRUST_200600_302600_NS5tupleIblNS6_9null_typeES8_S8_S8_S8_S8_S8_S8_EEEEZNS1_11reduce_implILb1ES3_NS6_12zip_iteratorINS7_INS6_11hip_rocprim26transform_input_iterator_tIbNSD_35transform_pair_of_input_iterators_tIbNS6_6detail15normal_iteratorINS6_10device_ptrIKyEEEESL_NS6_8equal_toIyEEEENSG_9not_fun_tINSD_8identityEEEEENSD_19counting_iterator_tIlEES8_S8_S8_S8_S8_S8_S8_S8_EEEEPS9_S9_NSD_9__find_if7functorIS9_EEEE10hipError_tPvRmT1_T2_T3_mT4_P12ihipStream_tbEUlT_E1_NS1_11comp_targetILNS1_3genE4ELNS1_11target_archE910ELNS1_3gpuE8ELNS1_3repE0EEENS1_30default_config_static_selectorELNS0_4arch9wavefront6targetE0EEEvS14_,comdat
.Lfunc_end476:
	.size	_ZN7rocprim17ROCPRIM_400000_NS6detail17trampoline_kernelINS0_14default_configENS1_22reduce_config_selectorIN6thrust23THRUST_200600_302600_NS5tupleIblNS6_9null_typeES8_S8_S8_S8_S8_S8_S8_EEEEZNS1_11reduce_implILb1ES3_NS6_12zip_iteratorINS7_INS6_11hip_rocprim26transform_input_iterator_tIbNSD_35transform_pair_of_input_iterators_tIbNS6_6detail15normal_iteratorINS6_10device_ptrIKyEEEESL_NS6_8equal_toIyEEEENSG_9not_fun_tINSD_8identityEEEEENSD_19counting_iterator_tIlEES8_S8_S8_S8_S8_S8_S8_S8_EEEEPS9_S9_NSD_9__find_if7functorIS9_EEEE10hipError_tPvRmT1_T2_T3_mT4_P12ihipStream_tbEUlT_E1_NS1_11comp_targetILNS1_3genE4ELNS1_11target_archE910ELNS1_3gpuE8ELNS1_3repE0EEENS1_30default_config_static_selectorELNS0_4arch9wavefront6targetE0EEEvS14_, .Lfunc_end476-_ZN7rocprim17ROCPRIM_400000_NS6detail17trampoline_kernelINS0_14default_configENS1_22reduce_config_selectorIN6thrust23THRUST_200600_302600_NS5tupleIblNS6_9null_typeES8_S8_S8_S8_S8_S8_S8_EEEEZNS1_11reduce_implILb1ES3_NS6_12zip_iteratorINS7_INS6_11hip_rocprim26transform_input_iterator_tIbNSD_35transform_pair_of_input_iterators_tIbNS6_6detail15normal_iteratorINS6_10device_ptrIKyEEEESL_NS6_8equal_toIyEEEENSG_9not_fun_tINSD_8identityEEEEENSD_19counting_iterator_tIlEES8_S8_S8_S8_S8_S8_S8_S8_EEEEPS9_S9_NSD_9__find_if7functorIS9_EEEE10hipError_tPvRmT1_T2_T3_mT4_P12ihipStream_tbEUlT_E1_NS1_11comp_targetILNS1_3genE4ELNS1_11target_archE910ELNS1_3gpuE8ELNS1_3repE0EEENS1_30default_config_static_selectorELNS0_4arch9wavefront6targetE0EEEvS14_
                                        ; -- End function
	.section	.AMDGPU.csdata,"",@progbits
; Kernel info:
; codeLenInByte = 0
; NumSgprs: 0
; NumVgprs: 0
; ScratchSize: 0
; MemoryBound: 0
; FloatMode: 240
; IeeeMode: 1
; LDSByteSize: 0 bytes/workgroup (compile time only)
; SGPRBlocks: 0
; VGPRBlocks: 0
; NumSGPRsForWavesPerEU: 1
; NumVGPRsForWavesPerEU: 1
; Occupancy: 16
; WaveLimiterHint : 0
; COMPUTE_PGM_RSRC2:SCRATCH_EN: 0
; COMPUTE_PGM_RSRC2:USER_SGPR: 15
; COMPUTE_PGM_RSRC2:TRAP_HANDLER: 0
; COMPUTE_PGM_RSRC2:TGID_X_EN: 1
; COMPUTE_PGM_RSRC2:TGID_Y_EN: 0
; COMPUTE_PGM_RSRC2:TGID_Z_EN: 0
; COMPUTE_PGM_RSRC2:TIDIG_COMP_CNT: 0
	.section	.text._ZN7rocprim17ROCPRIM_400000_NS6detail17trampoline_kernelINS0_14default_configENS1_22reduce_config_selectorIN6thrust23THRUST_200600_302600_NS5tupleIblNS6_9null_typeES8_S8_S8_S8_S8_S8_S8_EEEEZNS1_11reduce_implILb1ES3_NS6_12zip_iteratorINS7_INS6_11hip_rocprim26transform_input_iterator_tIbNSD_35transform_pair_of_input_iterators_tIbNS6_6detail15normal_iteratorINS6_10device_ptrIKyEEEESL_NS6_8equal_toIyEEEENSG_9not_fun_tINSD_8identityEEEEENSD_19counting_iterator_tIlEES8_S8_S8_S8_S8_S8_S8_S8_EEEEPS9_S9_NSD_9__find_if7functorIS9_EEEE10hipError_tPvRmT1_T2_T3_mT4_P12ihipStream_tbEUlT_E1_NS1_11comp_targetILNS1_3genE3ELNS1_11target_archE908ELNS1_3gpuE7ELNS1_3repE0EEENS1_30default_config_static_selectorELNS0_4arch9wavefront6targetE0EEEvS14_,"axG",@progbits,_ZN7rocprim17ROCPRIM_400000_NS6detail17trampoline_kernelINS0_14default_configENS1_22reduce_config_selectorIN6thrust23THRUST_200600_302600_NS5tupleIblNS6_9null_typeES8_S8_S8_S8_S8_S8_S8_EEEEZNS1_11reduce_implILb1ES3_NS6_12zip_iteratorINS7_INS6_11hip_rocprim26transform_input_iterator_tIbNSD_35transform_pair_of_input_iterators_tIbNS6_6detail15normal_iteratorINS6_10device_ptrIKyEEEESL_NS6_8equal_toIyEEEENSG_9not_fun_tINSD_8identityEEEEENSD_19counting_iterator_tIlEES8_S8_S8_S8_S8_S8_S8_S8_EEEEPS9_S9_NSD_9__find_if7functorIS9_EEEE10hipError_tPvRmT1_T2_T3_mT4_P12ihipStream_tbEUlT_E1_NS1_11comp_targetILNS1_3genE3ELNS1_11target_archE908ELNS1_3gpuE7ELNS1_3repE0EEENS1_30default_config_static_selectorELNS0_4arch9wavefront6targetE0EEEvS14_,comdat
	.protected	_ZN7rocprim17ROCPRIM_400000_NS6detail17trampoline_kernelINS0_14default_configENS1_22reduce_config_selectorIN6thrust23THRUST_200600_302600_NS5tupleIblNS6_9null_typeES8_S8_S8_S8_S8_S8_S8_EEEEZNS1_11reduce_implILb1ES3_NS6_12zip_iteratorINS7_INS6_11hip_rocprim26transform_input_iterator_tIbNSD_35transform_pair_of_input_iterators_tIbNS6_6detail15normal_iteratorINS6_10device_ptrIKyEEEESL_NS6_8equal_toIyEEEENSG_9not_fun_tINSD_8identityEEEEENSD_19counting_iterator_tIlEES8_S8_S8_S8_S8_S8_S8_S8_EEEEPS9_S9_NSD_9__find_if7functorIS9_EEEE10hipError_tPvRmT1_T2_T3_mT4_P12ihipStream_tbEUlT_E1_NS1_11comp_targetILNS1_3genE3ELNS1_11target_archE908ELNS1_3gpuE7ELNS1_3repE0EEENS1_30default_config_static_selectorELNS0_4arch9wavefront6targetE0EEEvS14_ ; -- Begin function _ZN7rocprim17ROCPRIM_400000_NS6detail17trampoline_kernelINS0_14default_configENS1_22reduce_config_selectorIN6thrust23THRUST_200600_302600_NS5tupleIblNS6_9null_typeES8_S8_S8_S8_S8_S8_S8_EEEEZNS1_11reduce_implILb1ES3_NS6_12zip_iteratorINS7_INS6_11hip_rocprim26transform_input_iterator_tIbNSD_35transform_pair_of_input_iterators_tIbNS6_6detail15normal_iteratorINS6_10device_ptrIKyEEEESL_NS6_8equal_toIyEEEENSG_9not_fun_tINSD_8identityEEEEENSD_19counting_iterator_tIlEES8_S8_S8_S8_S8_S8_S8_S8_EEEEPS9_S9_NSD_9__find_if7functorIS9_EEEE10hipError_tPvRmT1_T2_T3_mT4_P12ihipStream_tbEUlT_E1_NS1_11comp_targetILNS1_3genE3ELNS1_11target_archE908ELNS1_3gpuE7ELNS1_3repE0EEENS1_30default_config_static_selectorELNS0_4arch9wavefront6targetE0EEEvS14_
	.globl	_ZN7rocprim17ROCPRIM_400000_NS6detail17trampoline_kernelINS0_14default_configENS1_22reduce_config_selectorIN6thrust23THRUST_200600_302600_NS5tupleIblNS6_9null_typeES8_S8_S8_S8_S8_S8_S8_EEEEZNS1_11reduce_implILb1ES3_NS6_12zip_iteratorINS7_INS6_11hip_rocprim26transform_input_iterator_tIbNSD_35transform_pair_of_input_iterators_tIbNS6_6detail15normal_iteratorINS6_10device_ptrIKyEEEESL_NS6_8equal_toIyEEEENSG_9not_fun_tINSD_8identityEEEEENSD_19counting_iterator_tIlEES8_S8_S8_S8_S8_S8_S8_S8_EEEEPS9_S9_NSD_9__find_if7functorIS9_EEEE10hipError_tPvRmT1_T2_T3_mT4_P12ihipStream_tbEUlT_E1_NS1_11comp_targetILNS1_3genE3ELNS1_11target_archE908ELNS1_3gpuE7ELNS1_3repE0EEENS1_30default_config_static_selectorELNS0_4arch9wavefront6targetE0EEEvS14_
	.p2align	8
	.type	_ZN7rocprim17ROCPRIM_400000_NS6detail17trampoline_kernelINS0_14default_configENS1_22reduce_config_selectorIN6thrust23THRUST_200600_302600_NS5tupleIblNS6_9null_typeES8_S8_S8_S8_S8_S8_S8_EEEEZNS1_11reduce_implILb1ES3_NS6_12zip_iteratorINS7_INS6_11hip_rocprim26transform_input_iterator_tIbNSD_35transform_pair_of_input_iterators_tIbNS6_6detail15normal_iteratorINS6_10device_ptrIKyEEEESL_NS6_8equal_toIyEEEENSG_9not_fun_tINSD_8identityEEEEENSD_19counting_iterator_tIlEES8_S8_S8_S8_S8_S8_S8_S8_EEEEPS9_S9_NSD_9__find_if7functorIS9_EEEE10hipError_tPvRmT1_T2_T3_mT4_P12ihipStream_tbEUlT_E1_NS1_11comp_targetILNS1_3genE3ELNS1_11target_archE908ELNS1_3gpuE7ELNS1_3repE0EEENS1_30default_config_static_selectorELNS0_4arch9wavefront6targetE0EEEvS14_,@function
_ZN7rocprim17ROCPRIM_400000_NS6detail17trampoline_kernelINS0_14default_configENS1_22reduce_config_selectorIN6thrust23THRUST_200600_302600_NS5tupleIblNS6_9null_typeES8_S8_S8_S8_S8_S8_S8_EEEEZNS1_11reduce_implILb1ES3_NS6_12zip_iteratorINS7_INS6_11hip_rocprim26transform_input_iterator_tIbNSD_35transform_pair_of_input_iterators_tIbNS6_6detail15normal_iteratorINS6_10device_ptrIKyEEEESL_NS6_8equal_toIyEEEENSG_9not_fun_tINSD_8identityEEEEENSD_19counting_iterator_tIlEES8_S8_S8_S8_S8_S8_S8_S8_EEEEPS9_S9_NSD_9__find_if7functorIS9_EEEE10hipError_tPvRmT1_T2_T3_mT4_P12ihipStream_tbEUlT_E1_NS1_11comp_targetILNS1_3genE3ELNS1_11target_archE908ELNS1_3gpuE7ELNS1_3repE0EEENS1_30default_config_static_selectorELNS0_4arch9wavefront6targetE0EEEvS14_: ; @_ZN7rocprim17ROCPRIM_400000_NS6detail17trampoline_kernelINS0_14default_configENS1_22reduce_config_selectorIN6thrust23THRUST_200600_302600_NS5tupleIblNS6_9null_typeES8_S8_S8_S8_S8_S8_S8_EEEEZNS1_11reduce_implILb1ES3_NS6_12zip_iteratorINS7_INS6_11hip_rocprim26transform_input_iterator_tIbNSD_35transform_pair_of_input_iterators_tIbNS6_6detail15normal_iteratorINS6_10device_ptrIKyEEEESL_NS6_8equal_toIyEEEENSG_9not_fun_tINSD_8identityEEEEENSD_19counting_iterator_tIlEES8_S8_S8_S8_S8_S8_S8_S8_EEEEPS9_S9_NSD_9__find_if7functorIS9_EEEE10hipError_tPvRmT1_T2_T3_mT4_P12ihipStream_tbEUlT_E1_NS1_11comp_targetILNS1_3genE3ELNS1_11target_archE908ELNS1_3gpuE7ELNS1_3repE0EEENS1_30default_config_static_selectorELNS0_4arch9wavefront6targetE0EEEvS14_
; %bb.0:
	.section	.rodata,"a",@progbits
	.p2align	6, 0x0
	.amdhsa_kernel _ZN7rocprim17ROCPRIM_400000_NS6detail17trampoline_kernelINS0_14default_configENS1_22reduce_config_selectorIN6thrust23THRUST_200600_302600_NS5tupleIblNS6_9null_typeES8_S8_S8_S8_S8_S8_S8_EEEEZNS1_11reduce_implILb1ES3_NS6_12zip_iteratorINS7_INS6_11hip_rocprim26transform_input_iterator_tIbNSD_35transform_pair_of_input_iterators_tIbNS6_6detail15normal_iteratorINS6_10device_ptrIKyEEEESL_NS6_8equal_toIyEEEENSG_9not_fun_tINSD_8identityEEEEENSD_19counting_iterator_tIlEES8_S8_S8_S8_S8_S8_S8_S8_EEEEPS9_S9_NSD_9__find_if7functorIS9_EEEE10hipError_tPvRmT1_T2_T3_mT4_P12ihipStream_tbEUlT_E1_NS1_11comp_targetILNS1_3genE3ELNS1_11target_archE908ELNS1_3gpuE7ELNS1_3repE0EEENS1_30default_config_static_selectorELNS0_4arch9wavefront6targetE0EEEvS14_
		.amdhsa_group_segment_fixed_size 0
		.amdhsa_private_segment_fixed_size 0
		.amdhsa_kernarg_size 88
		.amdhsa_user_sgpr_count 15
		.amdhsa_user_sgpr_dispatch_ptr 0
		.amdhsa_user_sgpr_queue_ptr 0
		.amdhsa_user_sgpr_kernarg_segment_ptr 1
		.amdhsa_user_sgpr_dispatch_id 0
		.amdhsa_user_sgpr_private_segment_size 0
		.amdhsa_wavefront_size32 1
		.amdhsa_uses_dynamic_stack 0
		.amdhsa_enable_private_segment 0
		.amdhsa_system_sgpr_workgroup_id_x 1
		.amdhsa_system_sgpr_workgroup_id_y 0
		.amdhsa_system_sgpr_workgroup_id_z 0
		.amdhsa_system_sgpr_workgroup_info 0
		.amdhsa_system_vgpr_workitem_id 0
		.amdhsa_next_free_vgpr 1
		.amdhsa_next_free_sgpr 1
		.amdhsa_reserve_vcc 0
		.amdhsa_float_round_mode_32 0
		.amdhsa_float_round_mode_16_64 0
		.amdhsa_float_denorm_mode_32 3
		.amdhsa_float_denorm_mode_16_64 3
		.amdhsa_dx10_clamp 1
		.amdhsa_ieee_mode 1
		.amdhsa_fp16_overflow 0
		.amdhsa_workgroup_processor_mode 1
		.amdhsa_memory_ordered 1
		.amdhsa_forward_progress 0
		.amdhsa_shared_vgpr_count 0
		.amdhsa_exception_fp_ieee_invalid_op 0
		.amdhsa_exception_fp_denorm_src 0
		.amdhsa_exception_fp_ieee_div_zero 0
		.amdhsa_exception_fp_ieee_overflow 0
		.amdhsa_exception_fp_ieee_underflow 0
		.amdhsa_exception_fp_ieee_inexact 0
		.amdhsa_exception_int_div_zero 0
	.end_amdhsa_kernel
	.section	.text._ZN7rocprim17ROCPRIM_400000_NS6detail17trampoline_kernelINS0_14default_configENS1_22reduce_config_selectorIN6thrust23THRUST_200600_302600_NS5tupleIblNS6_9null_typeES8_S8_S8_S8_S8_S8_S8_EEEEZNS1_11reduce_implILb1ES3_NS6_12zip_iteratorINS7_INS6_11hip_rocprim26transform_input_iterator_tIbNSD_35transform_pair_of_input_iterators_tIbNS6_6detail15normal_iteratorINS6_10device_ptrIKyEEEESL_NS6_8equal_toIyEEEENSG_9not_fun_tINSD_8identityEEEEENSD_19counting_iterator_tIlEES8_S8_S8_S8_S8_S8_S8_S8_EEEEPS9_S9_NSD_9__find_if7functorIS9_EEEE10hipError_tPvRmT1_T2_T3_mT4_P12ihipStream_tbEUlT_E1_NS1_11comp_targetILNS1_3genE3ELNS1_11target_archE908ELNS1_3gpuE7ELNS1_3repE0EEENS1_30default_config_static_selectorELNS0_4arch9wavefront6targetE0EEEvS14_,"axG",@progbits,_ZN7rocprim17ROCPRIM_400000_NS6detail17trampoline_kernelINS0_14default_configENS1_22reduce_config_selectorIN6thrust23THRUST_200600_302600_NS5tupleIblNS6_9null_typeES8_S8_S8_S8_S8_S8_S8_EEEEZNS1_11reduce_implILb1ES3_NS6_12zip_iteratorINS7_INS6_11hip_rocprim26transform_input_iterator_tIbNSD_35transform_pair_of_input_iterators_tIbNS6_6detail15normal_iteratorINS6_10device_ptrIKyEEEESL_NS6_8equal_toIyEEEENSG_9not_fun_tINSD_8identityEEEEENSD_19counting_iterator_tIlEES8_S8_S8_S8_S8_S8_S8_S8_EEEEPS9_S9_NSD_9__find_if7functorIS9_EEEE10hipError_tPvRmT1_T2_T3_mT4_P12ihipStream_tbEUlT_E1_NS1_11comp_targetILNS1_3genE3ELNS1_11target_archE908ELNS1_3gpuE7ELNS1_3repE0EEENS1_30default_config_static_selectorELNS0_4arch9wavefront6targetE0EEEvS14_,comdat
.Lfunc_end477:
	.size	_ZN7rocprim17ROCPRIM_400000_NS6detail17trampoline_kernelINS0_14default_configENS1_22reduce_config_selectorIN6thrust23THRUST_200600_302600_NS5tupleIblNS6_9null_typeES8_S8_S8_S8_S8_S8_S8_EEEEZNS1_11reduce_implILb1ES3_NS6_12zip_iteratorINS7_INS6_11hip_rocprim26transform_input_iterator_tIbNSD_35transform_pair_of_input_iterators_tIbNS6_6detail15normal_iteratorINS6_10device_ptrIKyEEEESL_NS6_8equal_toIyEEEENSG_9not_fun_tINSD_8identityEEEEENSD_19counting_iterator_tIlEES8_S8_S8_S8_S8_S8_S8_S8_EEEEPS9_S9_NSD_9__find_if7functorIS9_EEEE10hipError_tPvRmT1_T2_T3_mT4_P12ihipStream_tbEUlT_E1_NS1_11comp_targetILNS1_3genE3ELNS1_11target_archE908ELNS1_3gpuE7ELNS1_3repE0EEENS1_30default_config_static_selectorELNS0_4arch9wavefront6targetE0EEEvS14_, .Lfunc_end477-_ZN7rocprim17ROCPRIM_400000_NS6detail17trampoline_kernelINS0_14default_configENS1_22reduce_config_selectorIN6thrust23THRUST_200600_302600_NS5tupleIblNS6_9null_typeES8_S8_S8_S8_S8_S8_S8_EEEEZNS1_11reduce_implILb1ES3_NS6_12zip_iteratorINS7_INS6_11hip_rocprim26transform_input_iterator_tIbNSD_35transform_pair_of_input_iterators_tIbNS6_6detail15normal_iteratorINS6_10device_ptrIKyEEEESL_NS6_8equal_toIyEEEENSG_9not_fun_tINSD_8identityEEEEENSD_19counting_iterator_tIlEES8_S8_S8_S8_S8_S8_S8_S8_EEEEPS9_S9_NSD_9__find_if7functorIS9_EEEE10hipError_tPvRmT1_T2_T3_mT4_P12ihipStream_tbEUlT_E1_NS1_11comp_targetILNS1_3genE3ELNS1_11target_archE908ELNS1_3gpuE7ELNS1_3repE0EEENS1_30default_config_static_selectorELNS0_4arch9wavefront6targetE0EEEvS14_
                                        ; -- End function
	.section	.AMDGPU.csdata,"",@progbits
; Kernel info:
; codeLenInByte = 0
; NumSgprs: 0
; NumVgprs: 0
; ScratchSize: 0
; MemoryBound: 0
; FloatMode: 240
; IeeeMode: 1
; LDSByteSize: 0 bytes/workgroup (compile time only)
; SGPRBlocks: 0
; VGPRBlocks: 0
; NumSGPRsForWavesPerEU: 1
; NumVGPRsForWavesPerEU: 1
; Occupancy: 16
; WaveLimiterHint : 0
; COMPUTE_PGM_RSRC2:SCRATCH_EN: 0
; COMPUTE_PGM_RSRC2:USER_SGPR: 15
; COMPUTE_PGM_RSRC2:TRAP_HANDLER: 0
; COMPUTE_PGM_RSRC2:TGID_X_EN: 1
; COMPUTE_PGM_RSRC2:TGID_Y_EN: 0
; COMPUTE_PGM_RSRC2:TGID_Z_EN: 0
; COMPUTE_PGM_RSRC2:TIDIG_COMP_CNT: 0
	.section	.text._ZN7rocprim17ROCPRIM_400000_NS6detail17trampoline_kernelINS0_14default_configENS1_22reduce_config_selectorIN6thrust23THRUST_200600_302600_NS5tupleIblNS6_9null_typeES8_S8_S8_S8_S8_S8_S8_EEEEZNS1_11reduce_implILb1ES3_NS6_12zip_iteratorINS7_INS6_11hip_rocprim26transform_input_iterator_tIbNSD_35transform_pair_of_input_iterators_tIbNS6_6detail15normal_iteratorINS6_10device_ptrIKyEEEESL_NS6_8equal_toIyEEEENSG_9not_fun_tINSD_8identityEEEEENSD_19counting_iterator_tIlEES8_S8_S8_S8_S8_S8_S8_S8_EEEEPS9_S9_NSD_9__find_if7functorIS9_EEEE10hipError_tPvRmT1_T2_T3_mT4_P12ihipStream_tbEUlT_E1_NS1_11comp_targetILNS1_3genE2ELNS1_11target_archE906ELNS1_3gpuE6ELNS1_3repE0EEENS1_30default_config_static_selectorELNS0_4arch9wavefront6targetE0EEEvS14_,"axG",@progbits,_ZN7rocprim17ROCPRIM_400000_NS6detail17trampoline_kernelINS0_14default_configENS1_22reduce_config_selectorIN6thrust23THRUST_200600_302600_NS5tupleIblNS6_9null_typeES8_S8_S8_S8_S8_S8_S8_EEEEZNS1_11reduce_implILb1ES3_NS6_12zip_iteratorINS7_INS6_11hip_rocprim26transform_input_iterator_tIbNSD_35transform_pair_of_input_iterators_tIbNS6_6detail15normal_iteratorINS6_10device_ptrIKyEEEESL_NS6_8equal_toIyEEEENSG_9not_fun_tINSD_8identityEEEEENSD_19counting_iterator_tIlEES8_S8_S8_S8_S8_S8_S8_S8_EEEEPS9_S9_NSD_9__find_if7functorIS9_EEEE10hipError_tPvRmT1_T2_T3_mT4_P12ihipStream_tbEUlT_E1_NS1_11comp_targetILNS1_3genE2ELNS1_11target_archE906ELNS1_3gpuE6ELNS1_3repE0EEENS1_30default_config_static_selectorELNS0_4arch9wavefront6targetE0EEEvS14_,comdat
	.protected	_ZN7rocprim17ROCPRIM_400000_NS6detail17trampoline_kernelINS0_14default_configENS1_22reduce_config_selectorIN6thrust23THRUST_200600_302600_NS5tupleIblNS6_9null_typeES8_S8_S8_S8_S8_S8_S8_EEEEZNS1_11reduce_implILb1ES3_NS6_12zip_iteratorINS7_INS6_11hip_rocprim26transform_input_iterator_tIbNSD_35transform_pair_of_input_iterators_tIbNS6_6detail15normal_iteratorINS6_10device_ptrIKyEEEESL_NS6_8equal_toIyEEEENSG_9not_fun_tINSD_8identityEEEEENSD_19counting_iterator_tIlEES8_S8_S8_S8_S8_S8_S8_S8_EEEEPS9_S9_NSD_9__find_if7functorIS9_EEEE10hipError_tPvRmT1_T2_T3_mT4_P12ihipStream_tbEUlT_E1_NS1_11comp_targetILNS1_3genE2ELNS1_11target_archE906ELNS1_3gpuE6ELNS1_3repE0EEENS1_30default_config_static_selectorELNS0_4arch9wavefront6targetE0EEEvS14_ ; -- Begin function _ZN7rocprim17ROCPRIM_400000_NS6detail17trampoline_kernelINS0_14default_configENS1_22reduce_config_selectorIN6thrust23THRUST_200600_302600_NS5tupleIblNS6_9null_typeES8_S8_S8_S8_S8_S8_S8_EEEEZNS1_11reduce_implILb1ES3_NS6_12zip_iteratorINS7_INS6_11hip_rocprim26transform_input_iterator_tIbNSD_35transform_pair_of_input_iterators_tIbNS6_6detail15normal_iteratorINS6_10device_ptrIKyEEEESL_NS6_8equal_toIyEEEENSG_9not_fun_tINSD_8identityEEEEENSD_19counting_iterator_tIlEES8_S8_S8_S8_S8_S8_S8_S8_EEEEPS9_S9_NSD_9__find_if7functorIS9_EEEE10hipError_tPvRmT1_T2_T3_mT4_P12ihipStream_tbEUlT_E1_NS1_11comp_targetILNS1_3genE2ELNS1_11target_archE906ELNS1_3gpuE6ELNS1_3repE0EEENS1_30default_config_static_selectorELNS0_4arch9wavefront6targetE0EEEvS14_
	.globl	_ZN7rocprim17ROCPRIM_400000_NS6detail17trampoline_kernelINS0_14default_configENS1_22reduce_config_selectorIN6thrust23THRUST_200600_302600_NS5tupleIblNS6_9null_typeES8_S8_S8_S8_S8_S8_S8_EEEEZNS1_11reduce_implILb1ES3_NS6_12zip_iteratorINS7_INS6_11hip_rocprim26transform_input_iterator_tIbNSD_35transform_pair_of_input_iterators_tIbNS6_6detail15normal_iteratorINS6_10device_ptrIKyEEEESL_NS6_8equal_toIyEEEENSG_9not_fun_tINSD_8identityEEEEENSD_19counting_iterator_tIlEES8_S8_S8_S8_S8_S8_S8_S8_EEEEPS9_S9_NSD_9__find_if7functorIS9_EEEE10hipError_tPvRmT1_T2_T3_mT4_P12ihipStream_tbEUlT_E1_NS1_11comp_targetILNS1_3genE2ELNS1_11target_archE906ELNS1_3gpuE6ELNS1_3repE0EEENS1_30default_config_static_selectorELNS0_4arch9wavefront6targetE0EEEvS14_
	.p2align	8
	.type	_ZN7rocprim17ROCPRIM_400000_NS6detail17trampoline_kernelINS0_14default_configENS1_22reduce_config_selectorIN6thrust23THRUST_200600_302600_NS5tupleIblNS6_9null_typeES8_S8_S8_S8_S8_S8_S8_EEEEZNS1_11reduce_implILb1ES3_NS6_12zip_iteratorINS7_INS6_11hip_rocprim26transform_input_iterator_tIbNSD_35transform_pair_of_input_iterators_tIbNS6_6detail15normal_iteratorINS6_10device_ptrIKyEEEESL_NS6_8equal_toIyEEEENSG_9not_fun_tINSD_8identityEEEEENSD_19counting_iterator_tIlEES8_S8_S8_S8_S8_S8_S8_S8_EEEEPS9_S9_NSD_9__find_if7functorIS9_EEEE10hipError_tPvRmT1_T2_T3_mT4_P12ihipStream_tbEUlT_E1_NS1_11comp_targetILNS1_3genE2ELNS1_11target_archE906ELNS1_3gpuE6ELNS1_3repE0EEENS1_30default_config_static_selectorELNS0_4arch9wavefront6targetE0EEEvS14_,@function
_ZN7rocprim17ROCPRIM_400000_NS6detail17trampoline_kernelINS0_14default_configENS1_22reduce_config_selectorIN6thrust23THRUST_200600_302600_NS5tupleIblNS6_9null_typeES8_S8_S8_S8_S8_S8_S8_EEEEZNS1_11reduce_implILb1ES3_NS6_12zip_iteratorINS7_INS6_11hip_rocprim26transform_input_iterator_tIbNSD_35transform_pair_of_input_iterators_tIbNS6_6detail15normal_iteratorINS6_10device_ptrIKyEEEESL_NS6_8equal_toIyEEEENSG_9not_fun_tINSD_8identityEEEEENSD_19counting_iterator_tIlEES8_S8_S8_S8_S8_S8_S8_S8_EEEEPS9_S9_NSD_9__find_if7functorIS9_EEEE10hipError_tPvRmT1_T2_T3_mT4_P12ihipStream_tbEUlT_E1_NS1_11comp_targetILNS1_3genE2ELNS1_11target_archE906ELNS1_3gpuE6ELNS1_3repE0EEENS1_30default_config_static_selectorELNS0_4arch9wavefront6targetE0EEEvS14_: ; @_ZN7rocprim17ROCPRIM_400000_NS6detail17trampoline_kernelINS0_14default_configENS1_22reduce_config_selectorIN6thrust23THRUST_200600_302600_NS5tupleIblNS6_9null_typeES8_S8_S8_S8_S8_S8_S8_EEEEZNS1_11reduce_implILb1ES3_NS6_12zip_iteratorINS7_INS6_11hip_rocprim26transform_input_iterator_tIbNSD_35transform_pair_of_input_iterators_tIbNS6_6detail15normal_iteratorINS6_10device_ptrIKyEEEESL_NS6_8equal_toIyEEEENSG_9not_fun_tINSD_8identityEEEEENSD_19counting_iterator_tIlEES8_S8_S8_S8_S8_S8_S8_S8_EEEEPS9_S9_NSD_9__find_if7functorIS9_EEEE10hipError_tPvRmT1_T2_T3_mT4_P12ihipStream_tbEUlT_E1_NS1_11comp_targetILNS1_3genE2ELNS1_11target_archE906ELNS1_3gpuE6ELNS1_3repE0EEENS1_30default_config_static_selectorELNS0_4arch9wavefront6targetE0EEEvS14_
; %bb.0:
	.section	.rodata,"a",@progbits
	.p2align	6, 0x0
	.amdhsa_kernel _ZN7rocprim17ROCPRIM_400000_NS6detail17trampoline_kernelINS0_14default_configENS1_22reduce_config_selectorIN6thrust23THRUST_200600_302600_NS5tupleIblNS6_9null_typeES8_S8_S8_S8_S8_S8_S8_EEEEZNS1_11reduce_implILb1ES3_NS6_12zip_iteratorINS7_INS6_11hip_rocprim26transform_input_iterator_tIbNSD_35transform_pair_of_input_iterators_tIbNS6_6detail15normal_iteratorINS6_10device_ptrIKyEEEESL_NS6_8equal_toIyEEEENSG_9not_fun_tINSD_8identityEEEEENSD_19counting_iterator_tIlEES8_S8_S8_S8_S8_S8_S8_S8_EEEEPS9_S9_NSD_9__find_if7functorIS9_EEEE10hipError_tPvRmT1_T2_T3_mT4_P12ihipStream_tbEUlT_E1_NS1_11comp_targetILNS1_3genE2ELNS1_11target_archE906ELNS1_3gpuE6ELNS1_3repE0EEENS1_30default_config_static_selectorELNS0_4arch9wavefront6targetE0EEEvS14_
		.amdhsa_group_segment_fixed_size 0
		.amdhsa_private_segment_fixed_size 0
		.amdhsa_kernarg_size 88
		.amdhsa_user_sgpr_count 15
		.amdhsa_user_sgpr_dispatch_ptr 0
		.amdhsa_user_sgpr_queue_ptr 0
		.amdhsa_user_sgpr_kernarg_segment_ptr 1
		.amdhsa_user_sgpr_dispatch_id 0
		.amdhsa_user_sgpr_private_segment_size 0
		.amdhsa_wavefront_size32 1
		.amdhsa_uses_dynamic_stack 0
		.amdhsa_enable_private_segment 0
		.amdhsa_system_sgpr_workgroup_id_x 1
		.amdhsa_system_sgpr_workgroup_id_y 0
		.amdhsa_system_sgpr_workgroup_id_z 0
		.amdhsa_system_sgpr_workgroup_info 0
		.amdhsa_system_vgpr_workitem_id 0
		.amdhsa_next_free_vgpr 1
		.amdhsa_next_free_sgpr 1
		.amdhsa_reserve_vcc 0
		.amdhsa_float_round_mode_32 0
		.amdhsa_float_round_mode_16_64 0
		.amdhsa_float_denorm_mode_32 3
		.amdhsa_float_denorm_mode_16_64 3
		.amdhsa_dx10_clamp 1
		.amdhsa_ieee_mode 1
		.amdhsa_fp16_overflow 0
		.amdhsa_workgroup_processor_mode 1
		.amdhsa_memory_ordered 1
		.amdhsa_forward_progress 0
		.amdhsa_shared_vgpr_count 0
		.amdhsa_exception_fp_ieee_invalid_op 0
		.amdhsa_exception_fp_denorm_src 0
		.amdhsa_exception_fp_ieee_div_zero 0
		.amdhsa_exception_fp_ieee_overflow 0
		.amdhsa_exception_fp_ieee_underflow 0
		.amdhsa_exception_fp_ieee_inexact 0
		.amdhsa_exception_int_div_zero 0
	.end_amdhsa_kernel
	.section	.text._ZN7rocprim17ROCPRIM_400000_NS6detail17trampoline_kernelINS0_14default_configENS1_22reduce_config_selectorIN6thrust23THRUST_200600_302600_NS5tupleIblNS6_9null_typeES8_S8_S8_S8_S8_S8_S8_EEEEZNS1_11reduce_implILb1ES3_NS6_12zip_iteratorINS7_INS6_11hip_rocprim26transform_input_iterator_tIbNSD_35transform_pair_of_input_iterators_tIbNS6_6detail15normal_iteratorINS6_10device_ptrIKyEEEESL_NS6_8equal_toIyEEEENSG_9not_fun_tINSD_8identityEEEEENSD_19counting_iterator_tIlEES8_S8_S8_S8_S8_S8_S8_S8_EEEEPS9_S9_NSD_9__find_if7functorIS9_EEEE10hipError_tPvRmT1_T2_T3_mT4_P12ihipStream_tbEUlT_E1_NS1_11comp_targetILNS1_3genE2ELNS1_11target_archE906ELNS1_3gpuE6ELNS1_3repE0EEENS1_30default_config_static_selectorELNS0_4arch9wavefront6targetE0EEEvS14_,"axG",@progbits,_ZN7rocprim17ROCPRIM_400000_NS6detail17trampoline_kernelINS0_14default_configENS1_22reduce_config_selectorIN6thrust23THRUST_200600_302600_NS5tupleIblNS6_9null_typeES8_S8_S8_S8_S8_S8_S8_EEEEZNS1_11reduce_implILb1ES3_NS6_12zip_iteratorINS7_INS6_11hip_rocprim26transform_input_iterator_tIbNSD_35transform_pair_of_input_iterators_tIbNS6_6detail15normal_iteratorINS6_10device_ptrIKyEEEESL_NS6_8equal_toIyEEEENSG_9not_fun_tINSD_8identityEEEEENSD_19counting_iterator_tIlEES8_S8_S8_S8_S8_S8_S8_S8_EEEEPS9_S9_NSD_9__find_if7functorIS9_EEEE10hipError_tPvRmT1_T2_T3_mT4_P12ihipStream_tbEUlT_E1_NS1_11comp_targetILNS1_3genE2ELNS1_11target_archE906ELNS1_3gpuE6ELNS1_3repE0EEENS1_30default_config_static_selectorELNS0_4arch9wavefront6targetE0EEEvS14_,comdat
.Lfunc_end478:
	.size	_ZN7rocprim17ROCPRIM_400000_NS6detail17trampoline_kernelINS0_14default_configENS1_22reduce_config_selectorIN6thrust23THRUST_200600_302600_NS5tupleIblNS6_9null_typeES8_S8_S8_S8_S8_S8_S8_EEEEZNS1_11reduce_implILb1ES3_NS6_12zip_iteratorINS7_INS6_11hip_rocprim26transform_input_iterator_tIbNSD_35transform_pair_of_input_iterators_tIbNS6_6detail15normal_iteratorINS6_10device_ptrIKyEEEESL_NS6_8equal_toIyEEEENSG_9not_fun_tINSD_8identityEEEEENSD_19counting_iterator_tIlEES8_S8_S8_S8_S8_S8_S8_S8_EEEEPS9_S9_NSD_9__find_if7functorIS9_EEEE10hipError_tPvRmT1_T2_T3_mT4_P12ihipStream_tbEUlT_E1_NS1_11comp_targetILNS1_3genE2ELNS1_11target_archE906ELNS1_3gpuE6ELNS1_3repE0EEENS1_30default_config_static_selectorELNS0_4arch9wavefront6targetE0EEEvS14_, .Lfunc_end478-_ZN7rocprim17ROCPRIM_400000_NS6detail17trampoline_kernelINS0_14default_configENS1_22reduce_config_selectorIN6thrust23THRUST_200600_302600_NS5tupleIblNS6_9null_typeES8_S8_S8_S8_S8_S8_S8_EEEEZNS1_11reduce_implILb1ES3_NS6_12zip_iteratorINS7_INS6_11hip_rocprim26transform_input_iterator_tIbNSD_35transform_pair_of_input_iterators_tIbNS6_6detail15normal_iteratorINS6_10device_ptrIKyEEEESL_NS6_8equal_toIyEEEENSG_9not_fun_tINSD_8identityEEEEENSD_19counting_iterator_tIlEES8_S8_S8_S8_S8_S8_S8_S8_EEEEPS9_S9_NSD_9__find_if7functorIS9_EEEE10hipError_tPvRmT1_T2_T3_mT4_P12ihipStream_tbEUlT_E1_NS1_11comp_targetILNS1_3genE2ELNS1_11target_archE906ELNS1_3gpuE6ELNS1_3repE0EEENS1_30default_config_static_selectorELNS0_4arch9wavefront6targetE0EEEvS14_
                                        ; -- End function
	.section	.AMDGPU.csdata,"",@progbits
; Kernel info:
; codeLenInByte = 0
; NumSgprs: 0
; NumVgprs: 0
; ScratchSize: 0
; MemoryBound: 0
; FloatMode: 240
; IeeeMode: 1
; LDSByteSize: 0 bytes/workgroup (compile time only)
; SGPRBlocks: 0
; VGPRBlocks: 0
; NumSGPRsForWavesPerEU: 1
; NumVGPRsForWavesPerEU: 1
; Occupancy: 16
; WaveLimiterHint : 0
; COMPUTE_PGM_RSRC2:SCRATCH_EN: 0
; COMPUTE_PGM_RSRC2:USER_SGPR: 15
; COMPUTE_PGM_RSRC2:TRAP_HANDLER: 0
; COMPUTE_PGM_RSRC2:TGID_X_EN: 1
; COMPUTE_PGM_RSRC2:TGID_Y_EN: 0
; COMPUTE_PGM_RSRC2:TGID_Z_EN: 0
; COMPUTE_PGM_RSRC2:TIDIG_COMP_CNT: 0
	.section	.text._ZN7rocprim17ROCPRIM_400000_NS6detail17trampoline_kernelINS0_14default_configENS1_22reduce_config_selectorIN6thrust23THRUST_200600_302600_NS5tupleIblNS6_9null_typeES8_S8_S8_S8_S8_S8_S8_EEEEZNS1_11reduce_implILb1ES3_NS6_12zip_iteratorINS7_INS6_11hip_rocprim26transform_input_iterator_tIbNSD_35transform_pair_of_input_iterators_tIbNS6_6detail15normal_iteratorINS6_10device_ptrIKyEEEESL_NS6_8equal_toIyEEEENSG_9not_fun_tINSD_8identityEEEEENSD_19counting_iterator_tIlEES8_S8_S8_S8_S8_S8_S8_S8_EEEEPS9_S9_NSD_9__find_if7functorIS9_EEEE10hipError_tPvRmT1_T2_T3_mT4_P12ihipStream_tbEUlT_E1_NS1_11comp_targetILNS1_3genE10ELNS1_11target_archE1201ELNS1_3gpuE5ELNS1_3repE0EEENS1_30default_config_static_selectorELNS0_4arch9wavefront6targetE0EEEvS14_,"axG",@progbits,_ZN7rocprim17ROCPRIM_400000_NS6detail17trampoline_kernelINS0_14default_configENS1_22reduce_config_selectorIN6thrust23THRUST_200600_302600_NS5tupleIblNS6_9null_typeES8_S8_S8_S8_S8_S8_S8_EEEEZNS1_11reduce_implILb1ES3_NS6_12zip_iteratorINS7_INS6_11hip_rocprim26transform_input_iterator_tIbNSD_35transform_pair_of_input_iterators_tIbNS6_6detail15normal_iteratorINS6_10device_ptrIKyEEEESL_NS6_8equal_toIyEEEENSG_9not_fun_tINSD_8identityEEEEENSD_19counting_iterator_tIlEES8_S8_S8_S8_S8_S8_S8_S8_EEEEPS9_S9_NSD_9__find_if7functorIS9_EEEE10hipError_tPvRmT1_T2_T3_mT4_P12ihipStream_tbEUlT_E1_NS1_11comp_targetILNS1_3genE10ELNS1_11target_archE1201ELNS1_3gpuE5ELNS1_3repE0EEENS1_30default_config_static_selectorELNS0_4arch9wavefront6targetE0EEEvS14_,comdat
	.protected	_ZN7rocprim17ROCPRIM_400000_NS6detail17trampoline_kernelINS0_14default_configENS1_22reduce_config_selectorIN6thrust23THRUST_200600_302600_NS5tupleIblNS6_9null_typeES8_S8_S8_S8_S8_S8_S8_EEEEZNS1_11reduce_implILb1ES3_NS6_12zip_iteratorINS7_INS6_11hip_rocprim26transform_input_iterator_tIbNSD_35transform_pair_of_input_iterators_tIbNS6_6detail15normal_iteratorINS6_10device_ptrIKyEEEESL_NS6_8equal_toIyEEEENSG_9not_fun_tINSD_8identityEEEEENSD_19counting_iterator_tIlEES8_S8_S8_S8_S8_S8_S8_S8_EEEEPS9_S9_NSD_9__find_if7functorIS9_EEEE10hipError_tPvRmT1_T2_T3_mT4_P12ihipStream_tbEUlT_E1_NS1_11comp_targetILNS1_3genE10ELNS1_11target_archE1201ELNS1_3gpuE5ELNS1_3repE0EEENS1_30default_config_static_selectorELNS0_4arch9wavefront6targetE0EEEvS14_ ; -- Begin function _ZN7rocprim17ROCPRIM_400000_NS6detail17trampoline_kernelINS0_14default_configENS1_22reduce_config_selectorIN6thrust23THRUST_200600_302600_NS5tupleIblNS6_9null_typeES8_S8_S8_S8_S8_S8_S8_EEEEZNS1_11reduce_implILb1ES3_NS6_12zip_iteratorINS7_INS6_11hip_rocprim26transform_input_iterator_tIbNSD_35transform_pair_of_input_iterators_tIbNS6_6detail15normal_iteratorINS6_10device_ptrIKyEEEESL_NS6_8equal_toIyEEEENSG_9not_fun_tINSD_8identityEEEEENSD_19counting_iterator_tIlEES8_S8_S8_S8_S8_S8_S8_S8_EEEEPS9_S9_NSD_9__find_if7functorIS9_EEEE10hipError_tPvRmT1_T2_T3_mT4_P12ihipStream_tbEUlT_E1_NS1_11comp_targetILNS1_3genE10ELNS1_11target_archE1201ELNS1_3gpuE5ELNS1_3repE0EEENS1_30default_config_static_selectorELNS0_4arch9wavefront6targetE0EEEvS14_
	.globl	_ZN7rocprim17ROCPRIM_400000_NS6detail17trampoline_kernelINS0_14default_configENS1_22reduce_config_selectorIN6thrust23THRUST_200600_302600_NS5tupleIblNS6_9null_typeES8_S8_S8_S8_S8_S8_S8_EEEEZNS1_11reduce_implILb1ES3_NS6_12zip_iteratorINS7_INS6_11hip_rocprim26transform_input_iterator_tIbNSD_35transform_pair_of_input_iterators_tIbNS6_6detail15normal_iteratorINS6_10device_ptrIKyEEEESL_NS6_8equal_toIyEEEENSG_9not_fun_tINSD_8identityEEEEENSD_19counting_iterator_tIlEES8_S8_S8_S8_S8_S8_S8_S8_EEEEPS9_S9_NSD_9__find_if7functorIS9_EEEE10hipError_tPvRmT1_T2_T3_mT4_P12ihipStream_tbEUlT_E1_NS1_11comp_targetILNS1_3genE10ELNS1_11target_archE1201ELNS1_3gpuE5ELNS1_3repE0EEENS1_30default_config_static_selectorELNS0_4arch9wavefront6targetE0EEEvS14_
	.p2align	8
	.type	_ZN7rocprim17ROCPRIM_400000_NS6detail17trampoline_kernelINS0_14default_configENS1_22reduce_config_selectorIN6thrust23THRUST_200600_302600_NS5tupleIblNS6_9null_typeES8_S8_S8_S8_S8_S8_S8_EEEEZNS1_11reduce_implILb1ES3_NS6_12zip_iteratorINS7_INS6_11hip_rocprim26transform_input_iterator_tIbNSD_35transform_pair_of_input_iterators_tIbNS6_6detail15normal_iteratorINS6_10device_ptrIKyEEEESL_NS6_8equal_toIyEEEENSG_9not_fun_tINSD_8identityEEEEENSD_19counting_iterator_tIlEES8_S8_S8_S8_S8_S8_S8_S8_EEEEPS9_S9_NSD_9__find_if7functorIS9_EEEE10hipError_tPvRmT1_T2_T3_mT4_P12ihipStream_tbEUlT_E1_NS1_11comp_targetILNS1_3genE10ELNS1_11target_archE1201ELNS1_3gpuE5ELNS1_3repE0EEENS1_30default_config_static_selectorELNS0_4arch9wavefront6targetE0EEEvS14_,@function
_ZN7rocprim17ROCPRIM_400000_NS6detail17trampoline_kernelINS0_14default_configENS1_22reduce_config_selectorIN6thrust23THRUST_200600_302600_NS5tupleIblNS6_9null_typeES8_S8_S8_S8_S8_S8_S8_EEEEZNS1_11reduce_implILb1ES3_NS6_12zip_iteratorINS7_INS6_11hip_rocprim26transform_input_iterator_tIbNSD_35transform_pair_of_input_iterators_tIbNS6_6detail15normal_iteratorINS6_10device_ptrIKyEEEESL_NS6_8equal_toIyEEEENSG_9not_fun_tINSD_8identityEEEEENSD_19counting_iterator_tIlEES8_S8_S8_S8_S8_S8_S8_S8_EEEEPS9_S9_NSD_9__find_if7functorIS9_EEEE10hipError_tPvRmT1_T2_T3_mT4_P12ihipStream_tbEUlT_E1_NS1_11comp_targetILNS1_3genE10ELNS1_11target_archE1201ELNS1_3gpuE5ELNS1_3repE0EEENS1_30default_config_static_selectorELNS0_4arch9wavefront6targetE0EEEvS14_: ; @_ZN7rocprim17ROCPRIM_400000_NS6detail17trampoline_kernelINS0_14default_configENS1_22reduce_config_selectorIN6thrust23THRUST_200600_302600_NS5tupleIblNS6_9null_typeES8_S8_S8_S8_S8_S8_S8_EEEEZNS1_11reduce_implILb1ES3_NS6_12zip_iteratorINS7_INS6_11hip_rocprim26transform_input_iterator_tIbNSD_35transform_pair_of_input_iterators_tIbNS6_6detail15normal_iteratorINS6_10device_ptrIKyEEEESL_NS6_8equal_toIyEEEENSG_9not_fun_tINSD_8identityEEEEENSD_19counting_iterator_tIlEES8_S8_S8_S8_S8_S8_S8_S8_EEEEPS9_S9_NSD_9__find_if7functorIS9_EEEE10hipError_tPvRmT1_T2_T3_mT4_P12ihipStream_tbEUlT_E1_NS1_11comp_targetILNS1_3genE10ELNS1_11target_archE1201ELNS1_3gpuE5ELNS1_3repE0EEENS1_30default_config_static_selectorELNS0_4arch9wavefront6targetE0EEEvS14_
; %bb.0:
	.section	.rodata,"a",@progbits
	.p2align	6, 0x0
	.amdhsa_kernel _ZN7rocprim17ROCPRIM_400000_NS6detail17trampoline_kernelINS0_14default_configENS1_22reduce_config_selectorIN6thrust23THRUST_200600_302600_NS5tupleIblNS6_9null_typeES8_S8_S8_S8_S8_S8_S8_EEEEZNS1_11reduce_implILb1ES3_NS6_12zip_iteratorINS7_INS6_11hip_rocprim26transform_input_iterator_tIbNSD_35transform_pair_of_input_iterators_tIbNS6_6detail15normal_iteratorINS6_10device_ptrIKyEEEESL_NS6_8equal_toIyEEEENSG_9not_fun_tINSD_8identityEEEEENSD_19counting_iterator_tIlEES8_S8_S8_S8_S8_S8_S8_S8_EEEEPS9_S9_NSD_9__find_if7functorIS9_EEEE10hipError_tPvRmT1_T2_T3_mT4_P12ihipStream_tbEUlT_E1_NS1_11comp_targetILNS1_3genE10ELNS1_11target_archE1201ELNS1_3gpuE5ELNS1_3repE0EEENS1_30default_config_static_selectorELNS0_4arch9wavefront6targetE0EEEvS14_
		.amdhsa_group_segment_fixed_size 0
		.amdhsa_private_segment_fixed_size 0
		.amdhsa_kernarg_size 88
		.amdhsa_user_sgpr_count 15
		.amdhsa_user_sgpr_dispatch_ptr 0
		.amdhsa_user_sgpr_queue_ptr 0
		.amdhsa_user_sgpr_kernarg_segment_ptr 1
		.amdhsa_user_sgpr_dispatch_id 0
		.amdhsa_user_sgpr_private_segment_size 0
		.amdhsa_wavefront_size32 1
		.amdhsa_uses_dynamic_stack 0
		.amdhsa_enable_private_segment 0
		.amdhsa_system_sgpr_workgroup_id_x 1
		.amdhsa_system_sgpr_workgroup_id_y 0
		.amdhsa_system_sgpr_workgroup_id_z 0
		.amdhsa_system_sgpr_workgroup_info 0
		.amdhsa_system_vgpr_workitem_id 0
		.amdhsa_next_free_vgpr 1
		.amdhsa_next_free_sgpr 1
		.amdhsa_reserve_vcc 0
		.amdhsa_float_round_mode_32 0
		.amdhsa_float_round_mode_16_64 0
		.amdhsa_float_denorm_mode_32 3
		.amdhsa_float_denorm_mode_16_64 3
		.amdhsa_dx10_clamp 1
		.amdhsa_ieee_mode 1
		.amdhsa_fp16_overflow 0
		.amdhsa_workgroup_processor_mode 1
		.amdhsa_memory_ordered 1
		.amdhsa_forward_progress 0
		.amdhsa_shared_vgpr_count 0
		.amdhsa_exception_fp_ieee_invalid_op 0
		.amdhsa_exception_fp_denorm_src 0
		.amdhsa_exception_fp_ieee_div_zero 0
		.amdhsa_exception_fp_ieee_overflow 0
		.amdhsa_exception_fp_ieee_underflow 0
		.amdhsa_exception_fp_ieee_inexact 0
		.amdhsa_exception_int_div_zero 0
	.end_amdhsa_kernel
	.section	.text._ZN7rocprim17ROCPRIM_400000_NS6detail17trampoline_kernelINS0_14default_configENS1_22reduce_config_selectorIN6thrust23THRUST_200600_302600_NS5tupleIblNS6_9null_typeES8_S8_S8_S8_S8_S8_S8_EEEEZNS1_11reduce_implILb1ES3_NS6_12zip_iteratorINS7_INS6_11hip_rocprim26transform_input_iterator_tIbNSD_35transform_pair_of_input_iterators_tIbNS6_6detail15normal_iteratorINS6_10device_ptrIKyEEEESL_NS6_8equal_toIyEEEENSG_9not_fun_tINSD_8identityEEEEENSD_19counting_iterator_tIlEES8_S8_S8_S8_S8_S8_S8_S8_EEEEPS9_S9_NSD_9__find_if7functorIS9_EEEE10hipError_tPvRmT1_T2_T3_mT4_P12ihipStream_tbEUlT_E1_NS1_11comp_targetILNS1_3genE10ELNS1_11target_archE1201ELNS1_3gpuE5ELNS1_3repE0EEENS1_30default_config_static_selectorELNS0_4arch9wavefront6targetE0EEEvS14_,"axG",@progbits,_ZN7rocprim17ROCPRIM_400000_NS6detail17trampoline_kernelINS0_14default_configENS1_22reduce_config_selectorIN6thrust23THRUST_200600_302600_NS5tupleIblNS6_9null_typeES8_S8_S8_S8_S8_S8_S8_EEEEZNS1_11reduce_implILb1ES3_NS6_12zip_iteratorINS7_INS6_11hip_rocprim26transform_input_iterator_tIbNSD_35transform_pair_of_input_iterators_tIbNS6_6detail15normal_iteratorINS6_10device_ptrIKyEEEESL_NS6_8equal_toIyEEEENSG_9not_fun_tINSD_8identityEEEEENSD_19counting_iterator_tIlEES8_S8_S8_S8_S8_S8_S8_S8_EEEEPS9_S9_NSD_9__find_if7functorIS9_EEEE10hipError_tPvRmT1_T2_T3_mT4_P12ihipStream_tbEUlT_E1_NS1_11comp_targetILNS1_3genE10ELNS1_11target_archE1201ELNS1_3gpuE5ELNS1_3repE0EEENS1_30default_config_static_selectorELNS0_4arch9wavefront6targetE0EEEvS14_,comdat
.Lfunc_end479:
	.size	_ZN7rocprim17ROCPRIM_400000_NS6detail17trampoline_kernelINS0_14default_configENS1_22reduce_config_selectorIN6thrust23THRUST_200600_302600_NS5tupleIblNS6_9null_typeES8_S8_S8_S8_S8_S8_S8_EEEEZNS1_11reduce_implILb1ES3_NS6_12zip_iteratorINS7_INS6_11hip_rocprim26transform_input_iterator_tIbNSD_35transform_pair_of_input_iterators_tIbNS6_6detail15normal_iteratorINS6_10device_ptrIKyEEEESL_NS6_8equal_toIyEEEENSG_9not_fun_tINSD_8identityEEEEENSD_19counting_iterator_tIlEES8_S8_S8_S8_S8_S8_S8_S8_EEEEPS9_S9_NSD_9__find_if7functorIS9_EEEE10hipError_tPvRmT1_T2_T3_mT4_P12ihipStream_tbEUlT_E1_NS1_11comp_targetILNS1_3genE10ELNS1_11target_archE1201ELNS1_3gpuE5ELNS1_3repE0EEENS1_30default_config_static_selectorELNS0_4arch9wavefront6targetE0EEEvS14_, .Lfunc_end479-_ZN7rocprim17ROCPRIM_400000_NS6detail17trampoline_kernelINS0_14default_configENS1_22reduce_config_selectorIN6thrust23THRUST_200600_302600_NS5tupleIblNS6_9null_typeES8_S8_S8_S8_S8_S8_S8_EEEEZNS1_11reduce_implILb1ES3_NS6_12zip_iteratorINS7_INS6_11hip_rocprim26transform_input_iterator_tIbNSD_35transform_pair_of_input_iterators_tIbNS6_6detail15normal_iteratorINS6_10device_ptrIKyEEEESL_NS6_8equal_toIyEEEENSG_9not_fun_tINSD_8identityEEEEENSD_19counting_iterator_tIlEES8_S8_S8_S8_S8_S8_S8_S8_EEEEPS9_S9_NSD_9__find_if7functorIS9_EEEE10hipError_tPvRmT1_T2_T3_mT4_P12ihipStream_tbEUlT_E1_NS1_11comp_targetILNS1_3genE10ELNS1_11target_archE1201ELNS1_3gpuE5ELNS1_3repE0EEENS1_30default_config_static_selectorELNS0_4arch9wavefront6targetE0EEEvS14_
                                        ; -- End function
	.section	.AMDGPU.csdata,"",@progbits
; Kernel info:
; codeLenInByte = 0
; NumSgprs: 0
; NumVgprs: 0
; ScratchSize: 0
; MemoryBound: 0
; FloatMode: 240
; IeeeMode: 1
; LDSByteSize: 0 bytes/workgroup (compile time only)
; SGPRBlocks: 0
; VGPRBlocks: 0
; NumSGPRsForWavesPerEU: 1
; NumVGPRsForWavesPerEU: 1
; Occupancy: 16
; WaveLimiterHint : 0
; COMPUTE_PGM_RSRC2:SCRATCH_EN: 0
; COMPUTE_PGM_RSRC2:USER_SGPR: 15
; COMPUTE_PGM_RSRC2:TRAP_HANDLER: 0
; COMPUTE_PGM_RSRC2:TGID_X_EN: 1
; COMPUTE_PGM_RSRC2:TGID_Y_EN: 0
; COMPUTE_PGM_RSRC2:TGID_Z_EN: 0
; COMPUTE_PGM_RSRC2:TIDIG_COMP_CNT: 0
	.section	.text._ZN7rocprim17ROCPRIM_400000_NS6detail17trampoline_kernelINS0_14default_configENS1_22reduce_config_selectorIN6thrust23THRUST_200600_302600_NS5tupleIblNS6_9null_typeES8_S8_S8_S8_S8_S8_S8_EEEEZNS1_11reduce_implILb1ES3_NS6_12zip_iteratorINS7_INS6_11hip_rocprim26transform_input_iterator_tIbNSD_35transform_pair_of_input_iterators_tIbNS6_6detail15normal_iteratorINS6_10device_ptrIKyEEEESL_NS6_8equal_toIyEEEENSG_9not_fun_tINSD_8identityEEEEENSD_19counting_iterator_tIlEES8_S8_S8_S8_S8_S8_S8_S8_EEEEPS9_S9_NSD_9__find_if7functorIS9_EEEE10hipError_tPvRmT1_T2_T3_mT4_P12ihipStream_tbEUlT_E1_NS1_11comp_targetILNS1_3genE10ELNS1_11target_archE1200ELNS1_3gpuE4ELNS1_3repE0EEENS1_30default_config_static_selectorELNS0_4arch9wavefront6targetE0EEEvS14_,"axG",@progbits,_ZN7rocprim17ROCPRIM_400000_NS6detail17trampoline_kernelINS0_14default_configENS1_22reduce_config_selectorIN6thrust23THRUST_200600_302600_NS5tupleIblNS6_9null_typeES8_S8_S8_S8_S8_S8_S8_EEEEZNS1_11reduce_implILb1ES3_NS6_12zip_iteratorINS7_INS6_11hip_rocprim26transform_input_iterator_tIbNSD_35transform_pair_of_input_iterators_tIbNS6_6detail15normal_iteratorINS6_10device_ptrIKyEEEESL_NS6_8equal_toIyEEEENSG_9not_fun_tINSD_8identityEEEEENSD_19counting_iterator_tIlEES8_S8_S8_S8_S8_S8_S8_S8_EEEEPS9_S9_NSD_9__find_if7functorIS9_EEEE10hipError_tPvRmT1_T2_T3_mT4_P12ihipStream_tbEUlT_E1_NS1_11comp_targetILNS1_3genE10ELNS1_11target_archE1200ELNS1_3gpuE4ELNS1_3repE0EEENS1_30default_config_static_selectorELNS0_4arch9wavefront6targetE0EEEvS14_,comdat
	.protected	_ZN7rocprim17ROCPRIM_400000_NS6detail17trampoline_kernelINS0_14default_configENS1_22reduce_config_selectorIN6thrust23THRUST_200600_302600_NS5tupleIblNS6_9null_typeES8_S8_S8_S8_S8_S8_S8_EEEEZNS1_11reduce_implILb1ES3_NS6_12zip_iteratorINS7_INS6_11hip_rocprim26transform_input_iterator_tIbNSD_35transform_pair_of_input_iterators_tIbNS6_6detail15normal_iteratorINS6_10device_ptrIKyEEEESL_NS6_8equal_toIyEEEENSG_9not_fun_tINSD_8identityEEEEENSD_19counting_iterator_tIlEES8_S8_S8_S8_S8_S8_S8_S8_EEEEPS9_S9_NSD_9__find_if7functorIS9_EEEE10hipError_tPvRmT1_T2_T3_mT4_P12ihipStream_tbEUlT_E1_NS1_11comp_targetILNS1_3genE10ELNS1_11target_archE1200ELNS1_3gpuE4ELNS1_3repE0EEENS1_30default_config_static_selectorELNS0_4arch9wavefront6targetE0EEEvS14_ ; -- Begin function _ZN7rocprim17ROCPRIM_400000_NS6detail17trampoline_kernelINS0_14default_configENS1_22reduce_config_selectorIN6thrust23THRUST_200600_302600_NS5tupleIblNS6_9null_typeES8_S8_S8_S8_S8_S8_S8_EEEEZNS1_11reduce_implILb1ES3_NS6_12zip_iteratorINS7_INS6_11hip_rocprim26transform_input_iterator_tIbNSD_35transform_pair_of_input_iterators_tIbNS6_6detail15normal_iteratorINS6_10device_ptrIKyEEEESL_NS6_8equal_toIyEEEENSG_9not_fun_tINSD_8identityEEEEENSD_19counting_iterator_tIlEES8_S8_S8_S8_S8_S8_S8_S8_EEEEPS9_S9_NSD_9__find_if7functorIS9_EEEE10hipError_tPvRmT1_T2_T3_mT4_P12ihipStream_tbEUlT_E1_NS1_11comp_targetILNS1_3genE10ELNS1_11target_archE1200ELNS1_3gpuE4ELNS1_3repE0EEENS1_30default_config_static_selectorELNS0_4arch9wavefront6targetE0EEEvS14_
	.globl	_ZN7rocprim17ROCPRIM_400000_NS6detail17trampoline_kernelINS0_14default_configENS1_22reduce_config_selectorIN6thrust23THRUST_200600_302600_NS5tupleIblNS6_9null_typeES8_S8_S8_S8_S8_S8_S8_EEEEZNS1_11reduce_implILb1ES3_NS6_12zip_iteratorINS7_INS6_11hip_rocprim26transform_input_iterator_tIbNSD_35transform_pair_of_input_iterators_tIbNS6_6detail15normal_iteratorINS6_10device_ptrIKyEEEESL_NS6_8equal_toIyEEEENSG_9not_fun_tINSD_8identityEEEEENSD_19counting_iterator_tIlEES8_S8_S8_S8_S8_S8_S8_S8_EEEEPS9_S9_NSD_9__find_if7functorIS9_EEEE10hipError_tPvRmT1_T2_T3_mT4_P12ihipStream_tbEUlT_E1_NS1_11comp_targetILNS1_3genE10ELNS1_11target_archE1200ELNS1_3gpuE4ELNS1_3repE0EEENS1_30default_config_static_selectorELNS0_4arch9wavefront6targetE0EEEvS14_
	.p2align	8
	.type	_ZN7rocprim17ROCPRIM_400000_NS6detail17trampoline_kernelINS0_14default_configENS1_22reduce_config_selectorIN6thrust23THRUST_200600_302600_NS5tupleIblNS6_9null_typeES8_S8_S8_S8_S8_S8_S8_EEEEZNS1_11reduce_implILb1ES3_NS6_12zip_iteratorINS7_INS6_11hip_rocprim26transform_input_iterator_tIbNSD_35transform_pair_of_input_iterators_tIbNS6_6detail15normal_iteratorINS6_10device_ptrIKyEEEESL_NS6_8equal_toIyEEEENSG_9not_fun_tINSD_8identityEEEEENSD_19counting_iterator_tIlEES8_S8_S8_S8_S8_S8_S8_S8_EEEEPS9_S9_NSD_9__find_if7functorIS9_EEEE10hipError_tPvRmT1_T2_T3_mT4_P12ihipStream_tbEUlT_E1_NS1_11comp_targetILNS1_3genE10ELNS1_11target_archE1200ELNS1_3gpuE4ELNS1_3repE0EEENS1_30default_config_static_selectorELNS0_4arch9wavefront6targetE0EEEvS14_,@function
_ZN7rocprim17ROCPRIM_400000_NS6detail17trampoline_kernelINS0_14default_configENS1_22reduce_config_selectorIN6thrust23THRUST_200600_302600_NS5tupleIblNS6_9null_typeES8_S8_S8_S8_S8_S8_S8_EEEEZNS1_11reduce_implILb1ES3_NS6_12zip_iteratorINS7_INS6_11hip_rocprim26transform_input_iterator_tIbNSD_35transform_pair_of_input_iterators_tIbNS6_6detail15normal_iteratorINS6_10device_ptrIKyEEEESL_NS6_8equal_toIyEEEENSG_9not_fun_tINSD_8identityEEEEENSD_19counting_iterator_tIlEES8_S8_S8_S8_S8_S8_S8_S8_EEEEPS9_S9_NSD_9__find_if7functorIS9_EEEE10hipError_tPvRmT1_T2_T3_mT4_P12ihipStream_tbEUlT_E1_NS1_11comp_targetILNS1_3genE10ELNS1_11target_archE1200ELNS1_3gpuE4ELNS1_3repE0EEENS1_30default_config_static_selectorELNS0_4arch9wavefront6targetE0EEEvS14_: ; @_ZN7rocprim17ROCPRIM_400000_NS6detail17trampoline_kernelINS0_14default_configENS1_22reduce_config_selectorIN6thrust23THRUST_200600_302600_NS5tupleIblNS6_9null_typeES8_S8_S8_S8_S8_S8_S8_EEEEZNS1_11reduce_implILb1ES3_NS6_12zip_iteratorINS7_INS6_11hip_rocprim26transform_input_iterator_tIbNSD_35transform_pair_of_input_iterators_tIbNS6_6detail15normal_iteratorINS6_10device_ptrIKyEEEESL_NS6_8equal_toIyEEEENSG_9not_fun_tINSD_8identityEEEEENSD_19counting_iterator_tIlEES8_S8_S8_S8_S8_S8_S8_S8_EEEEPS9_S9_NSD_9__find_if7functorIS9_EEEE10hipError_tPvRmT1_T2_T3_mT4_P12ihipStream_tbEUlT_E1_NS1_11comp_targetILNS1_3genE10ELNS1_11target_archE1200ELNS1_3gpuE4ELNS1_3repE0EEENS1_30default_config_static_selectorELNS0_4arch9wavefront6targetE0EEEvS14_
; %bb.0:
	.section	.rodata,"a",@progbits
	.p2align	6, 0x0
	.amdhsa_kernel _ZN7rocprim17ROCPRIM_400000_NS6detail17trampoline_kernelINS0_14default_configENS1_22reduce_config_selectorIN6thrust23THRUST_200600_302600_NS5tupleIblNS6_9null_typeES8_S8_S8_S8_S8_S8_S8_EEEEZNS1_11reduce_implILb1ES3_NS6_12zip_iteratorINS7_INS6_11hip_rocprim26transform_input_iterator_tIbNSD_35transform_pair_of_input_iterators_tIbNS6_6detail15normal_iteratorINS6_10device_ptrIKyEEEESL_NS6_8equal_toIyEEEENSG_9not_fun_tINSD_8identityEEEEENSD_19counting_iterator_tIlEES8_S8_S8_S8_S8_S8_S8_S8_EEEEPS9_S9_NSD_9__find_if7functorIS9_EEEE10hipError_tPvRmT1_T2_T3_mT4_P12ihipStream_tbEUlT_E1_NS1_11comp_targetILNS1_3genE10ELNS1_11target_archE1200ELNS1_3gpuE4ELNS1_3repE0EEENS1_30default_config_static_selectorELNS0_4arch9wavefront6targetE0EEEvS14_
		.amdhsa_group_segment_fixed_size 0
		.amdhsa_private_segment_fixed_size 0
		.amdhsa_kernarg_size 88
		.amdhsa_user_sgpr_count 15
		.amdhsa_user_sgpr_dispatch_ptr 0
		.amdhsa_user_sgpr_queue_ptr 0
		.amdhsa_user_sgpr_kernarg_segment_ptr 1
		.amdhsa_user_sgpr_dispatch_id 0
		.amdhsa_user_sgpr_private_segment_size 0
		.amdhsa_wavefront_size32 1
		.amdhsa_uses_dynamic_stack 0
		.amdhsa_enable_private_segment 0
		.amdhsa_system_sgpr_workgroup_id_x 1
		.amdhsa_system_sgpr_workgroup_id_y 0
		.amdhsa_system_sgpr_workgroup_id_z 0
		.amdhsa_system_sgpr_workgroup_info 0
		.amdhsa_system_vgpr_workitem_id 0
		.amdhsa_next_free_vgpr 1
		.amdhsa_next_free_sgpr 1
		.amdhsa_reserve_vcc 0
		.amdhsa_float_round_mode_32 0
		.amdhsa_float_round_mode_16_64 0
		.amdhsa_float_denorm_mode_32 3
		.amdhsa_float_denorm_mode_16_64 3
		.amdhsa_dx10_clamp 1
		.amdhsa_ieee_mode 1
		.amdhsa_fp16_overflow 0
		.amdhsa_workgroup_processor_mode 1
		.amdhsa_memory_ordered 1
		.amdhsa_forward_progress 0
		.amdhsa_shared_vgpr_count 0
		.amdhsa_exception_fp_ieee_invalid_op 0
		.amdhsa_exception_fp_denorm_src 0
		.amdhsa_exception_fp_ieee_div_zero 0
		.amdhsa_exception_fp_ieee_overflow 0
		.amdhsa_exception_fp_ieee_underflow 0
		.amdhsa_exception_fp_ieee_inexact 0
		.amdhsa_exception_int_div_zero 0
	.end_amdhsa_kernel
	.section	.text._ZN7rocprim17ROCPRIM_400000_NS6detail17trampoline_kernelINS0_14default_configENS1_22reduce_config_selectorIN6thrust23THRUST_200600_302600_NS5tupleIblNS6_9null_typeES8_S8_S8_S8_S8_S8_S8_EEEEZNS1_11reduce_implILb1ES3_NS6_12zip_iteratorINS7_INS6_11hip_rocprim26transform_input_iterator_tIbNSD_35transform_pair_of_input_iterators_tIbNS6_6detail15normal_iteratorINS6_10device_ptrIKyEEEESL_NS6_8equal_toIyEEEENSG_9not_fun_tINSD_8identityEEEEENSD_19counting_iterator_tIlEES8_S8_S8_S8_S8_S8_S8_S8_EEEEPS9_S9_NSD_9__find_if7functorIS9_EEEE10hipError_tPvRmT1_T2_T3_mT4_P12ihipStream_tbEUlT_E1_NS1_11comp_targetILNS1_3genE10ELNS1_11target_archE1200ELNS1_3gpuE4ELNS1_3repE0EEENS1_30default_config_static_selectorELNS0_4arch9wavefront6targetE0EEEvS14_,"axG",@progbits,_ZN7rocprim17ROCPRIM_400000_NS6detail17trampoline_kernelINS0_14default_configENS1_22reduce_config_selectorIN6thrust23THRUST_200600_302600_NS5tupleIblNS6_9null_typeES8_S8_S8_S8_S8_S8_S8_EEEEZNS1_11reduce_implILb1ES3_NS6_12zip_iteratorINS7_INS6_11hip_rocprim26transform_input_iterator_tIbNSD_35transform_pair_of_input_iterators_tIbNS6_6detail15normal_iteratorINS6_10device_ptrIKyEEEESL_NS6_8equal_toIyEEEENSG_9not_fun_tINSD_8identityEEEEENSD_19counting_iterator_tIlEES8_S8_S8_S8_S8_S8_S8_S8_EEEEPS9_S9_NSD_9__find_if7functorIS9_EEEE10hipError_tPvRmT1_T2_T3_mT4_P12ihipStream_tbEUlT_E1_NS1_11comp_targetILNS1_3genE10ELNS1_11target_archE1200ELNS1_3gpuE4ELNS1_3repE0EEENS1_30default_config_static_selectorELNS0_4arch9wavefront6targetE0EEEvS14_,comdat
.Lfunc_end480:
	.size	_ZN7rocprim17ROCPRIM_400000_NS6detail17trampoline_kernelINS0_14default_configENS1_22reduce_config_selectorIN6thrust23THRUST_200600_302600_NS5tupleIblNS6_9null_typeES8_S8_S8_S8_S8_S8_S8_EEEEZNS1_11reduce_implILb1ES3_NS6_12zip_iteratorINS7_INS6_11hip_rocprim26transform_input_iterator_tIbNSD_35transform_pair_of_input_iterators_tIbNS6_6detail15normal_iteratorINS6_10device_ptrIKyEEEESL_NS6_8equal_toIyEEEENSG_9not_fun_tINSD_8identityEEEEENSD_19counting_iterator_tIlEES8_S8_S8_S8_S8_S8_S8_S8_EEEEPS9_S9_NSD_9__find_if7functorIS9_EEEE10hipError_tPvRmT1_T2_T3_mT4_P12ihipStream_tbEUlT_E1_NS1_11comp_targetILNS1_3genE10ELNS1_11target_archE1200ELNS1_3gpuE4ELNS1_3repE0EEENS1_30default_config_static_selectorELNS0_4arch9wavefront6targetE0EEEvS14_, .Lfunc_end480-_ZN7rocprim17ROCPRIM_400000_NS6detail17trampoline_kernelINS0_14default_configENS1_22reduce_config_selectorIN6thrust23THRUST_200600_302600_NS5tupleIblNS6_9null_typeES8_S8_S8_S8_S8_S8_S8_EEEEZNS1_11reduce_implILb1ES3_NS6_12zip_iteratorINS7_INS6_11hip_rocprim26transform_input_iterator_tIbNSD_35transform_pair_of_input_iterators_tIbNS6_6detail15normal_iteratorINS6_10device_ptrIKyEEEESL_NS6_8equal_toIyEEEENSG_9not_fun_tINSD_8identityEEEEENSD_19counting_iterator_tIlEES8_S8_S8_S8_S8_S8_S8_S8_EEEEPS9_S9_NSD_9__find_if7functorIS9_EEEE10hipError_tPvRmT1_T2_T3_mT4_P12ihipStream_tbEUlT_E1_NS1_11comp_targetILNS1_3genE10ELNS1_11target_archE1200ELNS1_3gpuE4ELNS1_3repE0EEENS1_30default_config_static_selectorELNS0_4arch9wavefront6targetE0EEEvS14_
                                        ; -- End function
	.section	.AMDGPU.csdata,"",@progbits
; Kernel info:
; codeLenInByte = 0
; NumSgprs: 0
; NumVgprs: 0
; ScratchSize: 0
; MemoryBound: 0
; FloatMode: 240
; IeeeMode: 1
; LDSByteSize: 0 bytes/workgroup (compile time only)
; SGPRBlocks: 0
; VGPRBlocks: 0
; NumSGPRsForWavesPerEU: 1
; NumVGPRsForWavesPerEU: 1
; Occupancy: 16
; WaveLimiterHint : 0
; COMPUTE_PGM_RSRC2:SCRATCH_EN: 0
; COMPUTE_PGM_RSRC2:USER_SGPR: 15
; COMPUTE_PGM_RSRC2:TRAP_HANDLER: 0
; COMPUTE_PGM_RSRC2:TGID_X_EN: 1
; COMPUTE_PGM_RSRC2:TGID_Y_EN: 0
; COMPUTE_PGM_RSRC2:TGID_Z_EN: 0
; COMPUTE_PGM_RSRC2:TIDIG_COMP_CNT: 0
	.section	.text._ZN7rocprim17ROCPRIM_400000_NS6detail17trampoline_kernelINS0_14default_configENS1_22reduce_config_selectorIN6thrust23THRUST_200600_302600_NS5tupleIblNS6_9null_typeES8_S8_S8_S8_S8_S8_S8_EEEEZNS1_11reduce_implILb1ES3_NS6_12zip_iteratorINS7_INS6_11hip_rocprim26transform_input_iterator_tIbNSD_35transform_pair_of_input_iterators_tIbNS6_6detail15normal_iteratorINS6_10device_ptrIKyEEEESL_NS6_8equal_toIyEEEENSG_9not_fun_tINSD_8identityEEEEENSD_19counting_iterator_tIlEES8_S8_S8_S8_S8_S8_S8_S8_EEEEPS9_S9_NSD_9__find_if7functorIS9_EEEE10hipError_tPvRmT1_T2_T3_mT4_P12ihipStream_tbEUlT_E1_NS1_11comp_targetILNS1_3genE9ELNS1_11target_archE1100ELNS1_3gpuE3ELNS1_3repE0EEENS1_30default_config_static_selectorELNS0_4arch9wavefront6targetE0EEEvS14_,"axG",@progbits,_ZN7rocprim17ROCPRIM_400000_NS6detail17trampoline_kernelINS0_14default_configENS1_22reduce_config_selectorIN6thrust23THRUST_200600_302600_NS5tupleIblNS6_9null_typeES8_S8_S8_S8_S8_S8_S8_EEEEZNS1_11reduce_implILb1ES3_NS6_12zip_iteratorINS7_INS6_11hip_rocprim26transform_input_iterator_tIbNSD_35transform_pair_of_input_iterators_tIbNS6_6detail15normal_iteratorINS6_10device_ptrIKyEEEESL_NS6_8equal_toIyEEEENSG_9not_fun_tINSD_8identityEEEEENSD_19counting_iterator_tIlEES8_S8_S8_S8_S8_S8_S8_S8_EEEEPS9_S9_NSD_9__find_if7functorIS9_EEEE10hipError_tPvRmT1_T2_T3_mT4_P12ihipStream_tbEUlT_E1_NS1_11comp_targetILNS1_3genE9ELNS1_11target_archE1100ELNS1_3gpuE3ELNS1_3repE0EEENS1_30default_config_static_selectorELNS0_4arch9wavefront6targetE0EEEvS14_,comdat
	.protected	_ZN7rocprim17ROCPRIM_400000_NS6detail17trampoline_kernelINS0_14default_configENS1_22reduce_config_selectorIN6thrust23THRUST_200600_302600_NS5tupleIblNS6_9null_typeES8_S8_S8_S8_S8_S8_S8_EEEEZNS1_11reduce_implILb1ES3_NS6_12zip_iteratorINS7_INS6_11hip_rocprim26transform_input_iterator_tIbNSD_35transform_pair_of_input_iterators_tIbNS6_6detail15normal_iteratorINS6_10device_ptrIKyEEEESL_NS6_8equal_toIyEEEENSG_9not_fun_tINSD_8identityEEEEENSD_19counting_iterator_tIlEES8_S8_S8_S8_S8_S8_S8_S8_EEEEPS9_S9_NSD_9__find_if7functorIS9_EEEE10hipError_tPvRmT1_T2_T3_mT4_P12ihipStream_tbEUlT_E1_NS1_11comp_targetILNS1_3genE9ELNS1_11target_archE1100ELNS1_3gpuE3ELNS1_3repE0EEENS1_30default_config_static_selectorELNS0_4arch9wavefront6targetE0EEEvS14_ ; -- Begin function _ZN7rocprim17ROCPRIM_400000_NS6detail17trampoline_kernelINS0_14default_configENS1_22reduce_config_selectorIN6thrust23THRUST_200600_302600_NS5tupleIblNS6_9null_typeES8_S8_S8_S8_S8_S8_S8_EEEEZNS1_11reduce_implILb1ES3_NS6_12zip_iteratorINS7_INS6_11hip_rocprim26transform_input_iterator_tIbNSD_35transform_pair_of_input_iterators_tIbNS6_6detail15normal_iteratorINS6_10device_ptrIKyEEEESL_NS6_8equal_toIyEEEENSG_9not_fun_tINSD_8identityEEEEENSD_19counting_iterator_tIlEES8_S8_S8_S8_S8_S8_S8_S8_EEEEPS9_S9_NSD_9__find_if7functorIS9_EEEE10hipError_tPvRmT1_T2_T3_mT4_P12ihipStream_tbEUlT_E1_NS1_11comp_targetILNS1_3genE9ELNS1_11target_archE1100ELNS1_3gpuE3ELNS1_3repE0EEENS1_30default_config_static_selectorELNS0_4arch9wavefront6targetE0EEEvS14_
	.globl	_ZN7rocprim17ROCPRIM_400000_NS6detail17trampoline_kernelINS0_14default_configENS1_22reduce_config_selectorIN6thrust23THRUST_200600_302600_NS5tupleIblNS6_9null_typeES8_S8_S8_S8_S8_S8_S8_EEEEZNS1_11reduce_implILb1ES3_NS6_12zip_iteratorINS7_INS6_11hip_rocprim26transform_input_iterator_tIbNSD_35transform_pair_of_input_iterators_tIbNS6_6detail15normal_iteratorINS6_10device_ptrIKyEEEESL_NS6_8equal_toIyEEEENSG_9not_fun_tINSD_8identityEEEEENSD_19counting_iterator_tIlEES8_S8_S8_S8_S8_S8_S8_S8_EEEEPS9_S9_NSD_9__find_if7functorIS9_EEEE10hipError_tPvRmT1_T2_T3_mT4_P12ihipStream_tbEUlT_E1_NS1_11comp_targetILNS1_3genE9ELNS1_11target_archE1100ELNS1_3gpuE3ELNS1_3repE0EEENS1_30default_config_static_selectorELNS0_4arch9wavefront6targetE0EEEvS14_
	.p2align	8
	.type	_ZN7rocprim17ROCPRIM_400000_NS6detail17trampoline_kernelINS0_14default_configENS1_22reduce_config_selectorIN6thrust23THRUST_200600_302600_NS5tupleIblNS6_9null_typeES8_S8_S8_S8_S8_S8_S8_EEEEZNS1_11reduce_implILb1ES3_NS6_12zip_iteratorINS7_INS6_11hip_rocprim26transform_input_iterator_tIbNSD_35transform_pair_of_input_iterators_tIbNS6_6detail15normal_iteratorINS6_10device_ptrIKyEEEESL_NS6_8equal_toIyEEEENSG_9not_fun_tINSD_8identityEEEEENSD_19counting_iterator_tIlEES8_S8_S8_S8_S8_S8_S8_S8_EEEEPS9_S9_NSD_9__find_if7functorIS9_EEEE10hipError_tPvRmT1_T2_T3_mT4_P12ihipStream_tbEUlT_E1_NS1_11comp_targetILNS1_3genE9ELNS1_11target_archE1100ELNS1_3gpuE3ELNS1_3repE0EEENS1_30default_config_static_selectorELNS0_4arch9wavefront6targetE0EEEvS14_,@function
_ZN7rocprim17ROCPRIM_400000_NS6detail17trampoline_kernelINS0_14default_configENS1_22reduce_config_selectorIN6thrust23THRUST_200600_302600_NS5tupleIblNS6_9null_typeES8_S8_S8_S8_S8_S8_S8_EEEEZNS1_11reduce_implILb1ES3_NS6_12zip_iteratorINS7_INS6_11hip_rocprim26transform_input_iterator_tIbNSD_35transform_pair_of_input_iterators_tIbNS6_6detail15normal_iteratorINS6_10device_ptrIKyEEEESL_NS6_8equal_toIyEEEENSG_9not_fun_tINSD_8identityEEEEENSD_19counting_iterator_tIlEES8_S8_S8_S8_S8_S8_S8_S8_EEEEPS9_S9_NSD_9__find_if7functorIS9_EEEE10hipError_tPvRmT1_T2_T3_mT4_P12ihipStream_tbEUlT_E1_NS1_11comp_targetILNS1_3genE9ELNS1_11target_archE1100ELNS1_3gpuE3ELNS1_3repE0EEENS1_30default_config_static_selectorELNS0_4arch9wavefront6targetE0EEEvS14_: ; @_ZN7rocprim17ROCPRIM_400000_NS6detail17trampoline_kernelINS0_14default_configENS1_22reduce_config_selectorIN6thrust23THRUST_200600_302600_NS5tupleIblNS6_9null_typeES8_S8_S8_S8_S8_S8_S8_EEEEZNS1_11reduce_implILb1ES3_NS6_12zip_iteratorINS7_INS6_11hip_rocprim26transform_input_iterator_tIbNSD_35transform_pair_of_input_iterators_tIbNS6_6detail15normal_iteratorINS6_10device_ptrIKyEEEESL_NS6_8equal_toIyEEEENSG_9not_fun_tINSD_8identityEEEEENSD_19counting_iterator_tIlEES8_S8_S8_S8_S8_S8_S8_S8_EEEEPS9_S9_NSD_9__find_if7functorIS9_EEEE10hipError_tPvRmT1_T2_T3_mT4_P12ihipStream_tbEUlT_E1_NS1_11comp_targetILNS1_3genE9ELNS1_11target_archE1100ELNS1_3gpuE3ELNS1_3repE0EEENS1_30default_config_static_selectorELNS0_4arch9wavefront6targetE0EEEvS14_
; %bb.0:
	s_mov_b32 s10, s15
	s_clause 0x4
	s_load_b32 s25, s[0:1], 0x4
	s_load_b128 s[16:19], s[0:1], 0x8
	s_load_b128 s[12:15], s[0:1], 0x28
	s_load_b32 s24, s[0:1], 0x40
	s_load_b64 s[20:21], s[0:1], 0x48
	s_waitcnt lgkmcnt(0)
	s_cmp_lt_i32 s25, 4
	s_cbranch_scc1 .LBB481_19
; %bb.1:
	s_cmp_gt_i32 s25, 7
	s_cbranch_scc0 .LBB481_20
; %bb.2:
	s_cmp_eq_u32 s25, 8
	s_mov_b32 s27, 0
	s_cbranch_scc0 .LBB481_21
; %bb.3:
	s_mov_b32 s11, 0
	s_lshl_b32 s6, s10, 11
	s_mov_b32 s7, s11
	s_lshr_b64 s[4:5], s[14:15], 11
	s_lshl_b64 s[2:3], s[6:7], 3
	s_delay_alu instid0(SALU_CYCLE_1)
	s_add_u32 s8, s16, s2
	s_addc_u32 s9, s17, s3
	s_add_u32 s22, s18, s2
	s_addc_u32 s23, s19, s3
	;; [unrolled: 2-line block ×3, first 2 shown]
	s_cmp_lg_u64 s[4:5], s[10:11]
	s_cbranch_scc0 .LBB481_40
; %bb.4:
	v_lshlrev_b32_e32 v7, 3, v0
	v_mov_b32_e32 v33, 0x100
	s_delay_alu instid0(VALU_DEP_2) | instskip(NEXT) | instid1(VALU_DEP_1)
	v_add_co_u32 v27, s2, s8, v7
	v_add_co_ci_u32_e64 v28, null, s9, 0, s2
	v_add_co_u32 v25, s2, s22, v7
	s_delay_alu instid0(VALU_DEP_3) | instskip(NEXT) | instid1(VALU_DEP_3)
	v_add_co_u32 v9, vcc_lo, 0x1000, v27
	v_add_co_ci_u32_e32 v10, vcc_lo, 0, v28, vcc_lo
	v_add_co_ci_u32_e64 v26, null, s23, 0, s2
	v_add_co_u32 v11, vcc_lo, v27, 0x2000
	v_add_co_ci_u32_e32 v12, vcc_lo, 0, v28, vcc_lo
	s_clause 0x3
	global_load_b64 v[1:2], v7, s[8:9]
	global_load_b64 v[3:4], v7, s[22:23] offset:2048
	global_load_b64 v[5:6], v7, s[22:23]
	global_load_b64 v[7:8], v7, s[8:9] offset:2048
	v_add_co_u32 v13, vcc_lo, 0x1000, v25
	v_add_co_ci_u32_e32 v14, vcc_lo, 0, v26, vcc_lo
	v_add_co_u32 v15, vcc_lo, v25, 0x2000
	v_add_co_ci_u32_e32 v16, vcc_lo, 0, v26, vcc_lo
	;; [unrolled: 2-line block ×3, first 2 shown]
	v_add_co_u32 v21, vcc_lo, 0x2000, v25
	global_load_b64 v[9:10], v[9:10], off offset:2048
	global_load_b64 v[13:14], v[13:14], off offset:2048
	v_add_co_ci_u32_e32 v22, vcc_lo, 0, v26, vcc_lo
	v_add_co_u32 v25, vcc_lo, 0x3000, v25
	v_add_co_ci_u32_e32 v26, vcc_lo, 0, v26, vcc_lo
	s_clause 0x1
	global_load_b64 v[19:20], v[11:12], off offset:-4096
	global_load_b64 v[11:12], v[11:12], off
	v_add_co_u32 v27, vcc_lo, 0x3000, v27
	s_clause 0x1
	global_load_b64 v[23:24], v[15:16], off offset:-4096
	global_load_b64 v[15:16], v[15:16], off
	global_load_b64 v[17:18], v[17:18], off offset:2048
	v_add_co_ci_u32_e32 v28, vcc_lo, 0, v28, vcc_lo
	s_clause 0x1
	global_load_b64 v[21:22], v[21:22], off offset:2048
	global_load_b64 v[29:30], v[25:26], off
	s_clause 0x1
	global_load_b64 v[31:32], v[27:28], off
	global_load_b64 v[27:28], v[27:28], off offset:2048
	global_load_b64 v[25:26], v[25:26], off offset:2048
	s_waitcnt vmcnt(13)
	v_cmp_ne_u64_e64 s2, v[1:2], v[5:6]
	v_mov_b32_e32 v2, 0x500
	s_waitcnt vmcnt(12)
	v_cmp_ne_u64_e32 vcc_lo, v[7:8], v[3:4]
	v_mov_b32_e32 v1, 0x300
	v_cndmask_b32_e32 v3, 0x200, v33, vcc_lo
	s_or_b32 s5, s2, vcc_lo
	s_delay_alu instid0(VALU_DEP_1) | instskip(SKIP_2) | instid1(VALU_DEP_1)
	v_cndmask_b32_e64 v3, v3, 0, s2
	s_waitcnt vmcnt(10)
	v_cmp_ne_u64_e64 s2, v[9:10], v[13:14]
	v_cndmask_b32_e64 v1, 0x400, v1, s2
	s_waitcnt vmcnt(7)
	v_cmp_ne_u64_e32 vcc_lo, v[19:20], v[23:24]
	s_waitcnt vmcnt(6)
	v_cmp_ne_u64_e64 s3, v[11:12], v[15:16]
	s_waitcnt vmcnt(4)
	v_cmp_ne_u64_e64 s4, v[17:18], v[21:22]
	s_or_b32 vcc_lo, s5, vcc_lo
	s_waitcnt vmcnt(2)
	v_cmp_ne_u64_e64 s5, v[31:32], v[29:30]
	s_delay_alu instid0(VALU_DEP_2)
	v_cndmask_b32_e64 v2, 0x600, v2, s4
	v_cndmask_b32_e32 v1, v1, v3, vcc_lo
	s_or_b32 s2, vcc_lo, s2
	s_waitcnt vmcnt(0)
	v_cmp_ne_u64_e32 vcc_lo, v[27:28], v[25:26]
	s_or_b32 s2, s2, s3
	s_delay_alu instid0(SALU_CYCLE_1)
	v_cndmask_b32_e64 v1, v2, v1, s2
	s_or_b32 s2, s2, s4
	s_mov_b32 s4, exec_lo
	s_or_b32 s2, s2, s5
	s_delay_alu instid0(VALU_DEP_1) | instid1(SALU_CYCLE_1)
	v_cndmask_b32_e64 v1, 0x700, v1, s2
	s_or_b32 s3, s2, vcc_lo
	v_add_co_u32 v2, s2, s26, v0
	v_cndmask_b32_e64 v5, 0, 1, s3
	v_add_co_ci_u32_e64 v3, null, s28, 0, s2
	s_delay_alu instid0(VALU_DEP_3) | instskip(NEXT) | instid1(VALU_DEP_3)
	v_add_co_u32 v1, vcc_lo, v2, v1
	v_mov_b32_dpp v6, v5 quad_perm:[1,0,3,2] row_mask:0xf bank_mask:0xf
	s_delay_alu instid0(VALU_DEP_3) | instskip(NEXT) | instid1(VALU_DEP_3)
	v_add_co_ci_u32_e32 v2, vcc_lo, 0, v3, vcc_lo
	v_mov_b32_dpp v3, v1 quad_perm:[1,0,3,2] row_mask:0xf bank_mask:0xf
	s_delay_alu instid0(VALU_DEP_3) | instskip(NEXT) | instid1(VALU_DEP_3)
	v_and_b32_e32 v7, 1, v6
	v_mov_b32_dpp v4, v2 quad_perm:[1,0,3,2] row_mask:0xf bank_mask:0xf
	s_delay_alu instid0(VALU_DEP_2)
	v_cmpx_eq_u32_e32 1, v7
; %bb.5:
	v_cndmask_b32_e64 v5, v6, 1, s3
	s_delay_alu instid0(VALU_DEP_3) | instskip(NEXT) | instid1(VALU_DEP_2)
	v_cmp_lt_i64_e32 vcc_lo, v[1:2], v[3:4]
	v_and_b32_e32 v6, 1, v5
	v_and_b32_e32 v5, 0xff, v5
	s_and_b32 vcc_lo, s3, vcc_lo
	s_and_not1_b32 s3, s3, exec_lo
	v_dual_cndmask_b32 v2, v4, v2 :: v_dual_cndmask_b32 v1, v3, v1
	v_cmp_eq_u32_e64 s2, 1, v6
	s_delay_alu instid0(VALU_DEP_1) | instskip(NEXT) | instid1(SALU_CYCLE_1)
	s_and_b32 s2, s2, exec_lo
	s_or_b32 s3, s3, s2
; %bb.6:
	s_or_b32 exec_lo, exec_lo, s4
	v_mov_b32_dpp v6, v5 quad_perm:[2,3,0,1] row_mask:0xf bank_mask:0xf
	v_mov_b32_dpp v3, v1 quad_perm:[2,3,0,1] row_mask:0xf bank_mask:0xf
	;; [unrolled: 1-line block ×3, first 2 shown]
	s_mov_b32 s4, exec_lo
	s_delay_alu instid0(VALU_DEP_3) | instskip(NEXT) | instid1(VALU_DEP_1)
	v_and_b32_e32 v7, 1, v6
	v_cmpx_eq_u32_e32 1, v7
; %bb.7:
	v_cndmask_b32_e64 v5, v6, 1, s3
	v_cmp_lt_i64_e32 vcc_lo, v[1:2], v[3:4]
	s_delay_alu instid0(VALU_DEP_2)
	v_and_b32_e32 v6, 1, v5
	v_and_b32_e32 v5, 0xff, v5
	s_and_b32 vcc_lo, s3, vcc_lo
	s_and_not1_b32 s3, s3, exec_lo
	v_dual_cndmask_b32 v2, v4, v2 :: v_dual_cndmask_b32 v1, v3, v1
	v_cmp_eq_u32_e64 s2, 1, v6
	s_delay_alu instid0(VALU_DEP_1) | instskip(NEXT) | instid1(SALU_CYCLE_1)
	s_and_b32 s2, s2, exec_lo
	s_or_b32 s3, s3, s2
; %bb.8:
	s_or_b32 exec_lo, exec_lo, s4
	v_mov_b32_dpp v6, v5 row_ror:4 row_mask:0xf bank_mask:0xf
	v_mov_b32_dpp v3, v1 row_ror:4 row_mask:0xf bank_mask:0xf
	;; [unrolled: 1-line block ×3, first 2 shown]
	s_mov_b32 s4, exec_lo
	s_delay_alu instid0(VALU_DEP_3) | instskip(NEXT) | instid1(VALU_DEP_1)
	v_and_b32_e32 v7, 1, v6
	v_cmpx_eq_u32_e32 1, v7
; %bb.9:
	v_cndmask_b32_e64 v5, v6, 1, s3
	v_cmp_lt_i64_e32 vcc_lo, v[1:2], v[3:4]
	s_delay_alu instid0(VALU_DEP_2)
	v_and_b32_e32 v6, 1, v5
	v_and_b32_e32 v5, 0xff, v5
	s_and_b32 vcc_lo, s3, vcc_lo
	s_and_not1_b32 s3, s3, exec_lo
	v_dual_cndmask_b32 v2, v4, v2 :: v_dual_cndmask_b32 v1, v3, v1
	v_cmp_eq_u32_e64 s2, 1, v6
	s_delay_alu instid0(VALU_DEP_1) | instskip(NEXT) | instid1(SALU_CYCLE_1)
	s_and_b32 s2, s2, exec_lo
	s_or_b32 s3, s3, s2
; %bb.10:
	s_or_b32 exec_lo, exec_lo, s4
	v_mov_b32_dpp v6, v5 row_ror:8 row_mask:0xf bank_mask:0xf
	v_mov_b32_dpp v3, v1 row_ror:8 row_mask:0xf bank_mask:0xf
	;; [unrolled: 1-line block ×3, first 2 shown]
	s_mov_b32 s4, exec_lo
	s_delay_alu instid0(VALU_DEP_3) | instskip(NEXT) | instid1(VALU_DEP_1)
	v_and_b32_e32 v7, 1, v6
	v_cmpx_eq_u32_e32 1, v7
; %bb.11:
	v_cndmask_b32_e64 v5, v6, 1, s3
	v_cmp_lt_i64_e32 vcc_lo, v[1:2], v[3:4]
	s_delay_alu instid0(VALU_DEP_2)
	v_and_b32_e32 v6, 1, v5
	v_and_b32_e32 v5, 0xff, v5
	s_and_b32 vcc_lo, s3, vcc_lo
	s_and_not1_b32 s3, s3, exec_lo
	v_dual_cndmask_b32 v2, v4, v2 :: v_dual_cndmask_b32 v1, v3, v1
	v_cmp_eq_u32_e64 s2, 1, v6
	s_delay_alu instid0(VALU_DEP_1) | instskip(NEXT) | instid1(SALU_CYCLE_1)
	s_and_b32 s2, s2, exec_lo
	s_or_b32 s3, s3, s2
; %bb.12:
	s_or_b32 exec_lo, exec_lo, s4
	ds_swizzle_b32 v6, v5 offset:swizzle(BROADCAST,32,15)
	ds_swizzle_b32 v3, v1 offset:swizzle(BROADCAST,32,15)
	;; [unrolled: 1-line block ×3, first 2 shown]
	s_mov_b32 s2, exec_lo
	s_waitcnt lgkmcnt(2)
	v_and_b32_e32 v7, 1, v6
	s_delay_alu instid0(VALU_DEP_1)
	v_cmpx_eq_u32_e32 1, v7
	s_cbranch_execz .LBB481_14
; %bb.13:
	s_waitcnt lgkmcnt(0)
	v_cmp_lt_i64_e32 vcc_lo, v[1:2], v[3:4]
	v_and_b32_e32 v5, 0xff, v6
	s_delay_alu instid0(VALU_DEP_1)
	v_cndmask_b32_e64 v5, v5, 1, s3
	s_and_b32 vcc_lo, s3, vcc_lo
	v_dual_cndmask_b32 v1, v3, v1 :: v_dual_cndmask_b32 v2, v4, v2
.LBB481_14:
	s_or_b32 exec_lo, exec_lo, s2
	s_waitcnt lgkmcnt(1)
	v_mov_b32_e32 v3, 0
	s_mov_b32 s2, exec_lo
	ds_bpermute_b32 v6, v3, v5 offset:124
	ds_bpermute_b32 v1, v3, v1 offset:124
	;; [unrolled: 1-line block ×3, first 2 shown]
	v_mbcnt_lo_u32_b32 v3, -1, 0
	s_delay_alu instid0(VALU_DEP_1)
	v_cmpx_eq_u32_e32 0, v3
	s_cbranch_execz .LBB481_16
; %bb.15:
	s_waitcnt lgkmcnt(3)
	v_lshrrev_b32_e32 v4, 1, v0
	s_delay_alu instid0(VALU_DEP_1)
	v_and_b32_e32 v4, 0x70, v4
	s_waitcnt lgkmcnt(2)
	ds_store_b8 v4, v6 offset:384
	s_waitcnt lgkmcnt(1)
	ds_store_b64 v4, v[1:2] offset:392
.LBB481_16:
	s_or_b32 exec_lo, exec_lo, s2
	s_delay_alu instid0(SALU_CYCLE_1)
	s_mov_b32 s4, exec_lo
	s_waitcnt lgkmcnt(0)
	s_barrier
	buffer_gl0_inv
	v_cmpx_gt_u32_e32 32, v0
	s_cbranch_execz .LBB481_18
; %bb.17:
	v_and_b32_e32 v6, 7, v3
	s_delay_alu instid0(VALU_DEP_1)
	v_lshlrev_b32_e32 v1, 4, v6
	v_cmp_ne_u32_e32 vcc_lo, 7, v6
	ds_load_u8 v7, v1 offset:384
	ds_load_b64 v[1:2], v1 offset:392
	v_add_co_ci_u32_e32 v4, vcc_lo, 0, v3, vcc_lo
	v_cmp_gt_u32_e32 vcc_lo, 6, v6
	s_delay_alu instid0(VALU_DEP_2)
	v_lshlrev_b32_e32 v5, 2, v4
	v_cndmask_b32_e64 v10, 0, 1, vcc_lo
	s_waitcnt lgkmcnt(1)
	v_and_b32_e32 v4, 0xff, v7
	v_and_b32_e32 v11, 1, v7
	ds_bpermute_b32 v8, v5, v4
	s_waitcnt lgkmcnt(1)
	ds_bpermute_b32 v4, v5, v1
	ds_bpermute_b32 v5, v5, v2
	v_cmp_eq_u32_e64 s3, 1, v11
	s_waitcnt lgkmcnt(2)
	v_and_b32_e32 v9, 1, v8
	s_waitcnt lgkmcnt(0)
	v_cmp_lt_i64_e64 s2, v[4:5], v[1:2]
	s_delay_alu instid0(VALU_DEP_2) | instskip(SKIP_2) | instid1(VALU_DEP_4)
	v_cmp_eq_u32_e32 vcc_lo, 1, v9
	v_lshlrev_b32_e32 v9, 1, v10
	v_cndmask_b32_e64 v7, v7, 1, vcc_lo
	s_and_b32 vcc_lo, vcc_lo, s2
	v_dual_cndmask_b32 v1, v1, v4 :: v_dual_cndmask_b32 v2, v2, v5
	s_delay_alu instid0(VALU_DEP_2) | instskip(SKIP_2) | instid1(VALU_DEP_4)
	v_cndmask_b32_e64 v7, v8, v7, s3
	v_add_lshl_u32 v8, v9, v3, 2
	v_cmp_gt_u32_e32 vcc_lo, 4, v6
	v_cndmask_b32_e64 v1, v4, v1, s3
	v_cndmask_b32_e64 v2, v5, v2, s3
	v_and_b32_e32 v9, 0xff, v7
	v_and_b32_e32 v10, 1, v7
	v_cndmask_b32_e64 v6, 0, 1, vcc_lo
	ds_bpermute_b32 v4, v8, v1
	ds_bpermute_b32 v5, v8, v2
	;; [unrolled: 1-line block ×3, first 2 shown]
	v_cmp_eq_u32_e64 s3, 1, v10
	s_waitcnt lgkmcnt(1)
	v_cmp_lt_i64_e64 s2, v[4:5], v[1:2]
	s_waitcnt lgkmcnt(0)
	v_and_b32_e32 v8, 1, v9
	s_delay_alu instid0(VALU_DEP_1) | instskip(SKIP_1) | instid1(VALU_DEP_4)
	v_cmp_eq_u32_e32 vcc_lo, 1, v8
	v_cndmask_b32_e64 v7, v7, 1, vcc_lo
	s_and_b32 vcc_lo, vcc_lo, s2
	v_dual_cndmask_b32 v1, v1, v4 :: v_dual_cndmask_b32 v2, v2, v5
	s_delay_alu instid0(VALU_DEP_2) | instskip(NEXT) | instid1(VALU_DEP_2)
	v_cndmask_b32_e64 v7, v9, v7, s3
	v_cndmask_b32_e64 v1, v4, v1, s3
	v_lshlrev_b32_e32 v6, 2, v6
	s_delay_alu instid0(VALU_DEP_4) | instskip(NEXT) | instid1(VALU_DEP_2)
	v_cndmask_b32_e64 v2, v5, v2, s3
	v_add_lshl_u32 v6, v6, v3, 2
	v_and_b32_e32 v3, 0xff, v7
	ds_bpermute_b32 v4, v6, v2
	ds_bpermute_b32 v5, v6, v3
	;; [unrolled: 1-line block ×3, first 2 shown]
	s_waitcnt lgkmcnt(1)
	v_and_b32_e32 v6, 1, v5
	s_waitcnt lgkmcnt(0)
	v_cmp_lt_i64_e32 vcc_lo, v[3:4], v[1:2]
	s_delay_alu instid0(VALU_DEP_2) | instskip(SKIP_1) | instid1(VALU_DEP_2)
	v_cmp_eq_u32_e64 s2, 1, v6
	v_and_b32_e32 v6, 1, v7
	v_cndmask_b32_e64 v7, v7, 1, s2
	s_and_b32 vcc_lo, s2, vcc_lo
	s_delay_alu instid0(VALU_DEP_2) | instskip(SKIP_1) | instid1(VALU_DEP_2)
	v_cmp_eq_u32_e64 s2, 1, v6
	v_dual_cndmask_b32 v1, v1, v3 :: v_dual_cndmask_b32 v2, v2, v4
	v_cndmask_b32_e64 v5, v5, v7, s2
	s_delay_alu instid0(VALU_DEP_2) | instskip(NEXT) | instid1(VALU_DEP_3)
	v_cndmask_b32_e64 v1, v3, v1, s2
	v_cndmask_b32_e64 v2, v4, v2, s2
	s_delay_alu instid0(VALU_DEP_3)
	v_and_b32_e32 v6, 0xff, v5
.LBB481_18:
	s_or_b32 exec_lo, exec_lo, s4
	s_branch .LBB481_85
.LBB481_19:
	s_mov_b32 s26, 0
                                        ; implicit-def: $vgpr3_vgpr4
                                        ; implicit-def: $vgpr5
	s_cbranch_execnz .LBB481_129
	s_branch .LBB481_200
.LBB481_20:
	s_mov_b32 s27, -1
.LBB481_21:
	s_mov_b32 s26, 0
                                        ; implicit-def: $vgpr3_vgpr4
                                        ; implicit-def: $vgpr5
	s_and_b32 vcc_lo, exec_lo, s27
	s_cbranch_vccz .LBB481_90
.LBB481_22:
	s_cmp_eq_u32 s25, 4
	s_cbranch_scc0 .LBB481_39
; %bb.23:
	s_mov_b32 s11, 0
	s_lshl_b32 s22, s10, 10
	s_mov_b32 s23, s11
	s_lshr_b64 s[28:29], s[14:15], 10
	s_lshl_b64 s[2:3], s[22:23], 3
	s_delay_alu instid0(SALU_CYCLE_1)
	s_add_u32 s6, s16, s2
	s_addc_u32 s7, s17, s3
	s_add_u32 s8, s18, s2
	s_addc_u32 s9, s19, s3
	;; [unrolled: 2-line block ×3, first 2 shown]
	s_cmp_lg_u64 s[28:29], s[10:11]
	s_cbranch_scc0 .LBB481_91
; %bb.24:
	v_lshlrev_b32_e32 v11, 3, v0
	v_mov_b32_e32 v17, 0x100
	global_load_b64 v[1:2], v11, s[8:9] offset:2048
	s_waitcnt lgkmcnt(0)
	global_load_b64 v[3:4], v11, s[6:7] offset:2048
	v_add_co_u32 v7, s2, s6, v11
	s_delay_alu instid0(VALU_DEP_1) | instskip(SKIP_1) | instid1(VALU_DEP_1)
	v_add_co_ci_u32_e64 v8, null, s7, 0, s2
	v_add_co_u32 v5, s2, s8, v11
	v_add_co_ci_u32_e64 v6, null, s9, 0, s2
	s_delay_alu instid0(VALU_DEP_2) | instskip(NEXT) | instid1(VALU_DEP_2)
	v_add_co_u32 v5, vcc_lo, 0x1000, v5
	v_add_co_ci_u32_e32 v6, vcc_lo, 0, v6, vcc_lo
	v_add_co_u32 v7, vcc_lo, 0x1000, v7
	v_add_co_ci_u32_e32 v8, vcc_lo, 0, v8, vcc_lo
	s_clause 0x1
	global_load_b64 v[9:10], v11, s[8:9]
	global_load_b64 v[11:12], v11, s[6:7]
	global_load_b64 v[13:14], v[5:6], off
	s_clause 0x1
	global_load_b64 v[15:16], v[7:8], off
	global_load_b64 v[7:8], v[7:8], off offset:2048
	global_load_b64 v[5:6], v[5:6], off offset:2048
	s_waitcnt vmcnt(6)
	v_cmp_ne_u64_e32 vcc_lo, v[3:4], v[1:2]
	v_cndmask_b32_e32 v1, 0x200, v17, vcc_lo
	s_waitcnt vmcnt(4)
	v_cmp_ne_u64_e64 s2, v[11:12], v[9:10]
	s_waitcnt vmcnt(2)
	v_cmp_ne_u64_e64 s3, v[15:16], v[13:14]
	;; [unrolled: 2-line block ×3, first 2 shown]
	s_delay_alu instid0(VALU_DEP_3)
	v_cndmask_b32_e64 v1, v1, 0, s2
	s_or_b32 s2, s2, vcc_lo
	s_delay_alu instid0(VALU_DEP_3) | instid1(SALU_CYCLE_1)
	s_or_b32 vcc_lo, s2, s3
	v_add_co_u32 v2, s2, s5, v0
	s_delay_alu instid0(VALU_DEP_2) | instskip(SKIP_3) | instid1(VALU_DEP_3)
	v_cndmask_b32_e32 v1, 0x300, v1, vcc_lo
	s_or_b32 s3, vcc_lo, s4
	v_add_co_ci_u32_e64 v3, null, s23, 0, s2
	v_cndmask_b32_e64 v5, 0, 1, s3
	v_add_co_u32 v1, vcc_lo, v2, v1
	s_delay_alu instid0(VALU_DEP_3) | instskip(NEXT) | instid1(VALU_DEP_3)
	v_add_co_ci_u32_e32 v2, vcc_lo, 0, v3, vcc_lo
	v_mov_b32_dpp v6, v5 quad_perm:[1,0,3,2] row_mask:0xf bank_mask:0xf
	s_delay_alu instid0(VALU_DEP_3) | instskip(SKIP_1) | instid1(VALU_DEP_3)
	v_mov_b32_dpp v3, v1 quad_perm:[1,0,3,2] row_mask:0xf bank_mask:0xf
	s_mov_b32 s4, exec_lo
	v_mov_b32_dpp v4, v2 quad_perm:[1,0,3,2] row_mask:0xf bank_mask:0xf
	s_delay_alu instid0(VALU_DEP_3) | instskip(NEXT) | instid1(VALU_DEP_1)
	v_and_b32_e32 v7, 1, v6
	v_cmpx_eq_u32_e32 1, v7
; %bb.25:
	v_cndmask_b32_e64 v5, v6, 1, s3
	s_delay_alu instid0(VALU_DEP_4) | instskip(NEXT) | instid1(VALU_DEP_2)
	v_cmp_lt_i64_e32 vcc_lo, v[1:2], v[3:4]
	v_and_b32_e32 v6, 1, v5
	v_and_b32_e32 v5, 0xff, v5
	s_and_b32 vcc_lo, s3, vcc_lo
	s_and_not1_b32 s3, s3, exec_lo
	v_dual_cndmask_b32 v2, v4, v2 :: v_dual_cndmask_b32 v1, v3, v1
	v_cmp_eq_u32_e64 s2, 1, v6
	s_delay_alu instid0(VALU_DEP_1) | instskip(NEXT) | instid1(SALU_CYCLE_1)
	s_and_b32 s2, s2, exec_lo
	s_or_b32 s3, s3, s2
; %bb.26:
	s_or_b32 exec_lo, exec_lo, s4
	v_mov_b32_dpp v6, v5 quad_perm:[2,3,0,1] row_mask:0xf bank_mask:0xf
	v_mov_b32_dpp v3, v1 quad_perm:[2,3,0,1] row_mask:0xf bank_mask:0xf
	;; [unrolled: 1-line block ×3, first 2 shown]
	s_mov_b32 s4, exec_lo
	s_delay_alu instid0(VALU_DEP_3) | instskip(NEXT) | instid1(VALU_DEP_1)
	v_and_b32_e32 v7, 1, v6
	v_cmpx_eq_u32_e32 1, v7
; %bb.27:
	v_cndmask_b32_e64 v5, v6, 1, s3
	v_cmp_lt_i64_e32 vcc_lo, v[1:2], v[3:4]
	s_delay_alu instid0(VALU_DEP_2)
	v_and_b32_e32 v6, 1, v5
	v_and_b32_e32 v5, 0xff, v5
	s_and_b32 vcc_lo, s3, vcc_lo
	s_and_not1_b32 s3, s3, exec_lo
	v_dual_cndmask_b32 v2, v4, v2 :: v_dual_cndmask_b32 v1, v3, v1
	v_cmp_eq_u32_e64 s2, 1, v6
	s_delay_alu instid0(VALU_DEP_1) | instskip(NEXT) | instid1(SALU_CYCLE_1)
	s_and_b32 s2, s2, exec_lo
	s_or_b32 s3, s3, s2
; %bb.28:
	s_or_b32 exec_lo, exec_lo, s4
	v_mov_b32_dpp v6, v5 row_ror:4 row_mask:0xf bank_mask:0xf
	v_mov_b32_dpp v3, v1 row_ror:4 row_mask:0xf bank_mask:0xf
	;; [unrolled: 1-line block ×3, first 2 shown]
	s_mov_b32 s4, exec_lo
	s_delay_alu instid0(VALU_DEP_3) | instskip(NEXT) | instid1(VALU_DEP_1)
	v_and_b32_e32 v7, 1, v6
	v_cmpx_eq_u32_e32 1, v7
; %bb.29:
	v_cndmask_b32_e64 v5, v6, 1, s3
	v_cmp_lt_i64_e32 vcc_lo, v[1:2], v[3:4]
	s_delay_alu instid0(VALU_DEP_2)
	v_and_b32_e32 v6, 1, v5
	v_and_b32_e32 v5, 0xff, v5
	s_and_b32 vcc_lo, s3, vcc_lo
	s_and_not1_b32 s3, s3, exec_lo
	v_dual_cndmask_b32 v2, v4, v2 :: v_dual_cndmask_b32 v1, v3, v1
	v_cmp_eq_u32_e64 s2, 1, v6
	s_delay_alu instid0(VALU_DEP_1) | instskip(NEXT) | instid1(SALU_CYCLE_1)
	s_and_b32 s2, s2, exec_lo
	s_or_b32 s3, s3, s2
; %bb.30:
	s_or_b32 exec_lo, exec_lo, s4
	v_mov_b32_dpp v6, v5 row_ror:8 row_mask:0xf bank_mask:0xf
	v_mov_b32_dpp v3, v1 row_ror:8 row_mask:0xf bank_mask:0xf
	;; [unrolled: 1-line block ×3, first 2 shown]
	s_mov_b32 s4, exec_lo
	s_delay_alu instid0(VALU_DEP_3) | instskip(NEXT) | instid1(VALU_DEP_1)
	v_and_b32_e32 v7, 1, v6
	v_cmpx_eq_u32_e32 1, v7
; %bb.31:
	v_cndmask_b32_e64 v5, v6, 1, s3
	v_cmp_lt_i64_e32 vcc_lo, v[1:2], v[3:4]
	s_delay_alu instid0(VALU_DEP_2)
	v_and_b32_e32 v6, 1, v5
	v_and_b32_e32 v5, 0xff, v5
	s_and_b32 vcc_lo, s3, vcc_lo
	s_and_not1_b32 s3, s3, exec_lo
	v_dual_cndmask_b32 v2, v4, v2 :: v_dual_cndmask_b32 v1, v3, v1
	v_cmp_eq_u32_e64 s2, 1, v6
	s_delay_alu instid0(VALU_DEP_1) | instskip(NEXT) | instid1(SALU_CYCLE_1)
	s_and_b32 s2, s2, exec_lo
	s_or_b32 s3, s3, s2
; %bb.32:
	s_or_b32 exec_lo, exec_lo, s4
	ds_swizzle_b32 v6, v5 offset:swizzle(BROADCAST,32,15)
	ds_swizzle_b32 v3, v1 offset:swizzle(BROADCAST,32,15)
	;; [unrolled: 1-line block ×3, first 2 shown]
	s_mov_b32 s2, exec_lo
	s_waitcnt lgkmcnt(2)
	v_and_b32_e32 v7, 1, v6
	s_delay_alu instid0(VALU_DEP_1)
	v_cmpx_eq_u32_e32 1, v7
	s_cbranch_execz .LBB481_34
; %bb.33:
	s_waitcnt lgkmcnt(0)
	v_cmp_lt_i64_e32 vcc_lo, v[1:2], v[3:4]
	v_and_b32_e32 v5, 0xff, v6
	s_delay_alu instid0(VALU_DEP_1)
	v_cndmask_b32_e64 v5, v5, 1, s3
	s_and_b32 vcc_lo, s3, vcc_lo
	v_dual_cndmask_b32 v1, v3, v1 :: v_dual_cndmask_b32 v2, v4, v2
.LBB481_34:
	s_or_b32 exec_lo, exec_lo, s2
	s_waitcnt lgkmcnt(1)
	v_mov_b32_e32 v3, 0
	s_mov_b32 s2, exec_lo
	ds_bpermute_b32 v6, v3, v5 offset:124
	ds_bpermute_b32 v1, v3, v1 offset:124
	;; [unrolled: 1-line block ×3, first 2 shown]
	v_mbcnt_lo_u32_b32 v3, -1, 0
	s_delay_alu instid0(VALU_DEP_1)
	v_cmpx_eq_u32_e32 0, v3
	s_cbranch_execz .LBB481_36
; %bb.35:
	s_waitcnt lgkmcnt(3)
	v_lshrrev_b32_e32 v4, 1, v0
	s_delay_alu instid0(VALU_DEP_1)
	v_and_b32_e32 v4, 0x70, v4
	s_waitcnt lgkmcnt(2)
	ds_store_b8 v4, v6 offset:256
	s_waitcnt lgkmcnt(1)
	ds_store_b64 v4, v[1:2] offset:264
.LBB481_36:
	s_or_b32 exec_lo, exec_lo, s2
	s_delay_alu instid0(SALU_CYCLE_1)
	s_mov_b32 s4, exec_lo
	s_waitcnt lgkmcnt(0)
	s_barrier
	buffer_gl0_inv
	v_cmpx_gt_u32_e32 32, v0
	s_cbranch_execz .LBB481_38
; %bb.37:
	v_and_b32_e32 v6, 7, v3
	s_delay_alu instid0(VALU_DEP_1)
	v_lshlrev_b32_e32 v1, 4, v6
	v_cmp_ne_u32_e32 vcc_lo, 7, v6
	ds_load_u8 v7, v1 offset:256
	ds_load_b64 v[1:2], v1 offset:264
	v_add_co_ci_u32_e32 v4, vcc_lo, 0, v3, vcc_lo
	v_cmp_gt_u32_e32 vcc_lo, 6, v6
	s_delay_alu instid0(VALU_DEP_2)
	v_lshlrev_b32_e32 v5, 2, v4
	v_cndmask_b32_e64 v10, 0, 1, vcc_lo
	s_waitcnt lgkmcnt(1)
	v_and_b32_e32 v4, 0xff, v7
	v_and_b32_e32 v11, 1, v7
	ds_bpermute_b32 v8, v5, v4
	s_waitcnt lgkmcnt(1)
	ds_bpermute_b32 v4, v5, v1
	ds_bpermute_b32 v5, v5, v2
	v_cmp_eq_u32_e64 s3, 1, v11
	s_waitcnt lgkmcnt(2)
	v_and_b32_e32 v9, 1, v8
	s_waitcnt lgkmcnt(0)
	v_cmp_lt_i64_e64 s2, v[4:5], v[1:2]
	s_delay_alu instid0(VALU_DEP_2) | instskip(SKIP_2) | instid1(VALU_DEP_4)
	v_cmp_eq_u32_e32 vcc_lo, 1, v9
	v_lshlrev_b32_e32 v9, 1, v10
	v_cndmask_b32_e64 v7, v7, 1, vcc_lo
	s_and_b32 vcc_lo, vcc_lo, s2
	v_dual_cndmask_b32 v1, v1, v4 :: v_dual_cndmask_b32 v2, v2, v5
	s_delay_alu instid0(VALU_DEP_2) | instskip(SKIP_2) | instid1(VALU_DEP_4)
	v_cndmask_b32_e64 v7, v8, v7, s3
	v_add_lshl_u32 v8, v9, v3, 2
	v_cmp_gt_u32_e32 vcc_lo, 4, v6
	v_cndmask_b32_e64 v1, v4, v1, s3
	v_cndmask_b32_e64 v2, v5, v2, s3
	v_and_b32_e32 v9, 0xff, v7
	v_and_b32_e32 v10, 1, v7
	v_cndmask_b32_e64 v6, 0, 1, vcc_lo
	ds_bpermute_b32 v4, v8, v1
	ds_bpermute_b32 v5, v8, v2
	;; [unrolled: 1-line block ×3, first 2 shown]
	v_cmp_eq_u32_e64 s3, 1, v10
	s_waitcnt lgkmcnt(1)
	v_cmp_lt_i64_e64 s2, v[4:5], v[1:2]
	s_waitcnt lgkmcnt(0)
	v_and_b32_e32 v8, 1, v9
	s_delay_alu instid0(VALU_DEP_1) | instskip(SKIP_1) | instid1(VALU_DEP_4)
	v_cmp_eq_u32_e32 vcc_lo, 1, v8
	v_cndmask_b32_e64 v7, v7, 1, vcc_lo
	s_and_b32 vcc_lo, vcc_lo, s2
	v_dual_cndmask_b32 v1, v1, v4 :: v_dual_cndmask_b32 v2, v2, v5
	s_delay_alu instid0(VALU_DEP_2) | instskip(NEXT) | instid1(VALU_DEP_2)
	v_cndmask_b32_e64 v7, v9, v7, s3
	v_cndmask_b32_e64 v1, v4, v1, s3
	v_lshlrev_b32_e32 v6, 2, v6
	s_delay_alu instid0(VALU_DEP_4) | instskip(NEXT) | instid1(VALU_DEP_2)
	v_cndmask_b32_e64 v2, v5, v2, s3
	v_add_lshl_u32 v6, v6, v3, 2
	v_and_b32_e32 v3, 0xff, v7
	ds_bpermute_b32 v4, v6, v2
	ds_bpermute_b32 v5, v6, v3
	;; [unrolled: 1-line block ×3, first 2 shown]
	s_waitcnt lgkmcnt(1)
	v_and_b32_e32 v6, 1, v5
	s_waitcnt lgkmcnt(0)
	v_cmp_lt_i64_e32 vcc_lo, v[3:4], v[1:2]
	s_delay_alu instid0(VALU_DEP_2) | instskip(SKIP_1) | instid1(VALU_DEP_2)
	v_cmp_eq_u32_e64 s2, 1, v6
	v_and_b32_e32 v6, 1, v7
	v_cndmask_b32_e64 v7, v7, 1, s2
	s_and_b32 vcc_lo, s2, vcc_lo
	s_delay_alu instid0(VALU_DEP_2) | instskip(SKIP_1) | instid1(VALU_DEP_2)
	v_cmp_eq_u32_e64 s2, 1, v6
	v_dual_cndmask_b32 v1, v1, v3 :: v_dual_cndmask_b32 v2, v2, v4
	v_cndmask_b32_e64 v5, v5, v7, s2
	s_delay_alu instid0(VALU_DEP_2) | instskip(NEXT) | instid1(VALU_DEP_3)
	v_cndmask_b32_e64 v1, v3, v1, s2
	v_cndmask_b32_e64 v2, v4, v2, s2
	s_delay_alu instid0(VALU_DEP_3)
	v_and_b32_e32 v6, 0xff, v5
.LBB481_38:
	s_or_b32 exec_lo, exec_lo, s4
	s_branch .LBB481_124
.LBB481_39:
                                        ; implicit-def: $vgpr3_vgpr4
                                        ; implicit-def: $vgpr5
	s_branch .LBB481_200
.LBB481_40:
                                        ; implicit-def: $vgpr1_vgpr2
                                        ; implicit-def: $vgpr6
	s_cbranch_execz .LBB481_85
; %bb.41:
	v_mov_b32_e32 v9, 0
	v_dual_mov_b32 v10, 0 :: v_dual_mov_b32 v21, 0
	s_delay_alu instid0(VALU_DEP_2) | instskip(SKIP_2) | instid1(VALU_DEP_3)
	v_mov_b32_e32 v1, v9
	v_mov_b32_e32 v17, 0
	s_sub_i32 s29, s14, s6
	v_mov_b32_e32 v2, v10
	s_mov_b32 s2, exec_lo
	v_cmpx_gt_u32_e64 s29, v0
	s_cbranch_execz .LBB481_43
; %bb.42:
	v_lshlrev_b32_e32 v1, 3, v0
	s_clause 0x1
	global_load_b64 v[3:4], v1, s[8:9]
	global_load_b64 v[5:6], v1, s[22:23]
	v_add_co_u32 v1, s3, s26, v0
	s_delay_alu instid0(VALU_DEP_1)
	v_add_co_ci_u32_e64 v2, null, s28, 0, s3
	s_waitcnt vmcnt(0)
	v_cmp_ne_u64_e32 vcc_lo, v[3:4], v[5:6]
	v_cndmask_b32_e64 v17, 0, 1, vcc_lo
.LBB481_43:
	s_or_b32 exec_lo, exec_lo, s2
	v_or_b32_e32 v3, 0x100, v0
	s_delay_alu instid0(VALU_DEP_1) | instskip(NEXT) | instid1(VALU_DEP_1)
	v_cmp_gt_u32_e64 s7, s29, v3
	s_and_saveexec_b32 s2, s7
	s_cbranch_execz .LBB481_45
; %bb.44:
	v_lshlrev_b32_e32 v6, 3, v0
	v_add_co_u32 v9, s3, s26, v3
	s_delay_alu instid0(VALU_DEP_1)
	v_add_co_ci_u32_e64 v10, null, s28, 0, s3
	s_clause 0x1
	global_load_b64 v[4:5], v6, s[8:9] offset:2048
	global_load_b64 v[6:7], v6, s[22:23] offset:2048
	s_waitcnt vmcnt(0)
	v_cmp_ne_u64_e32 vcc_lo, v[4:5], v[6:7]
	v_cndmask_b32_e64 v21, 0, 1, vcc_lo
.LBB481_45:
	s_or_b32 exec_lo, exec_lo, s2
	v_dual_mov_b32 v7, 0 :: v_dual_mov_b32 v20, 0
	v_mov_b32_e32 v8, 0
	v_or_b32_e32 v3, 0x200, v0
	v_mov_b32_e32 v24, 0
	s_delay_alu instid0(VALU_DEP_3) | instskip(NEXT) | instid1(VALU_DEP_3)
	v_dual_mov_b32 v16, v8 :: v_dual_mov_b32 v15, v7
	v_cmp_gt_u32_e64 s6, s29, v3
	s_delay_alu instid0(VALU_DEP_1)
	s_and_saveexec_b32 s2, s6
	s_cbranch_execz .LBB481_47
; %bb.46:
	v_lshlrev_b32_e32 v6, 3, v3
	v_add_co_u32 v15, s3, s26, v3
	s_delay_alu instid0(VALU_DEP_1)
	v_add_co_ci_u32_e64 v16, null, s28, 0, s3
	s_clause 0x1
	global_load_b64 v[4:5], v6, s[8:9]
	global_load_b64 v[11:12], v6, s[22:23]
	s_waitcnt vmcnt(0)
	v_cmp_ne_u64_e32 vcc_lo, v[4:5], v[11:12]
	v_cndmask_b32_e64 v24, 0, 1, vcc_lo
.LBB481_47:
	s_or_b32 exec_lo, exec_lo, s2
	v_or_b32_e32 v3, 0x300, v0
	s_delay_alu instid0(VALU_DEP_1) | instskip(NEXT) | instid1(VALU_DEP_1)
	v_cmp_gt_u32_e64 s5, s29, v3
	s_and_saveexec_b32 s2, s5
	s_cbranch_execz .LBB481_49
; %bb.48:
	v_lshlrev_b32_e32 v6, 3, v3
	v_add_co_u32 v7, s3, s26, v3
	s_delay_alu instid0(VALU_DEP_1)
	v_add_co_ci_u32_e64 v8, null, s28, 0, s3
	s_clause 0x1
	global_load_b64 v[4:5], v6, s[8:9]
	global_load_b64 v[11:12], v6, s[22:23]
	s_waitcnt vmcnt(0)
	v_cmp_ne_u64_e32 vcc_lo, v[4:5], v[11:12]
	v_cndmask_b32_e64 v20, 0, 1, vcc_lo
.LBB481_49:
	s_or_b32 exec_lo, exec_lo, s2
	v_mov_b32_e32 v5, 0
	v_dual_mov_b32 v6, 0 :: v_dual_mov_b32 v19, 0
	v_or_b32_e32 v3, 0x400, v0
	s_delay_alu instid0(VALU_DEP_2) | instskip(NEXT) | instid1(VALU_DEP_4)
	v_dual_mov_b32 v23, 0 :: v_dual_mov_b32 v14, v6
	v_mov_b32_e32 v13, v5
	s_delay_alu instid0(VALU_DEP_3) | instskip(NEXT) | instid1(VALU_DEP_1)
	v_cmp_gt_u32_e64 s4, s29, v3
	s_and_saveexec_b32 s2, s4
	s_cbranch_execz .LBB481_51
; %bb.50:
	v_lshlrev_b32_e32 v4, 3, v3
	v_add_co_u32 v13, s3, s26, v3
	s_delay_alu instid0(VALU_DEP_1)
	v_add_co_ci_u32_e64 v14, null, s28, 0, s3
	s_clause 0x1
	global_load_b64 v[11:12], v4, s[8:9]
	global_load_b64 v[22:23], v4, s[22:23]
	s_waitcnt vmcnt(0)
	v_cmp_ne_u64_e32 vcc_lo, v[11:12], v[22:23]
	v_cndmask_b32_e64 v23, 0, 1, vcc_lo
.LBB481_51:
	s_or_b32 exec_lo, exec_lo, s2
	v_or_b32_e32 v3, 0x500, v0
	s_delay_alu instid0(VALU_DEP_1) | instskip(NEXT) | instid1(VALU_DEP_1)
	v_cmp_gt_u32_e64 s3, s29, v3
	s_and_saveexec_b32 s2, s3
	s_cbranch_execz .LBB481_53
; %bb.52:
	v_lshlrev_b32_e32 v4, 3, v3
	v_add_co_u32 v5, s30, s26, v3
	s_delay_alu instid0(VALU_DEP_1)
	v_add_co_ci_u32_e64 v6, null, s28, 0, s30
	s_clause 0x1
	global_load_b64 v[11:12], v4, s[8:9]
	global_load_b64 v[18:19], v4, s[22:23]
	s_waitcnt vmcnt(0)
	v_cmp_ne_u64_e32 vcc_lo, v[11:12], v[18:19]
	v_cndmask_b32_e64 v19, 0, 1, vcc_lo
.LBB481_53:
	s_or_b32 exec_lo, exec_lo, s2
	v_dual_mov_b32 v3, 0 :: v_dual_mov_b32 v18, 0
	v_mov_b32_e32 v4, 0
	v_or_b32_e32 v25, 0x600, v0
	v_mov_b32_e32 v22, 0
	s_delay_alu instid0(VALU_DEP_3) | instskip(NEXT) | instid1(VALU_DEP_3)
	v_dual_mov_b32 v12, v4 :: v_dual_mov_b32 v11, v3
	v_cmp_gt_u32_e64 s2, s29, v25
	s_delay_alu instid0(VALU_DEP_1)
	s_and_saveexec_b32 s30, s2
	s_cbranch_execz .LBB481_55
; %bb.54:
	v_lshlrev_b32_e32 v11, 3, v25
	s_clause 0x1
	global_load_b64 v[26:27], v11, s[8:9]
	global_load_b64 v[28:29], v11, s[22:23]
	v_add_co_u32 v11, s31, s26, v25
	s_delay_alu instid0(VALU_DEP_1)
	v_add_co_ci_u32_e64 v12, null, s28, 0, s31
	s_waitcnt vmcnt(0)
	v_cmp_ne_u64_e32 vcc_lo, v[26:27], v[28:29]
	v_cndmask_b32_e64 v22, 0, 1, vcc_lo
.LBB481_55:
	s_or_b32 exec_lo, exec_lo, s30
	v_or_b32_e32 v25, 0x700, v0
	s_delay_alu instid0(VALU_DEP_1)
	v_cmp_gt_u32_e32 vcc_lo, s29, v25
	s_and_saveexec_b32 s30, vcc_lo
	s_cbranch_execnz .LBB481_232
; %bb.56:
	s_or_b32 exec_lo, exec_lo, s30
	s_and_saveexec_b32 s9, s7
	s_cbranch_execnz .LBB481_233
.LBB481_57:
	s_or_b32 exec_lo, exec_lo, s9
	s_and_saveexec_b32 s8, s6
	s_cbranch_execnz .LBB481_234
.LBB481_58:
	s_or_b32 exec_lo, exec_lo, s8
	s_and_saveexec_b32 s7, s5
	s_cbranch_execnz .LBB481_235
.LBB481_59:
	s_or_b32 exec_lo, exec_lo, s7
	s_and_saveexec_b32 s6, s4
	s_cbranch_execnz .LBB481_236
.LBB481_60:
	s_or_b32 exec_lo, exec_lo, s6
	s_and_saveexec_b32 s5, s3
	s_cbranch_execnz .LBB481_237
.LBB481_61:
	s_or_b32 exec_lo, exec_lo, s5
	s_and_saveexec_b32 s4, s2
	s_cbranch_execnz .LBB481_238
.LBB481_62:
	s_or_b32 exec_lo, exec_lo, s4
	s_and_saveexec_b32 s3, vcc_lo
.LBB481_63:
	v_and_b32_e32 v5, 1, v18
	v_cmp_lt_i64_e32 vcc_lo, v[3:4], v[1:2]
	s_delay_alu instid0(VALU_DEP_2) | instskip(NEXT) | instid1(VALU_DEP_1)
	v_cmp_eq_u32_e64 s2, 1, v5
	s_and_b32 vcc_lo, s2, vcc_lo
	v_cndmask_b32_e64 v6, v17, 1, s2
	v_dual_cndmask_b32 v2, v2, v4 :: v_dual_and_b32 v5, 1, v17
	v_cndmask_b32_e32 v1, v1, v3, vcc_lo
	s_delay_alu instid0(VALU_DEP_2) | instskip(NEXT) | instid1(VALU_DEP_3)
	v_cmp_eq_u32_e32 vcc_lo, 1, v5
	v_cndmask_b32_e32 v2, v4, v2, vcc_lo
	v_cndmask_b32_e32 v17, v18, v6, vcc_lo
	s_delay_alu instid0(VALU_DEP_4)
	v_cndmask_b32_e32 v1, v3, v1, vcc_lo
.LBB481_64:
	s_or_b32 exec_lo, exec_lo, s3
	v_mbcnt_lo_u32_b32 v5, -1, 0
	v_and_b32_e32 v7, 0xe0, v0
	s_min_u32 s3, s29, 0x100
	v_and_b32_e32 v6, 0xffff, v17
	s_delay_alu instid0(VALU_DEP_3) | instskip(NEXT) | instid1(VALU_DEP_3)
	v_cmp_ne_u32_e32 vcc_lo, 31, v5
	v_sub_nc_u32_e64 v8, s3, v7 clamp
	v_add_nc_u32_e32 v7, 1, v5
	v_add_co_ci_u32_e32 v3, vcc_lo, 0, v5, vcc_lo
	s_delay_alu instid0(VALU_DEP_2) | instskip(NEXT) | instid1(VALU_DEP_2)
	v_cmp_lt_u32_e32 vcc_lo, v7, v8
	v_dual_mov_b32 v7, v6 :: v_dual_lshlrev_b32 v4, 2, v3
	ds_bpermute_b32 v9, v4, v6
	ds_bpermute_b32 v3, v4, v1
	;; [unrolled: 1-line block ×3, first 2 shown]
	s_and_saveexec_b32 s2, vcc_lo
	s_delay_alu instid0(SALU_CYCLE_1)
	s_xor_b32 s4, exec_lo, s2
	s_cbranch_execz .LBB481_66
; %bb.65:
	s_waitcnt lgkmcnt(2)
	v_and_b32_e32 v7, 1, v9
	s_waitcnt lgkmcnt(0)
	v_cmp_lt_i64_e32 vcc_lo, v[3:4], v[1:2]
	s_delay_alu instid0(VALU_DEP_2) | instskip(SKIP_1) | instid1(VALU_DEP_2)
	v_cmp_eq_u32_e64 s2, 1, v7
	v_and_b32_e32 v7, 1, v17
	v_cndmask_b32_e64 v6, v6, 1, s2
	s_and_b32 vcc_lo, s2, vcc_lo
	s_delay_alu instid0(VALU_DEP_2) | instskip(SKIP_1) | instid1(VALU_DEP_2)
	v_cmp_eq_u32_e64 s2, 1, v7
	v_dual_cndmask_b32 v2, v2, v4 :: v_dual_cndmask_b32 v1, v1, v3
	v_cndmask_b32_e64 v7, v9, v6, s2
	s_delay_alu instid0(VALU_DEP_2) | instskip(NEXT) | instid1(VALU_DEP_3)
	v_cndmask_b32_e64 v2, v4, v2, s2
	v_cndmask_b32_e64 v1, v3, v1, s2
	s_delay_alu instid0(VALU_DEP_3)
	v_and_b32_e32 v6, 0xff, v7
.LBB481_66:
	s_or_b32 exec_lo, exec_lo, s4
	v_cmp_gt_u32_e32 vcc_lo, 30, v5
	v_add_nc_u32_e32 v10, 2, v5
	s_mov_b32 s4, exec_lo
	s_waitcnt lgkmcnt(1)
	v_cndmask_b32_e64 v3, 0, 1, vcc_lo
	s_delay_alu instid0(VALU_DEP_1) | instskip(SKIP_1) | instid1(VALU_DEP_1)
	v_lshlrev_b32_e32 v3, 1, v3
	s_waitcnt lgkmcnt(0)
	v_add_lshl_u32 v4, v3, v5, 2
	ds_bpermute_b32 v9, v4, v6
	ds_bpermute_b32 v3, v4, v1
	ds_bpermute_b32 v4, v4, v2
	v_cmpx_lt_u32_e64 v10, v8
	s_cbranch_execz .LBB481_68
; %bb.67:
	s_waitcnt lgkmcnt(2)
	v_and_b32_e32 v6, 1, v9
	s_waitcnt lgkmcnt(0)
	v_cmp_lt_i64_e32 vcc_lo, v[3:4], v[1:2]
	s_delay_alu instid0(VALU_DEP_2) | instskip(SKIP_1) | instid1(VALU_DEP_2)
	v_cmp_eq_u32_e64 s2, 1, v6
	v_and_b32_e32 v6, 1, v7
	v_cndmask_b32_e64 v7, v7, 1, s2
	s_and_b32 vcc_lo, s2, vcc_lo
	s_delay_alu instid0(VALU_DEP_2) | instskip(SKIP_1) | instid1(VALU_DEP_2)
	v_cmp_eq_u32_e64 s2, 1, v6
	v_dual_cndmask_b32 v1, v1, v3 :: v_dual_cndmask_b32 v2, v2, v4
	v_cndmask_b32_e64 v7, v9, v7, s2
	s_delay_alu instid0(VALU_DEP_2) | instskip(NEXT) | instid1(VALU_DEP_3)
	v_cndmask_b32_e64 v1, v3, v1, s2
	v_cndmask_b32_e64 v2, v4, v2, s2
	s_delay_alu instid0(VALU_DEP_3)
	v_and_b32_e32 v6, 0xff, v7
.LBB481_68:
	s_or_b32 exec_lo, exec_lo, s4
	v_cmp_gt_u32_e32 vcc_lo, 28, v5
	v_add_nc_u32_e32 v10, 4, v5
	s_mov_b32 s4, exec_lo
	s_waitcnt lgkmcnt(1)
	v_cndmask_b32_e64 v3, 0, 1, vcc_lo
	s_delay_alu instid0(VALU_DEP_1) | instskip(SKIP_1) | instid1(VALU_DEP_1)
	v_lshlrev_b32_e32 v3, 2, v3
	s_waitcnt lgkmcnt(0)
	v_add_lshl_u32 v4, v3, v5, 2
	ds_bpermute_b32 v9, v4, v6
	ds_bpermute_b32 v3, v4, v1
	ds_bpermute_b32 v4, v4, v2
	v_cmpx_lt_u32_e64 v10, v8
	;; [unrolled: 35-line block ×4, first 2 shown]
	s_cbranch_execz .LBB481_74
; %bb.73:
	s_waitcnt lgkmcnt(2)
	v_and_b32_e32 v6, 1, v9
	s_waitcnt lgkmcnt(0)
	v_cmp_lt_i64_e32 vcc_lo, v[3:4], v[1:2]
	s_delay_alu instid0(VALU_DEP_2) | instskip(SKIP_1) | instid1(VALU_DEP_2)
	v_cmp_eq_u32_e64 s2, 1, v6
	v_and_b32_e32 v6, 1, v7
	v_cndmask_b32_e64 v7, v7, 1, s2
	s_and_b32 vcc_lo, s2, vcc_lo
	s_delay_alu instid0(VALU_DEP_2) | instskip(SKIP_1) | instid1(VALU_DEP_2)
	v_cmp_eq_u32_e64 s2, 1, v6
	v_dual_cndmask_b32 v1, v1, v3 :: v_dual_cndmask_b32 v2, v2, v4
	v_cndmask_b32_e64 v7, v9, v7, s2
	s_delay_alu instid0(VALU_DEP_2) | instskip(NEXT) | instid1(VALU_DEP_3)
	v_cndmask_b32_e64 v1, v3, v1, s2
	v_cndmask_b32_e64 v2, v4, v2, s2
	s_delay_alu instid0(VALU_DEP_3)
	v_and_b32_e32 v6, 0xff, v7
.LBB481_74:
	s_or_b32 exec_lo, exec_lo, s4
	s_delay_alu instid0(SALU_CYCLE_1)
	s_mov_b32 s2, exec_lo
	v_cmpx_eq_u32_e32 0, v5
	s_cbranch_execz .LBB481_76
; %bb.75:
	s_waitcnt lgkmcnt(1)
	v_lshrrev_b32_e32 v3, 1, v0
	s_delay_alu instid0(VALU_DEP_1)
	v_and_b32_e32 v3, 0x70, v3
	ds_store_b8 v3, v7 offset:512
	ds_store_b64 v3, v[1:2] offset:520
.LBB481_76:
	s_or_b32 exec_lo, exec_lo, s2
	s_delay_alu instid0(SALU_CYCLE_1)
	s_mov_b32 s4, exec_lo
	s_waitcnt lgkmcnt(0)
	s_barrier
	buffer_gl0_inv
	v_cmpx_gt_u32_e32 8, v0
	s_cbranch_execz .LBB481_84
; %bb.77:
	v_lshlrev_b32_e32 v1, 4, v5
	v_and_b32_e32 v8, 7, v5
	s_add_i32 s3, s3, 31
	s_mov_b32 s5, exec_lo
	s_lshr_b32 s3, s3, 5
	ds_load_u8 v7, v1 offset:512
	ds_load_b64 v[1:2], v1 offset:520
	v_cmp_ne_u32_e32 vcc_lo, 7, v8
	v_add_nc_u32_e32 v10, 1, v8
	v_add_co_ci_u32_e32 v3, vcc_lo, 0, v5, vcc_lo
	s_delay_alu instid0(VALU_DEP_1)
	v_lshlrev_b32_e32 v4, 2, v3
	s_waitcnt lgkmcnt(1)
	v_and_b32_e32 v6, 0xff, v7
	s_waitcnt lgkmcnt(0)
	ds_bpermute_b32 v3, v4, v1
	ds_bpermute_b32 v9, v4, v6
	;; [unrolled: 1-line block ×3, first 2 shown]
	v_cmpx_gt_u32_e64 s3, v10
	s_cbranch_execz .LBB481_79
; %bb.78:
	s_waitcnt lgkmcnt(1)
	v_and_b32_e32 v6, 1, v9
	s_waitcnt lgkmcnt(0)
	v_cmp_lt_i64_e32 vcc_lo, v[3:4], v[1:2]
	s_delay_alu instid0(VALU_DEP_2) | instskip(SKIP_1) | instid1(VALU_DEP_2)
	v_cmp_eq_u32_e64 s2, 1, v6
	v_and_b32_e32 v6, 1, v7
	v_cndmask_b32_e64 v7, v7, 1, s2
	s_and_b32 vcc_lo, s2, vcc_lo
	s_delay_alu instid0(VALU_DEP_2) | instskip(SKIP_1) | instid1(VALU_DEP_2)
	v_cmp_eq_u32_e64 s2, 1, v6
	v_dual_cndmask_b32 v1, v1, v3 :: v_dual_cndmask_b32 v2, v2, v4
	v_cndmask_b32_e64 v7, v9, v7, s2
	s_delay_alu instid0(VALU_DEP_2) | instskip(NEXT) | instid1(VALU_DEP_3)
	v_cndmask_b32_e64 v1, v3, v1, s2
	v_cndmask_b32_e64 v2, v4, v2, s2
	s_delay_alu instid0(VALU_DEP_3)
	v_and_b32_e32 v6, 0xff, v7
.LBB481_79:
	s_or_b32 exec_lo, exec_lo, s5
	v_cmp_gt_u32_e32 vcc_lo, 6, v8
	v_add_nc_u32_e32 v10, 2, v8
	s_mov_b32 s5, exec_lo
	s_waitcnt lgkmcnt(2)
	v_cndmask_b32_e64 v3, 0, 1, vcc_lo
	s_delay_alu instid0(VALU_DEP_1) | instskip(SKIP_1) | instid1(VALU_DEP_1)
	v_lshlrev_b32_e32 v3, 1, v3
	s_waitcnt lgkmcnt(0)
	v_add_lshl_u32 v4, v3, v5, 2
	ds_bpermute_b32 v9, v4, v6
	ds_bpermute_b32 v3, v4, v1
	;; [unrolled: 1-line block ×3, first 2 shown]
	v_cmpx_gt_u32_e64 s3, v10
	s_cbranch_execz .LBB481_81
; %bb.80:
	s_waitcnt lgkmcnt(2)
	v_and_b32_e32 v6, 1, v9
	s_waitcnt lgkmcnt(0)
	v_cmp_lt_i64_e32 vcc_lo, v[3:4], v[1:2]
	s_delay_alu instid0(VALU_DEP_2) | instskip(SKIP_1) | instid1(VALU_DEP_2)
	v_cmp_eq_u32_e64 s2, 1, v6
	v_and_b32_e32 v6, 1, v7
	v_cndmask_b32_e64 v7, v7, 1, s2
	s_and_b32 vcc_lo, s2, vcc_lo
	s_delay_alu instid0(VALU_DEP_2) | instskip(SKIP_1) | instid1(VALU_DEP_2)
	v_cmp_eq_u32_e64 s2, 1, v6
	v_dual_cndmask_b32 v1, v1, v3 :: v_dual_cndmask_b32 v2, v2, v4
	v_cndmask_b32_e64 v7, v9, v7, s2
	s_delay_alu instid0(VALU_DEP_2) | instskip(NEXT) | instid1(VALU_DEP_3)
	v_cndmask_b32_e64 v1, v3, v1, s2
	v_cndmask_b32_e64 v2, v4, v2, s2
	s_delay_alu instid0(VALU_DEP_3)
	v_and_b32_e32 v6, 0xff, v7
.LBB481_81:
	s_or_b32 exec_lo, exec_lo, s5
	v_cmp_gt_u32_e32 vcc_lo, 4, v8
	v_add_nc_u32_e32 v8, 4, v8
	s_waitcnt lgkmcnt(1)
	v_cndmask_b32_e64 v3, 0, 1, vcc_lo
	s_delay_alu instid0(VALU_DEP_2) | instskip(NEXT) | instid1(VALU_DEP_2)
	v_cmp_gt_u32_e32 vcc_lo, s3, v8
	v_lshlrev_b32_e32 v3, 2, v3
	s_waitcnt lgkmcnt(0)
	s_delay_alu instid0(VALU_DEP_1)
	v_add_lshl_u32 v4, v3, v5, 2
	ds_bpermute_b32 v5, v4, v6
	ds_bpermute_b32 v3, v4, v1
	;; [unrolled: 1-line block ×3, first 2 shown]
	s_and_saveexec_b32 s3, vcc_lo
	s_cbranch_execz .LBB481_83
; %bb.82:
	s_waitcnt lgkmcnt(2)
	v_and_b32_e32 v6, 1, v5
	s_waitcnt lgkmcnt(0)
	v_cmp_lt_i64_e32 vcc_lo, v[3:4], v[1:2]
	s_delay_alu instid0(VALU_DEP_2) | instskip(SKIP_1) | instid1(VALU_DEP_2)
	v_cmp_eq_u32_e64 s2, 1, v6
	v_and_b32_e32 v6, 1, v7
	v_cndmask_b32_e64 v7, v7, 1, s2
	s_and_b32 vcc_lo, s2, vcc_lo
	s_delay_alu instid0(VALU_DEP_2) | instskip(SKIP_1) | instid1(VALU_DEP_2)
	v_cmp_eq_u32_e64 s2, 1, v6
	v_dual_cndmask_b32 v1, v1, v3 :: v_dual_cndmask_b32 v2, v2, v4
	v_cndmask_b32_e64 v5, v5, v7, s2
	s_delay_alu instid0(VALU_DEP_2) | instskip(NEXT) | instid1(VALU_DEP_3)
	v_cndmask_b32_e64 v1, v3, v1, s2
	v_cndmask_b32_e64 v2, v4, v2, s2
	s_delay_alu instid0(VALU_DEP_3)
	v_and_b32_e32 v6, 0xff, v5
.LBB481_83:
	s_or_b32 exec_lo, exec_lo, s3
.LBB481_84:
	s_delay_alu instid0(SALU_CYCLE_1)
	s_or_b32 exec_lo, exec_lo, s4
.LBB481_85:
	s_mov_b32 s26, 0
                                        ; implicit-def: $vgpr3_vgpr4
                                        ; implicit-def: $vgpr5
	s_mov_b32 s2, exec_lo
	v_cmpx_eq_u32_e32 0, v0
	s_xor_b32 s4, exec_lo, s2
	s_cbranch_execz .LBB481_89
; %bb.86:
	s_waitcnt lgkmcnt(0)
	v_dual_mov_b32 v3, s20 :: v_dual_mov_b32 v4, s21
	v_mov_b32_e32 v5, s24
	s_cmp_eq_u64 s[14:15], 0
	s_cbranch_scc1 .LBB481_88
; %bb.87:
	v_and_b32_e32 v3, 1, v6
	v_cmp_gt_i64_e32 vcc_lo, s[20:21], v[1:2]
	s_bitcmp1_b32 s24, 0
	s_cselect_b32 s3, -1, 0
	s_delay_alu instid0(VALU_DEP_2) | instskip(NEXT) | instid1(VALU_DEP_1)
	v_cmp_eq_u32_e64 s2, 1, v3
	s_and_b32 vcc_lo, s2, vcc_lo
	v_cndmask_b32_e64 v3, s24, 1, s2
	v_cndmask_b32_e32 v7, s20, v1, vcc_lo
	v_cndmask_b32_e32 v4, s21, v2, vcc_lo
	s_delay_alu instid0(VALU_DEP_3) | instskip(NEXT) | instid1(VALU_DEP_3)
	v_cndmask_b32_e64 v5, v6, v3, s3
	v_cndmask_b32_e64 v3, v1, v7, s3
	s_delay_alu instid0(VALU_DEP_3)
	v_cndmask_b32_e64 v4, v2, v4, s3
.LBB481_88:
	s_mov_b32 s26, exec_lo
.LBB481_89:
	s_or_b32 exec_lo, exec_lo, s4
	s_delay_alu instid0(SALU_CYCLE_1)
	s_and_b32 vcc_lo, exec_lo, s27
	s_cbranch_vccnz .LBB481_22
.LBB481_90:
	s_branch .LBB481_200
.LBB481_91:
                                        ; implicit-def: $vgpr1_vgpr2
                                        ; implicit-def: $vgpr6
	s_cbranch_execz .LBB481_124
; %bb.92:
	s_waitcnt lgkmcnt(2)
	v_mov_b32_e32 v5, 0
	v_dual_mov_b32 v6, 0 :: v_dual_mov_b32 v11, 0
	s_delay_alu instid0(VALU_DEP_2) | instskip(SKIP_2) | instid1(VALU_DEP_3)
	v_mov_b32_e32 v1, v5
	v_mov_b32_e32 v9, 0
	s_sub_i32 s22, s14, s22
	v_mov_b32_e32 v2, v6
	s_mov_b32 s2, exec_lo
	v_cmpx_gt_u32_e64 s22, v0
	s_cbranch_execz .LBB481_94
; %bb.93:
	v_lshlrev_b32_e32 v1, 3, v0
	s_waitcnt lgkmcnt(0)
	s_clause 0x1
	global_load_b64 v[3:4], v1, s[6:7]
	global_load_b64 v[7:8], v1, s[8:9]
	v_add_co_u32 v1, s3, s5, v0
	s_delay_alu instid0(VALU_DEP_1)
	v_add_co_ci_u32_e64 v2, null, s23, 0, s3
	s_waitcnt vmcnt(0)
	v_cmp_ne_u64_e32 vcc_lo, v[3:4], v[7:8]
	v_cndmask_b32_e64 v9, 0, 1, vcc_lo
.LBB481_94:
	s_or_b32 exec_lo, exec_lo, s2
	s_waitcnt lgkmcnt(1)
	v_or_b32_e32 v3, 0x100, v0
	s_delay_alu instid0(VALU_DEP_1) | instskip(NEXT) | instid1(VALU_DEP_1)
	v_cmp_gt_u32_e64 s3, s22, v3
	s_and_saveexec_b32 s2, s3
	s_cbranch_execz .LBB481_96
; %bb.95:
	s_waitcnt lgkmcnt(0)
	v_lshlrev_b32_e32 v4, 3, v0
	v_add_co_u32 v5, s4, s5, v3
	s_delay_alu instid0(VALU_DEP_1)
	v_add_co_ci_u32_e64 v6, null, s23, 0, s4
	s_clause 0x1
	global_load_b64 v[7:8], v4, s[6:7] offset:2048
	global_load_b64 v[10:11], v4, s[8:9] offset:2048
	s_waitcnt vmcnt(0)
	v_cmp_ne_u64_e32 vcc_lo, v[7:8], v[10:11]
	v_cndmask_b32_e64 v11, 0, 1, vcc_lo
.LBB481_96:
	s_or_b32 exec_lo, exec_lo, s2
	s_waitcnt lgkmcnt(0)
	v_dual_mov_b32 v3, 0 :: v_dual_mov_b32 v10, 0
	v_mov_b32_e32 v4, 0
	v_or_b32_e32 v13, 0x200, v0
	v_mov_b32_e32 v12, 0
	s_delay_alu instid0(VALU_DEP_3) | instskip(NEXT) | instid1(VALU_DEP_3)
	v_dual_mov_b32 v8, v4 :: v_dual_mov_b32 v7, v3
	v_cmp_gt_u32_e64 s2, s22, v13
	s_delay_alu instid0(VALU_DEP_1)
	s_and_saveexec_b32 s4, s2
	s_cbranch_execz .LBB481_98
; %bb.97:
	v_lshlrev_b32_e32 v7, 3, v13
	s_clause 0x1
	global_load_b64 v[14:15], v7, s[6:7]
	global_load_b64 v[16:17], v7, s[8:9]
	v_add_co_u32 v7, s27, s5, v13
	s_delay_alu instid0(VALU_DEP_1)
	v_add_co_ci_u32_e64 v8, null, s23, 0, s27
	s_waitcnt vmcnt(0)
	v_cmp_ne_u64_e32 vcc_lo, v[14:15], v[16:17]
	v_cndmask_b32_e64 v12, 0, 1, vcc_lo
.LBB481_98:
	s_or_b32 exec_lo, exec_lo, s4
	v_or_b32_e32 v13, 0x300, v0
	s_delay_alu instid0(VALU_DEP_1)
	v_cmp_gt_u32_e32 vcc_lo, s22, v13
	s_and_saveexec_b32 s27, vcc_lo
	s_cbranch_execnz .LBB481_239
; %bb.99:
	s_or_b32 exec_lo, exec_lo, s27
	s_and_saveexec_b32 s5, s3
	s_cbranch_execnz .LBB481_240
.LBB481_100:
	s_or_b32 exec_lo, exec_lo, s5
	s_and_saveexec_b32 s4, s2
	s_cbranch_execnz .LBB481_241
.LBB481_101:
	s_or_b32 exec_lo, exec_lo, s4
	s_and_saveexec_b32 s3, vcc_lo
.LBB481_102:
	v_and_b32_e32 v5, 1, v10
	v_cmp_lt_i64_e32 vcc_lo, v[3:4], v[1:2]
	s_delay_alu instid0(VALU_DEP_2) | instskip(NEXT) | instid1(VALU_DEP_1)
	v_cmp_eq_u32_e64 s2, 1, v5
	s_and_b32 vcc_lo, s2, vcc_lo
	v_cndmask_b32_e64 v6, v9, 1, s2
	v_dual_cndmask_b32 v2, v2, v4 :: v_dual_and_b32 v5, 1, v9
	v_cndmask_b32_e32 v1, v1, v3, vcc_lo
	s_delay_alu instid0(VALU_DEP_2) | instskip(NEXT) | instid1(VALU_DEP_3)
	v_cmp_eq_u32_e32 vcc_lo, 1, v5
	v_cndmask_b32_e32 v2, v4, v2, vcc_lo
	v_cndmask_b32_e32 v9, v10, v6, vcc_lo
	s_delay_alu instid0(VALU_DEP_4)
	v_cndmask_b32_e32 v1, v3, v1, vcc_lo
.LBB481_103:
	s_or_b32 exec_lo, exec_lo, s3
	v_mbcnt_lo_u32_b32 v5, -1, 0
	v_and_b32_e32 v7, 0xe0, v0
	s_min_u32 s3, s22, 0x100
	v_and_b32_e32 v6, 0xffff, v9
	s_delay_alu instid0(VALU_DEP_3) | instskip(NEXT) | instid1(VALU_DEP_3)
	v_cmp_ne_u32_e32 vcc_lo, 31, v5
	v_sub_nc_u32_e64 v8, s3, v7 clamp
	v_add_nc_u32_e32 v7, 1, v5
	v_add_co_ci_u32_e32 v3, vcc_lo, 0, v5, vcc_lo
	s_delay_alu instid0(VALU_DEP_2) | instskip(NEXT) | instid1(VALU_DEP_2)
	v_cmp_lt_u32_e32 vcc_lo, v7, v8
	v_dual_mov_b32 v7, v6 :: v_dual_lshlrev_b32 v4, 2, v3
	ds_bpermute_b32 v10, v4, v6
	ds_bpermute_b32 v3, v4, v1
	;; [unrolled: 1-line block ×3, first 2 shown]
	s_and_saveexec_b32 s2, vcc_lo
	s_delay_alu instid0(SALU_CYCLE_1)
	s_xor_b32 s4, exec_lo, s2
	s_cbranch_execz .LBB481_105
; %bb.104:
	s_waitcnt lgkmcnt(2)
	v_and_b32_e32 v7, 1, v10
	s_waitcnt lgkmcnt(0)
	v_cmp_lt_i64_e32 vcc_lo, v[3:4], v[1:2]
	s_delay_alu instid0(VALU_DEP_2) | instskip(SKIP_1) | instid1(VALU_DEP_2)
	v_cmp_eq_u32_e64 s2, 1, v7
	v_and_b32_e32 v7, 1, v9
	v_cndmask_b32_e64 v6, v6, 1, s2
	s_and_b32 vcc_lo, s2, vcc_lo
	s_delay_alu instid0(VALU_DEP_2) | instskip(SKIP_1) | instid1(VALU_DEP_2)
	v_cmp_eq_u32_e64 s2, 1, v7
	v_dual_cndmask_b32 v2, v2, v4 :: v_dual_cndmask_b32 v1, v1, v3
	v_cndmask_b32_e64 v7, v10, v6, s2
	s_delay_alu instid0(VALU_DEP_2) | instskip(NEXT) | instid1(VALU_DEP_3)
	v_cndmask_b32_e64 v2, v4, v2, s2
	v_cndmask_b32_e64 v1, v3, v1, s2
	s_delay_alu instid0(VALU_DEP_3)
	v_and_b32_e32 v6, 0xff, v7
.LBB481_105:
	s_or_b32 exec_lo, exec_lo, s4
	v_cmp_gt_u32_e32 vcc_lo, 30, v5
	s_waitcnt lgkmcnt(2)
	v_add_nc_u32_e32 v10, 2, v5
	s_mov_b32 s4, exec_lo
	s_waitcnt lgkmcnt(1)
	v_cndmask_b32_e64 v3, 0, 1, vcc_lo
	s_delay_alu instid0(VALU_DEP_1) | instskip(SKIP_1) | instid1(VALU_DEP_1)
	v_lshlrev_b32_e32 v3, 1, v3
	s_waitcnt lgkmcnt(0)
	v_add_lshl_u32 v4, v3, v5, 2
	ds_bpermute_b32 v9, v4, v6
	ds_bpermute_b32 v3, v4, v1
	ds_bpermute_b32 v4, v4, v2
	v_cmpx_lt_u32_e64 v10, v8
	s_cbranch_execz .LBB481_107
; %bb.106:
	s_waitcnt lgkmcnt(2)
	v_and_b32_e32 v6, 1, v9
	s_waitcnt lgkmcnt(0)
	v_cmp_lt_i64_e32 vcc_lo, v[3:4], v[1:2]
	s_delay_alu instid0(VALU_DEP_2) | instskip(SKIP_1) | instid1(VALU_DEP_2)
	v_cmp_eq_u32_e64 s2, 1, v6
	v_and_b32_e32 v6, 1, v7
	v_cndmask_b32_e64 v7, v7, 1, s2
	s_and_b32 vcc_lo, s2, vcc_lo
	s_delay_alu instid0(VALU_DEP_2) | instskip(SKIP_1) | instid1(VALU_DEP_2)
	v_cmp_eq_u32_e64 s2, 1, v6
	v_dual_cndmask_b32 v1, v1, v3 :: v_dual_cndmask_b32 v2, v2, v4
	v_cndmask_b32_e64 v7, v9, v7, s2
	s_delay_alu instid0(VALU_DEP_2) | instskip(NEXT) | instid1(VALU_DEP_3)
	v_cndmask_b32_e64 v1, v3, v1, s2
	v_cndmask_b32_e64 v2, v4, v2, s2
	s_delay_alu instid0(VALU_DEP_3)
	v_and_b32_e32 v6, 0xff, v7
.LBB481_107:
	s_or_b32 exec_lo, exec_lo, s4
	v_cmp_gt_u32_e32 vcc_lo, 28, v5
	v_add_nc_u32_e32 v10, 4, v5
	s_mov_b32 s4, exec_lo
	s_waitcnt lgkmcnt(1)
	v_cndmask_b32_e64 v3, 0, 1, vcc_lo
	s_delay_alu instid0(VALU_DEP_1) | instskip(SKIP_1) | instid1(VALU_DEP_1)
	v_lshlrev_b32_e32 v3, 2, v3
	s_waitcnt lgkmcnt(0)
	v_add_lshl_u32 v4, v3, v5, 2
	ds_bpermute_b32 v9, v4, v6
	ds_bpermute_b32 v3, v4, v1
	ds_bpermute_b32 v4, v4, v2
	v_cmpx_lt_u32_e64 v10, v8
	s_cbranch_execz .LBB481_109
; %bb.108:
	s_waitcnt lgkmcnt(2)
	v_and_b32_e32 v6, 1, v9
	s_waitcnt lgkmcnt(0)
	v_cmp_lt_i64_e32 vcc_lo, v[3:4], v[1:2]
	s_delay_alu instid0(VALU_DEP_2) | instskip(SKIP_1) | instid1(VALU_DEP_2)
	v_cmp_eq_u32_e64 s2, 1, v6
	v_and_b32_e32 v6, 1, v7
	v_cndmask_b32_e64 v7, v7, 1, s2
	s_and_b32 vcc_lo, s2, vcc_lo
	s_delay_alu instid0(VALU_DEP_2) | instskip(SKIP_1) | instid1(VALU_DEP_2)
	v_cmp_eq_u32_e64 s2, 1, v6
	v_dual_cndmask_b32 v1, v1, v3 :: v_dual_cndmask_b32 v2, v2, v4
	v_cndmask_b32_e64 v7, v9, v7, s2
	s_delay_alu instid0(VALU_DEP_2) | instskip(NEXT) | instid1(VALU_DEP_3)
	v_cndmask_b32_e64 v1, v3, v1, s2
	v_cndmask_b32_e64 v2, v4, v2, s2
	s_delay_alu instid0(VALU_DEP_3)
	v_and_b32_e32 v6, 0xff, v7
.LBB481_109:
	s_or_b32 exec_lo, exec_lo, s4
	v_cmp_gt_u32_e32 vcc_lo, 24, v5
	;; [unrolled: 35-line block ×3, first 2 shown]
	v_add_nc_u32_e32 v10, 16, v5
	s_mov_b32 s4, exec_lo
	s_waitcnt lgkmcnt(1)
	v_cndmask_b32_e64 v3, 0, 1, vcc_lo
	s_delay_alu instid0(VALU_DEP_1) | instskip(SKIP_1) | instid1(VALU_DEP_1)
	v_lshlrev_b32_e32 v3, 4, v3
	s_waitcnt lgkmcnt(0)
	v_add_lshl_u32 v4, v3, v5, 2
	ds_bpermute_b32 v9, v4, v6
	ds_bpermute_b32 v3, v4, v1
	;; [unrolled: 1-line block ×3, first 2 shown]
	v_cmpx_lt_u32_e64 v10, v8
	s_cbranch_execz .LBB481_113
; %bb.112:
	s_waitcnt lgkmcnt(2)
	v_and_b32_e32 v6, 1, v9
	s_waitcnt lgkmcnt(0)
	v_cmp_lt_i64_e32 vcc_lo, v[3:4], v[1:2]
	s_delay_alu instid0(VALU_DEP_2) | instskip(SKIP_1) | instid1(VALU_DEP_2)
	v_cmp_eq_u32_e64 s2, 1, v6
	v_and_b32_e32 v6, 1, v7
	v_cndmask_b32_e64 v7, v7, 1, s2
	s_and_b32 vcc_lo, s2, vcc_lo
	s_delay_alu instid0(VALU_DEP_2) | instskip(SKIP_1) | instid1(VALU_DEP_2)
	v_cmp_eq_u32_e64 s2, 1, v6
	v_dual_cndmask_b32 v1, v1, v3 :: v_dual_cndmask_b32 v2, v2, v4
	v_cndmask_b32_e64 v7, v9, v7, s2
	s_delay_alu instid0(VALU_DEP_2) | instskip(NEXT) | instid1(VALU_DEP_3)
	v_cndmask_b32_e64 v1, v3, v1, s2
	v_cndmask_b32_e64 v2, v4, v2, s2
	s_delay_alu instid0(VALU_DEP_3)
	v_and_b32_e32 v6, 0xff, v7
.LBB481_113:
	s_or_b32 exec_lo, exec_lo, s4
	s_delay_alu instid0(SALU_CYCLE_1)
	s_mov_b32 s2, exec_lo
	v_cmpx_eq_u32_e32 0, v5
	s_cbranch_execz .LBB481_115
; %bb.114:
	s_waitcnt lgkmcnt(1)
	v_lshrrev_b32_e32 v3, 1, v0
	s_delay_alu instid0(VALU_DEP_1)
	v_and_b32_e32 v3, 0x70, v3
	ds_store_b8 v3, v7 offset:512
	ds_store_b64 v3, v[1:2] offset:520
.LBB481_115:
	s_or_b32 exec_lo, exec_lo, s2
	s_delay_alu instid0(SALU_CYCLE_1)
	s_mov_b32 s4, exec_lo
	s_waitcnt lgkmcnt(0)
	s_barrier
	buffer_gl0_inv
	v_cmpx_gt_u32_e32 8, v0
	s_cbranch_execz .LBB481_123
; %bb.116:
	v_lshlrev_b32_e32 v1, 4, v5
	v_and_b32_e32 v8, 7, v5
	s_add_i32 s3, s3, 31
	s_mov_b32 s5, exec_lo
	s_lshr_b32 s3, s3, 5
	ds_load_u8 v7, v1 offset:512
	ds_load_b64 v[1:2], v1 offset:520
	v_cmp_ne_u32_e32 vcc_lo, 7, v8
	v_add_nc_u32_e32 v10, 1, v8
	v_add_co_ci_u32_e32 v3, vcc_lo, 0, v5, vcc_lo
	s_delay_alu instid0(VALU_DEP_1)
	v_lshlrev_b32_e32 v4, 2, v3
	s_waitcnt lgkmcnt(1)
	v_and_b32_e32 v6, 0xff, v7
	s_waitcnt lgkmcnt(0)
	ds_bpermute_b32 v3, v4, v1
	ds_bpermute_b32 v9, v4, v6
	;; [unrolled: 1-line block ×3, first 2 shown]
	v_cmpx_gt_u32_e64 s3, v10
	s_cbranch_execz .LBB481_118
; %bb.117:
	s_waitcnt lgkmcnt(1)
	v_and_b32_e32 v6, 1, v9
	s_waitcnt lgkmcnt(0)
	v_cmp_lt_i64_e32 vcc_lo, v[3:4], v[1:2]
	s_delay_alu instid0(VALU_DEP_2) | instskip(SKIP_1) | instid1(VALU_DEP_2)
	v_cmp_eq_u32_e64 s2, 1, v6
	v_and_b32_e32 v6, 1, v7
	v_cndmask_b32_e64 v7, v7, 1, s2
	s_and_b32 vcc_lo, s2, vcc_lo
	s_delay_alu instid0(VALU_DEP_2) | instskip(SKIP_1) | instid1(VALU_DEP_2)
	v_cmp_eq_u32_e64 s2, 1, v6
	v_dual_cndmask_b32 v1, v1, v3 :: v_dual_cndmask_b32 v2, v2, v4
	v_cndmask_b32_e64 v7, v9, v7, s2
	s_delay_alu instid0(VALU_DEP_2) | instskip(NEXT) | instid1(VALU_DEP_3)
	v_cndmask_b32_e64 v1, v3, v1, s2
	v_cndmask_b32_e64 v2, v4, v2, s2
	s_delay_alu instid0(VALU_DEP_3)
	v_and_b32_e32 v6, 0xff, v7
.LBB481_118:
	s_or_b32 exec_lo, exec_lo, s5
	v_cmp_gt_u32_e32 vcc_lo, 6, v8
	v_add_nc_u32_e32 v10, 2, v8
	s_mov_b32 s5, exec_lo
	s_waitcnt lgkmcnt(2)
	v_cndmask_b32_e64 v3, 0, 1, vcc_lo
	s_delay_alu instid0(VALU_DEP_1) | instskip(SKIP_1) | instid1(VALU_DEP_1)
	v_lshlrev_b32_e32 v3, 1, v3
	s_waitcnt lgkmcnt(0)
	v_add_lshl_u32 v4, v3, v5, 2
	ds_bpermute_b32 v9, v4, v6
	ds_bpermute_b32 v3, v4, v1
	;; [unrolled: 1-line block ×3, first 2 shown]
	v_cmpx_gt_u32_e64 s3, v10
	s_cbranch_execz .LBB481_120
; %bb.119:
	s_waitcnt lgkmcnt(2)
	v_and_b32_e32 v6, 1, v9
	s_waitcnt lgkmcnt(0)
	v_cmp_lt_i64_e32 vcc_lo, v[3:4], v[1:2]
	s_delay_alu instid0(VALU_DEP_2) | instskip(SKIP_1) | instid1(VALU_DEP_2)
	v_cmp_eq_u32_e64 s2, 1, v6
	v_and_b32_e32 v6, 1, v7
	v_cndmask_b32_e64 v7, v7, 1, s2
	s_and_b32 vcc_lo, s2, vcc_lo
	s_delay_alu instid0(VALU_DEP_2) | instskip(SKIP_1) | instid1(VALU_DEP_2)
	v_cmp_eq_u32_e64 s2, 1, v6
	v_dual_cndmask_b32 v1, v1, v3 :: v_dual_cndmask_b32 v2, v2, v4
	v_cndmask_b32_e64 v7, v9, v7, s2
	s_delay_alu instid0(VALU_DEP_2) | instskip(NEXT) | instid1(VALU_DEP_3)
	v_cndmask_b32_e64 v1, v3, v1, s2
	v_cndmask_b32_e64 v2, v4, v2, s2
	s_delay_alu instid0(VALU_DEP_3)
	v_and_b32_e32 v6, 0xff, v7
.LBB481_120:
	s_or_b32 exec_lo, exec_lo, s5
	v_cmp_gt_u32_e32 vcc_lo, 4, v8
	v_add_nc_u32_e32 v8, 4, v8
	s_waitcnt lgkmcnt(1)
	v_cndmask_b32_e64 v3, 0, 1, vcc_lo
	s_delay_alu instid0(VALU_DEP_2) | instskip(NEXT) | instid1(VALU_DEP_2)
	v_cmp_gt_u32_e32 vcc_lo, s3, v8
	v_lshlrev_b32_e32 v3, 2, v3
	s_waitcnt lgkmcnt(0)
	s_delay_alu instid0(VALU_DEP_1)
	v_add_lshl_u32 v4, v3, v5, 2
	ds_bpermute_b32 v5, v4, v6
	ds_bpermute_b32 v3, v4, v1
	;; [unrolled: 1-line block ×3, first 2 shown]
	s_and_saveexec_b32 s3, vcc_lo
	s_cbranch_execz .LBB481_122
; %bb.121:
	s_waitcnt lgkmcnt(2)
	v_and_b32_e32 v6, 1, v5
	s_waitcnt lgkmcnt(0)
	v_cmp_lt_i64_e32 vcc_lo, v[3:4], v[1:2]
	s_delay_alu instid0(VALU_DEP_2) | instskip(SKIP_1) | instid1(VALU_DEP_2)
	v_cmp_eq_u32_e64 s2, 1, v6
	v_and_b32_e32 v6, 1, v7
	v_cndmask_b32_e64 v7, v7, 1, s2
	s_and_b32 vcc_lo, s2, vcc_lo
	s_delay_alu instid0(VALU_DEP_2) | instskip(SKIP_1) | instid1(VALU_DEP_2)
	v_cmp_eq_u32_e64 s2, 1, v6
	v_dual_cndmask_b32 v1, v1, v3 :: v_dual_cndmask_b32 v2, v2, v4
	v_cndmask_b32_e64 v5, v5, v7, s2
	s_delay_alu instid0(VALU_DEP_2) | instskip(NEXT) | instid1(VALU_DEP_3)
	v_cndmask_b32_e64 v1, v3, v1, s2
	v_cndmask_b32_e64 v2, v4, v2, s2
	s_delay_alu instid0(VALU_DEP_3)
	v_and_b32_e32 v6, 0xff, v5
.LBB481_122:
	s_or_b32 exec_lo, exec_lo, s3
.LBB481_123:
	s_delay_alu instid0(SALU_CYCLE_1)
	s_or_b32 exec_lo, exec_lo, s4
.LBB481_124:
                                        ; implicit-def: $vgpr3_vgpr4
                                        ; implicit-def: $vgpr5
	s_delay_alu instid0(SALU_CYCLE_1)
	s_mov_b32 s2, exec_lo
	v_cmpx_eq_u32_e32 0, v0
	s_xor_b32 s4, exec_lo, s2
	s_cbranch_execz .LBB481_128
; %bb.125:
	s_waitcnt lgkmcnt(0)
	v_dual_mov_b32 v3, s20 :: v_dual_mov_b32 v4, s21
	v_mov_b32_e32 v5, s24
	s_cmp_eq_u64 s[14:15], 0
	s_cbranch_scc1 .LBB481_127
; %bb.126:
	v_and_b32_e32 v3, 1, v6
	v_cmp_gt_i64_e32 vcc_lo, s[20:21], v[1:2]
	s_bitcmp1_b32 s24, 0
	s_cselect_b32 s3, -1, 0
	s_delay_alu instid0(VALU_DEP_2) | instskip(NEXT) | instid1(VALU_DEP_1)
	v_cmp_eq_u32_e64 s2, 1, v3
	s_and_b32 vcc_lo, s2, vcc_lo
	v_cndmask_b32_e64 v3, s24, 1, s2
	v_cndmask_b32_e32 v7, s20, v1, vcc_lo
	v_cndmask_b32_e32 v4, s21, v2, vcc_lo
	s_delay_alu instid0(VALU_DEP_3) | instskip(NEXT) | instid1(VALU_DEP_3)
	v_cndmask_b32_e64 v5, v6, v3, s3
	v_cndmask_b32_e64 v3, v1, v7, s3
	s_delay_alu instid0(VALU_DEP_3)
	v_cndmask_b32_e64 v4, v2, v4, s3
.LBB481_127:
	s_or_b32 s26, s26, exec_lo
.LBB481_128:
	s_or_b32 exec_lo, exec_lo, s4
	s_branch .LBB481_200
.LBB481_129:
	s_cmp_gt_i32 s25, 1
	s_cbranch_scc0 .LBB481_147
; %bb.130:
	s_cmp_eq_u32 s25, 2
	s_cbranch_scc0 .LBB481_148
; %bb.131:
	s_mov_b32 s11, 0
	s_lshl_b32 s8, s10, 9
	s_mov_b32 s9, s11
	s_lshr_b64 s[28:29], s[14:15], 9
	s_lshl_b64 s[2:3], s[8:9], 3
	s_delay_alu instid0(SALU_CYCLE_1)
	s_add_u32 s4, s16, s2
	s_addc_u32 s5, s17, s3
	s_add_u32 s6, s18, s2
	s_addc_u32 s7, s19, s3
	;; [unrolled: 2-line block ×3, first 2 shown]
	s_cmp_lg_u64 s[28:29], s[10:11]
	s_cbranch_scc0 .LBB481_149
; %bb.132:
	v_lshlrev_b32_e32 v7, 3, v0
	v_add_co_u32 v9, s2, s9, v0
	s_delay_alu instid0(VALU_DEP_1)
	v_add_co_ci_u32_e64 v10, null, s22, 0, s2
	global_load_b64 v[1:2], v7, s[6:7] offset:2048
	s_waitcnt lgkmcnt(0)
	s_clause 0x2
	global_load_b64 v[3:4], v7, s[6:7]
	global_load_b64 v[5:6], v7, s[4:5] offset:2048
	global_load_b64 v[7:8], v7, s[4:5]
	v_add_co_u32 v11, vcc_lo, 0x100, v9
	v_add_co_ci_u32_e32 v12, vcc_lo, 0, v10, vcc_lo
	s_mov_b32 s23, exec_lo
	s_waitcnt vmcnt(1)
	v_cmp_ne_u64_e32 vcc_lo, v[5:6], v[1:2]
	s_waitcnt vmcnt(0)
	v_cmp_ne_u64_e64 s2, v[7:8], v[3:4]
	s_delay_alu instid0(VALU_DEP_1) | instskip(SKIP_3) | instid1(VALU_DEP_3)
	s_or_b32 s3, s2, vcc_lo
	v_cndmask_b32_e64 v2, v12, v10, s2
	v_cndmask_b32_e64 v5, 0, 1, s3
	;; [unrolled: 1-line block ×3, first 2 shown]
	v_mov_b32_dpp v4, v2 quad_perm:[1,0,3,2] row_mask:0xf bank_mask:0xf
	s_delay_alu instid0(VALU_DEP_3) | instskip(NEXT) | instid1(VALU_DEP_3)
	v_mov_b32_dpp v6, v5 quad_perm:[1,0,3,2] row_mask:0xf bank_mask:0xf
	v_mov_b32_dpp v3, v1 quad_perm:[1,0,3,2] row_mask:0xf bank_mask:0xf
	s_delay_alu instid0(VALU_DEP_2) | instskip(NEXT) | instid1(VALU_DEP_1)
	v_and_b32_e32 v7, 1, v6
	v_cmpx_eq_u32_e32 1, v7
; %bb.133:
	v_cndmask_b32_e64 v5, v6, 1, s3
	s_delay_alu instid0(VALU_DEP_4) | instskip(NEXT) | instid1(VALU_DEP_2)
	v_cmp_lt_i64_e32 vcc_lo, v[1:2], v[3:4]
	v_and_b32_e32 v6, 1, v5
	v_and_b32_e32 v5, 0xff, v5
	s_and_b32 vcc_lo, s3, vcc_lo
	s_and_not1_b32 s3, s3, exec_lo
	v_dual_cndmask_b32 v2, v4, v2 :: v_dual_cndmask_b32 v1, v3, v1
	v_cmp_eq_u32_e64 s2, 1, v6
	s_delay_alu instid0(VALU_DEP_1) | instskip(NEXT) | instid1(SALU_CYCLE_1)
	s_and_b32 s2, s2, exec_lo
	s_or_b32 s3, s3, s2
; %bb.134:
	s_or_b32 exec_lo, exec_lo, s23
	v_mov_b32_dpp v6, v5 quad_perm:[2,3,0,1] row_mask:0xf bank_mask:0xf
	v_mov_b32_dpp v3, v1 quad_perm:[2,3,0,1] row_mask:0xf bank_mask:0xf
	;; [unrolled: 1-line block ×3, first 2 shown]
	s_mov_b32 s23, exec_lo
	s_delay_alu instid0(VALU_DEP_3) | instskip(NEXT) | instid1(VALU_DEP_1)
	v_and_b32_e32 v7, 1, v6
	v_cmpx_eq_u32_e32 1, v7
; %bb.135:
	v_cndmask_b32_e64 v5, v6, 1, s3
	v_cmp_lt_i64_e32 vcc_lo, v[1:2], v[3:4]
	s_delay_alu instid0(VALU_DEP_2)
	v_and_b32_e32 v6, 1, v5
	v_and_b32_e32 v5, 0xff, v5
	s_and_b32 vcc_lo, s3, vcc_lo
	s_and_not1_b32 s3, s3, exec_lo
	v_dual_cndmask_b32 v2, v4, v2 :: v_dual_cndmask_b32 v1, v3, v1
	v_cmp_eq_u32_e64 s2, 1, v6
	s_delay_alu instid0(VALU_DEP_1) | instskip(NEXT) | instid1(SALU_CYCLE_1)
	s_and_b32 s2, s2, exec_lo
	s_or_b32 s3, s3, s2
; %bb.136:
	s_or_b32 exec_lo, exec_lo, s23
	v_mov_b32_dpp v6, v5 row_ror:4 row_mask:0xf bank_mask:0xf
	v_mov_b32_dpp v3, v1 row_ror:4 row_mask:0xf bank_mask:0xf
	;; [unrolled: 1-line block ×3, first 2 shown]
	s_mov_b32 s23, exec_lo
	s_delay_alu instid0(VALU_DEP_3) | instskip(NEXT) | instid1(VALU_DEP_1)
	v_and_b32_e32 v7, 1, v6
	v_cmpx_eq_u32_e32 1, v7
; %bb.137:
	v_cndmask_b32_e64 v5, v6, 1, s3
	v_cmp_lt_i64_e32 vcc_lo, v[1:2], v[3:4]
	s_delay_alu instid0(VALU_DEP_2)
	v_and_b32_e32 v6, 1, v5
	v_and_b32_e32 v5, 0xff, v5
	s_and_b32 vcc_lo, s3, vcc_lo
	s_and_not1_b32 s3, s3, exec_lo
	v_dual_cndmask_b32 v2, v4, v2 :: v_dual_cndmask_b32 v1, v3, v1
	v_cmp_eq_u32_e64 s2, 1, v6
	s_delay_alu instid0(VALU_DEP_1) | instskip(NEXT) | instid1(SALU_CYCLE_1)
	s_and_b32 s2, s2, exec_lo
	s_or_b32 s3, s3, s2
; %bb.138:
	s_or_b32 exec_lo, exec_lo, s23
	v_mov_b32_dpp v6, v5 row_ror:8 row_mask:0xf bank_mask:0xf
	v_mov_b32_dpp v3, v1 row_ror:8 row_mask:0xf bank_mask:0xf
	;; [unrolled: 1-line block ×3, first 2 shown]
	s_mov_b32 s23, exec_lo
	s_delay_alu instid0(VALU_DEP_3) | instskip(NEXT) | instid1(VALU_DEP_1)
	v_and_b32_e32 v7, 1, v6
	v_cmpx_eq_u32_e32 1, v7
; %bb.139:
	v_cndmask_b32_e64 v5, v6, 1, s3
	v_cmp_lt_i64_e32 vcc_lo, v[1:2], v[3:4]
	s_delay_alu instid0(VALU_DEP_2)
	v_and_b32_e32 v6, 1, v5
	v_and_b32_e32 v5, 0xff, v5
	s_and_b32 vcc_lo, s3, vcc_lo
	s_and_not1_b32 s3, s3, exec_lo
	v_dual_cndmask_b32 v2, v4, v2 :: v_dual_cndmask_b32 v1, v3, v1
	v_cmp_eq_u32_e64 s2, 1, v6
	s_delay_alu instid0(VALU_DEP_1) | instskip(NEXT) | instid1(SALU_CYCLE_1)
	s_and_b32 s2, s2, exec_lo
	s_or_b32 s3, s3, s2
; %bb.140:
	s_or_b32 exec_lo, exec_lo, s23
	ds_swizzle_b32 v6, v5 offset:swizzle(BROADCAST,32,15)
	ds_swizzle_b32 v3, v1 offset:swizzle(BROADCAST,32,15)
	;; [unrolled: 1-line block ×3, first 2 shown]
	s_mov_b32 s2, exec_lo
	s_waitcnt lgkmcnt(2)
	v_and_b32_e32 v7, 1, v6
	s_delay_alu instid0(VALU_DEP_1)
	v_cmpx_eq_u32_e32 1, v7
	s_cbranch_execz .LBB481_142
; %bb.141:
	s_waitcnt lgkmcnt(0)
	v_cmp_lt_i64_e32 vcc_lo, v[1:2], v[3:4]
	v_and_b32_e32 v5, 0xff, v6
	s_delay_alu instid0(VALU_DEP_1)
	v_cndmask_b32_e64 v5, v5, 1, s3
	s_and_b32 vcc_lo, s3, vcc_lo
	v_dual_cndmask_b32 v1, v3, v1 :: v_dual_cndmask_b32 v2, v4, v2
.LBB481_142:
	s_or_b32 exec_lo, exec_lo, s2
	s_waitcnt lgkmcnt(1)
	v_mov_b32_e32 v3, 0
	s_mov_b32 s2, exec_lo
	ds_bpermute_b32 v6, v3, v5 offset:124
	ds_bpermute_b32 v1, v3, v1 offset:124
	;; [unrolled: 1-line block ×3, first 2 shown]
	v_mbcnt_lo_u32_b32 v3, -1, 0
	s_delay_alu instid0(VALU_DEP_1)
	v_cmpx_eq_u32_e32 0, v3
	s_cbranch_execz .LBB481_144
; %bb.143:
	s_waitcnt lgkmcnt(3)
	v_lshrrev_b32_e32 v4, 1, v0
	s_delay_alu instid0(VALU_DEP_1)
	v_and_b32_e32 v4, 0x70, v4
	s_waitcnt lgkmcnt(2)
	ds_store_b8 v4, v6 offset:128
	s_waitcnt lgkmcnt(1)
	ds_store_b64 v4, v[1:2] offset:136
.LBB481_144:
	s_or_b32 exec_lo, exec_lo, s2
	s_delay_alu instid0(SALU_CYCLE_1)
	s_mov_b32 s23, exec_lo
	s_waitcnt lgkmcnt(0)
	s_barrier
	buffer_gl0_inv
	v_cmpx_gt_u32_e32 32, v0
	s_cbranch_execz .LBB481_146
; %bb.145:
	v_and_b32_e32 v6, 7, v3
	s_delay_alu instid0(VALU_DEP_1)
	v_lshlrev_b32_e32 v1, 4, v6
	v_cmp_ne_u32_e32 vcc_lo, 7, v6
	ds_load_u8 v7, v1 offset:128
	ds_load_b64 v[1:2], v1 offset:136
	v_add_co_ci_u32_e32 v4, vcc_lo, 0, v3, vcc_lo
	v_cmp_gt_u32_e32 vcc_lo, 6, v6
	s_delay_alu instid0(VALU_DEP_2)
	v_lshlrev_b32_e32 v5, 2, v4
	v_cndmask_b32_e64 v10, 0, 1, vcc_lo
	s_waitcnt lgkmcnt(1)
	v_and_b32_e32 v4, 0xff, v7
	v_and_b32_e32 v11, 1, v7
	ds_bpermute_b32 v8, v5, v4
	s_waitcnt lgkmcnt(1)
	ds_bpermute_b32 v4, v5, v1
	ds_bpermute_b32 v5, v5, v2
	v_cmp_eq_u32_e64 s3, 1, v11
	s_waitcnt lgkmcnt(2)
	v_and_b32_e32 v9, 1, v8
	s_waitcnt lgkmcnt(0)
	v_cmp_lt_i64_e64 s2, v[4:5], v[1:2]
	s_delay_alu instid0(VALU_DEP_2) | instskip(SKIP_2) | instid1(VALU_DEP_4)
	v_cmp_eq_u32_e32 vcc_lo, 1, v9
	v_lshlrev_b32_e32 v9, 1, v10
	v_cndmask_b32_e64 v7, v7, 1, vcc_lo
	s_and_b32 vcc_lo, vcc_lo, s2
	v_dual_cndmask_b32 v1, v1, v4 :: v_dual_cndmask_b32 v2, v2, v5
	s_delay_alu instid0(VALU_DEP_2) | instskip(SKIP_2) | instid1(VALU_DEP_4)
	v_cndmask_b32_e64 v7, v8, v7, s3
	v_add_lshl_u32 v8, v9, v3, 2
	v_cmp_gt_u32_e32 vcc_lo, 4, v6
	v_cndmask_b32_e64 v1, v4, v1, s3
	v_cndmask_b32_e64 v2, v5, v2, s3
	v_and_b32_e32 v9, 0xff, v7
	v_and_b32_e32 v10, 1, v7
	v_cndmask_b32_e64 v6, 0, 1, vcc_lo
	ds_bpermute_b32 v4, v8, v1
	ds_bpermute_b32 v5, v8, v2
	;; [unrolled: 1-line block ×3, first 2 shown]
	v_cmp_eq_u32_e64 s3, 1, v10
	s_waitcnt lgkmcnt(1)
	v_cmp_lt_i64_e64 s2, v[4:5], v[1:2]
	s_waitcnt lgkmcnt(0)
	v_and_b32_e32 v8, 1, v9
	s_delay_alu instid0(VALU_DEP_1) | instskip(SKIP_1) | instid1(VALU_DEP_4)
	v_cmp_eq_u32_e32 vcc_lo, 1, v8
	v_cndmask_b32_e64 v7, v7, 1, vcc_lo
	s_and_b32 vcc_lo, vcc_lo, s2
	v_dual_cndmask_b32 v1, v1, v4 :: v_dual_cndmask_b32 v2, v2, v5
	s_delay_alu instid0(VALU_DEP_2) | instskip(NEXT) | instid1(VALU_DEP_2)
	v_cndmask_b32_e64 v7, v9, v7, s3
	v_cndmask_b32_e64 v1, v4, v1, s3
	v_lshlrev_b32_e32 v6, 2, v6
	s_delay_alu instid0(VALU_DEP_4) | instskip(NEXT) | instid1(VALU_DEP_2)
	v_cndmask_b32_e64 v2, v5, v2, s3
	v_add_lshl_u32 v6, v6, v3, 2
	v_and_b32_e32 v3, 0xff, v7
	ds_bpermute_b32 v4, v6, v2
	ds_bpermute_b32 v5, v6, v3
	;; [unrolled: 1-line block ×3, first 2 shown]
	s_waitcnt lgkmcnt(1)
	v_and_b32_e32 v6, 1, v5
	s_waitcnt lgkmcnt(0)
	v_cmp_lt_i64_e32 vcc_lo, v[3:4], v[1:2]
	s_delay_alu instid0(VALU_DEP_2) | instskip(SKIP_1) | instid1(VALU_DEP_2)
	v_cmp_eq_u32_e64 s2, 1, v6
	v_and_b32_e32 v6, 1, v7
	v_cndmask_b32_e64 v7, v7, 1, s2
	s_and_b32 vcc_lo, s2, vcc_lo
	s_delay_alu instid0(VALU_DEP_2) | instskip(SKIP_1) | instid1(VALU_DEP_2)
	v_cmp_eq_u32_e64 s2, 1, v6
	v_dual_cndmask_b32 v1, v1, v3 :: v_dual_cndmask_b32 v2, v2, v4
	v_cndmask_b32_e64 v5, v5, v7, s2
	s_delay_alu instid0(VALU_DEP_2) | instskip(NEXT) | instid1(VALU_DEP_3)
	v_cndmask_b32_e64 v1, v3, v1, s2
	v_cndmask_b32_e64 v2, v4, v2, s2
	s_delay_alu instid0(VALU_DEP_3)
	v_and_b32_e32 v6, 0xff, v5
.LBB481_146:
	s_or_b32 exec_lo, exec_lo, s23
	s_branch .LBB481_177
.LBB481_147:
                                        ; implicit-def: $vgpr3_vgpr4
                                        ; implicit-def: $vgpr5
	s_cbranch_execnz .LBB481_182
	s_branch .LBB481_200
.LBB481_148:
                                        ; implicit-def: $vgpr3_vgpr4
                                        ; implicit-def: $vgpr5
	s_branch .LBB481_200
.LBB481_149:
                                        ; implicit-def: $vgpr1_vgpr2
                                        ; implicit-def: $vgpr6
	s_cbranch_execz .LBB481_177
; %bb.150:
	s_waitcnt lgkmcnt(0)
	v_mov_b32_e32 v3, 0
	v_dual_mov_b32 v4, 0 :: v_dual_mov_b32 v5, 0
	s_delay_alu instid0(VALU_DEP_2) | instskip(SKIP_2) | instid1(VALU_DEP_3)
	v_mov_b32_e32 v1, v3
	v_mov_b32_e32 v7, 0
	s_sub_i32 s3, s14, s8
	v_mov_b32_e32 v2, v4
	s_mov_b32 s2, exec_lo
	v_cmpx_gt_u32_e64 s3, v0
	s_cbranch_execz .LBB481_152
; %bb.151:
	v_lshlrev_b32_e32 v1, 3, v0
	s_clause 0x1
	global_load_b64 v[6:7], v1, s[4:5]
	global_load_b64 v[8:9], v1, s[6:7]
	v_add_co_u32 v1, s8, s9, v0
	s_delay_alu instid0(VALU_DEP_1)
	v_add_co_ci_u32_e64 v2, null, s22, 0, s8
	s_waitcnt vmcnt(0)
	v_cmp_ne_u64_e32 vcc_lo, v[6:7], v[8:9]
	v_cndmask_b32_e64 v7, 0, 1, vcc_lo
.LBB481_152:
	s_or_b32 exec_lo, exec_lo, s2
	v_or_b32_e32 v6, 0x100, v0
	s_delay_alu instid0(VALU_DEP_1)
	v_cmp_gt_u32_e32 vcc_lo, s3, v6
	s_and_saveexec_b32 s8, vcc_lo
	s_cbranch_execz .LBB481_154
; %bb.153:
	v_lshlrev_b32_e32 v3, 3, v0
	s_clause 0x1
	global_load_b64 v[8:9], v3, s[4:5] offset:2048
	global_load_b64 v[10:11], v3, s[6:7] offset:2048
	v_add_co_u32 v3, s2, s9, v6
	s_delay_alu instid0(VALU_DEP_1) | instskip(SKIP_2) | instid1(VALU_DEP_1)
	v_add_co_ci_u32_e64 v4, null, s22, 0, s2
	s_waitcnt vmcnt(0)
	v_cmp_ne_u64_e64 s2, v[8:9], v[10:11]
	v_cndmask_b32_e64 v5, 0, 1, s2
.LBB481_154:
	s_or_b32 exec_lo, exec_lo, s8
	s_and_saveexec_b32 s4, vcc_lo
; %bb.155:
	s_delay_alu instid0(VALU_DEP_1) | instskip(SKIP_1) | instid1(VALU_DEP_2)
	v_and_b32_e32 v6, 1, v5
	v_cmp_lt_i64_e32 vcc_lo, v[3:4], v[1:2]
	v_cmp_eq_u32_e64 s2, 1, v6
	s_delay_alu instid0(VALU_DEP_1) | instskip(SKIP_4) | instid1(VALU_DEP_3)
	s_and_b32 vcc_lo, s2, vcc_lo
	v_cndmask_b32_e32 v1, v1, v3, vcc_lo
	v_and_b32_e32 v6, 1, v7
	v_cndmask_b32_e64 v7, v7, 1, s2
	v_cndmask_b32_e32 v2, v2, v4, vcc_lo
	v_cmp_eq_u32_e32 vcc_lo, 1, v6
	s_delay_alu instid0(VALU_DEP_2)
	v_dual_cndmask_b32 v7, v5, v7 :: v_dual_cndmask_b32 v2, v4, v2
	v_cndmask_b32_e32 v1, v3, v1, vcc_lo
; %bb.156:
	s_or_b32 exec_lo, exec_lo, s4
	v_mbcnt_lo_u32_b32 v5, -1, 0
	s_delay_alu instid0(VALU_DEP_3)
	v_and_b32_e32 v6, 0xffff, v7
	v_and_b32_e32 v8, 0xe0, v0
	s_min_u32 s3, s3, 0x100
	s_mov_b32 s4, exec_lo
	v_cmp_ne_u32_e32 vcc_lo, 31, v5
	v_add_nc_u32_e32 v10, 1, v5
	v_sub_nc_u32_e64 v8, s3, v8 clamp
	v_add_co_ci_u32_e32 v3, vcc_lo, 0, v5, vcc_lo
	s_delay_alu instid0(VALU_DEP_1)
	v_lshlrev_b32_e32 v4, 2, v3
	ds_bpermute_b32 v9, v4, v6
	ds_bpermute_b32 v3, v4, v1
	ds_bpermute_b32 v4, v4, v2
	v_cmpx_lt_u32_e64 v10, v8
	s_cbranch_execz .LBB481_158
; %bb.157:
	s_waitcnt lgkmcnt(2)
	v_and_b32_e32 v6, 1, v9
	s_waitcnt lgkmcnt(0)
	v_cmp_lt_i64_e32 vcc_lo, v[3:4], v[1:2]
	s_delay_alu instid0(VALU_DEP_2) | instskip(SKIP_1) | instid1(VALU_DEP_2)
	v_cmp_eq_u32_e64 s2, 1, v6
	v_and_b32_e32 v6, 1, v7
	v_cndmask_b32_e64 v7, v7, 1, s2
	s_and_b32 vcc_lo, s2, vcc_lo
	s_delay_alu instid0(VALU_DEP_2) | instskip(SKIP_1) | instid1(VALU_DEP_2)
	v_cmp_eq_u32_e64 s2, 1, v6
	v_dual_cndmask_b32 v1, v1, v3 :: v_dual_cndmask_b32 v2, v2, v4
	v_cndmask_b32_e64 v7, v9, v7, s2
	s_delay_alu instid0(VALU_DEP_2) | instskip(NEXT) | instid1(VALU_DEP_3)
	v_cndmask_b32_e64 v1, v3, v1, s2
	v_cndmask_b32_e64 v2, v4, v2, s2
	s_delay_alu instid0(VALU_DEP_3)
	v_and_b32_e32 v6, 0xff, v7
.LBB481_158:
	s_or_b32 exec_lo, exec_lo, s4
	v_cmp_gt_u32_e32 vcc_lo, 30, v5
	v_add_nc_u32_e32 v10, 2, v5
	s_mov_b32 s4, exec_lo
	s_waitcnt lgkmcnt(1)
	v_cndmask_b32_e64 v3, 0, 1, vcc_lo
	s_delay_alu instid0(VALU_DEP_1) | instskip(SKIP_1) | instid1(VALU_DEP_1)
	v_lshlrev_b32_e32 v3, 1, v3
	s_waitcnt lgkmcnt(0)
	v_add_lshl_u32 v4, v3, v5, 2
	ds_bpermute_b32 v9, v4, v6
	ds_bpermute_b32 v3, v4, v1
	ds_bpermute_b32 v4, v4, v2
	v_cmpx_lt_u32_e64 v10, v8
	s_cbranch_execz .LBB481_160
; %bb.159:
	s_waitcnt lgkmcnt(2)
	v_and_b32_e32 v6, 1, v9
	s_waitcnt lgkmcnt(0)
	v_cmp_lt_i64_e32 vcc_lo, v[3:4], v[1:2]
	s_delay_alu instid0(VALU_DEP_2) | instskip(SKIP_1) | instid1(VALU_DEP_2)
	v_cmp_eq_u32_e64 s2, 1, v6
	v_and_b32_e32 v6, 1, v7
	v_cndmask_b32_e64 v7, v7, 1, s2
	s_and_b32 vcc_lo, s2, vcc_lo
	s_delay_alu instid0(VALU_DEP_2) | instskip(SKIP_1) | instid1(VALU_DEP_2)
	v_cmp_eq_u32_e64 s2, 1, v6
	v_dual_cndmask_b32 v1, v1, v3 :: v_dual_cndmask_b32 v2, v2, v4
	v_cndmask_b32_e64 v7, v9, v7, s2
	s_delay_alu instid0(VALU_DEP_2) | instskip(NEXT) | instid1(VALU_DEP_3)
	v_cndmask_b32_e64 v1, v3, v1, s2
	v_cndmask_b32_e64 v2, v4, v2, s2
	s_delay_alu instid0(VALU_DEP_3)
	v_and_b32_e32 v6, 0xff, v7
.LBB481_160:
	s_or_b32 exec_lo, exec_lo, s4
	v_cmp_gt_u32_e32 vcc_lo, 28, v5
	v_add_nc_u32_e32 v10, 4, v5
	s_mov_b32 s4, exec_lo
	s_waitcnt lgkmcnt(1)
	v_cndmask_b32_e64 v3, 0, 1, vcc_lo
	s_delay_alu instid0(VALU_DEP_1) | instskip(SKIP_1) | instid1(VALU_DEP_1)
	v_lshlrev_b32_e32 v3, 2, v3
	s_waitcnt lgkmcnt(0)
	v_add_lshl_u32 v4, v3, v5, 2
	;; [unrolled: 35-line block ×4, first 2 shown]
	ds_bpermute_b32 v9, v4, v6
	ds_bpermute_b32 v3, v4, v1
	;; [unrolled: 1-line block ×3, first 2 shown]
	v_cmpx_lt_u32_e64 v10, v8
	s_cbranch_execz .LBB481_166
; %bb.165:
	s_waitcnt lgkmcnt(2)
	v_and_b32_e32 v6, 1, v9
	s_waitcnt lgkmcnt(0)
	v_cmp_lt_i64_e32 vcc_lo, v[3:4], v[1:2]
	s_delay_alu instid0(VALU_DEP_2) | instskip(SKIP_1) | instid1(VALU_DEP_2)
	v_cmp_eq_u32_e64 s2, 1, v6
	v_and_b32_e32 v6, 1, v7
	v_cndmask_b32_e64 v7, v7, 1, s2
	s_and_b32 vcc_lo, s2, vcc_lo
	s_delay_alu instid0(VALU_DEP_2) | instskip(SKIP_1) | instid1(VALU_DEP_2)
	v_cmp_eq_u32_e64 s2, 1, v6
	v_dual_cndmask_b32 v1, v1, v3 :: v_dual_cndmask_b32 v2, v2, v4
	v_cndmask_b32_e64 v7, v9, v7, s2
	s_delay_alu instid0(VALU_DEP_2) | instskip(NEXT) | instid1(VALU_DEP_3)
	v_cndmask_b32_e64 v1, v3, v1, s2
	v_cndmask_b32_e64 v2, v4, v2, s2
	s_delay_alu instid0(VALU_DEP_3)
	v_and_b32_e32 v6, 0xff, v7
.LBB481_166:
	s_or_b32 exec_lo, exec_lo, s4
	s_delay_alu instid0(SALU_CYCLE_1)
	s_mov_b32 s2, exec_lo
	v_cmpx_eq_u32_e32 0, v5
	s_cbranch_execz .LBB481_168
; %bb.167:
	s_waitcnt lgkmcnt(1)
	v_lshrrev_b32_e32 v3, 1, v0
	s_delay_alu instid0(VALU_DEP_1)
	v_and_b32_e32 v3, 0x70, v3
	ds_store_b8 v3, v7 offset:512
	ds_store_b64 v3, v[1:2] offset:520
.LBB481_168:
	s_or_b32 exec_lo, exec_lo, s2
	s_delay_alu instid0(SALU_CYCLE_1)
	s_mov_b32 s4, exec_lo
	s_waitcnt lgkmcnt(0)
	s_barrier
	buffer_gl0_inv
	v_cmpx_gt_u32_e32 8, v0
	s_cbranch_execz .LBB481_176
; %bb.169:
	v_lshlrev_b32_e32 v1, 4, v5
	v_and_b32_e32 v8, 7, v5
	s_add_i32 s3, s3, 31
	s_mov_b32 s5, exec_lo
	s_lshr_b32 s3, s3, 5
	ds_load_u8 v7, v1 offset:512
	ds_load_b64 v[1:2], v1 offset:520
	v_cmp_ne_u32_e32 vcc_lo, 7, v8
	v_add_nc_u32_e32 v10, 1, v8
	v_add_co_ci_u32_e32 v3, vcc_lo, 0, v5, vcc_lo
	s_delay_alu instid0(VALU_DEP_1)
	v_lshlrev_b32_e32 v4, 2, v3
	s_waitcnt lgkmcnt(1)
	v_and_b32_e32 v6, 0xff, v7
	s_waitcnt lgkmcnt(0)
	ds_bpermute_b32 v3, v4, v1
	ds_bpermute_b32 v9, v4, v6
	;; [unrolled: 1-line block ×3, first 2 shown]
	v_cmpx_gt_u32_e64 s3, v10
	s_cbranch_execz .LBB481_171
; %bb.170:
	s_waitcnt lgkmcnt(1)
	v_and_b32_e32 v6, 1, v9
	s_waitcnt lgkmcnt(0)
	v_cmp_lt_i64_e32 vcc_lo, v[3:4], v[1:2]
	s_delay_alu instid0(VALU_DEP_2) | instskip(SKIP_1) | instid1(VALU_DEP_2)
	v_cmp_eq_u32_e64 s2, 1, v6
	v_and_b32_e32 v6, 1, v7
	v_cndmask_b32_e64 v7, v7, 1, s2
	s_and_b32 vcc_lo, s2, vcc_lo
	s_delay_alu instid0(VALU_DEP_2) | instskip(SKIP_1) | instid1(VALU_DEP_2)
	v_cmp_eq_u32_e64 s2, 1, v6
	v_dual_cndmask_b32 v1, v1, v3 :: v_dual_cndmask_b32 v2, v2, v4
	v_cndmask_b32_e64 v7, v9, v7, s2
	s_delay_alu instid0(VALU_DEP_2) | instskip(NEXT) | instid1(VALU_DEP_3)
	v_cndmask_b32_e64 v1, v3, v1, s2
	v_cndmask_b32_e64 v2, v4, v2, s2
	s_delay_alu instid0(VALU_DEP_3)
	v_and_b32_e32 v6, 0xff, v7
.LBB481_171:
	s_or_b32 exec_lo, exec_lo, s5
	v_cmp_gt_u32_e32 vcc_lo, 6, v8
	v_add_nc_u32_e32 v10, 2, v8
	s_mov_b32 s5, exec_lo
	s_waitcnt lgkmcnt(2)
	v_cndmask_b32_e64 v3, 0, 1, vcc_lo
	s_delay_alu instid0(VALU_DEP_1) | instskip(SKIP_1) | instid1(VALU_DEP_1)
	v_lshlrev_b32_e32 v3, 1, v3
	s_waitcnt lgkmcnt(0)
	v_add_lshl_u32 v4, v3, v5, 2
	ds_bpermute_b32 v9, v4, v6
	ds_bpermute_b32 v3, v4, v1
	;; [unrolled: 1-line block ×3, first 2 shown]
	v_cmpx_gt_u32_e64 s3, v10
	s_cbranch_execz .LBB481_173
; %bb.172:
	s_waitcnt lgkmcnt(2)
	v_and_b32_e32 v6, 1, v9
	s_waitcnt lgkmcnt(0)
	v_cmp_lt_i64_e32 vcc_lo, v[3:4], v[1:2]
	s_delay_alu instid0(VALU_DEP_2) | instskip(SKIP_1) | instid1(VALU_DEP_2)
	v_cmp_eq_u32_e64 s2, 1, v6
	v_and_b32_e32 v6, 1, v7
	v_cndmask_b32_e64 v7, v7, 1, s2
	s_and_b32 vcc_lo, s2, vcc_lo
	s_delay_alu instid0(VALU_DEP_2) | instskip(SKIP_1) | instid1(VALU_DEP_2)
	v_cmp_eq_u32_e64 s2, 1, v6
	v_dual_cndmask_b32 v1, v1, v3 :: v_dual_cndmask_b32 v2, v2, v4
	v_cndmask_b32_e64 v7, v9, v7, s2
	s_delay_alu instid0(VALU_DEP_2) | instskip(NEXT) | instid1(VALU_DEP_3)
	v_cndmask_b32_e64 v1, v3, v1, s2
	v_cndmask_b32_e64 v2, v4, v2, s2
	s_delay_alu instid0(VALU_DEP_3)
	v_and_b32_e32 v6, 0xff, v7
.LBB481_173:
	s_or_b32 exec_lo, exec_lo, s5
	v_cmp_gt_u32_e32 vcc_lo, 4, v8
	v_add_nc_u32_e32 v8, 4, v8
	s_waitcnt lgkmcnt(1)
	v_cndmask_b32_e64 v3, 0, 1, vcc_lo
	s_delay_alu instid0(VALU_DEP_2) | instskip(NEXT) | instid1(VALU_DEP_2)
	v_cmp_gt_u32_e32 vcc_lo, s3, v8
	v_lshlrev_b32_e32 v3, 2, v3
	s_waitcnt lgkmcnt(0)
	s_delay_alu instid0(VALU_DEP_1)
	v_add_lshl_u32 v4, v3, v5, 2
	ds_bpermute_b32 v5, v4, v6
	ds_bpermute_b32 v3, v4, v1
	;; [unrolled: 1-line block ×3, first 2 shown]
	s_and_saveexec_b32 s3, vcc_lo
	s_cbranch_execz .LBB481_175
; %bb.174:
	s_waitcnt lgkmcnt(2)
	v_and_b32_e32 v6, 1, v5
	s_waitcnt lgkmcnt(0)
	v_cmp_lt_i64_e32 vcc_lo, v[3:4], v[1:2]
	s_delay_alu instid0(VALU_DEP_2) | instskip(SKIP_1) | instid1(VALU_DEP_2)
	v_cmp_eq_u32_e64 s2, 1, v6
	v_and_b32_e32 v6, 1, v7
	v_cndmask_b32_e64 v7, v7, 1, s2
	s_and_b32 vcc_lo, s2, vcc_lo
	s_delay_alu instid0(VALU_DEP_2) | instskip(SKIP_1) | instid1(VALU_DEP_2)
	v_cmp_eq_u32_e64 s2, 1, v6
	v_dual_cndmask_b32 v1, v1, v3 :: v_dual_cndmask_b32 v2, v2, v4
	v_cndmask_b32_e64 v5, v5, v7, s2
	s_delay_alu instid0(VALU_DEP_2) | instskip(NEXT) | instid1(VALU_DEP_3)
	v_cndmask_b32_e64 v1, v3, v1, s2
	v_cndmask_b32_e64 v2, v4, v2, s2
	s_delay_alu instid0(VALU_DEP_3)
	v_and_b32_e32 v6, 0xff, v5
.LBB481_175:
	s_or_b32 exec_lo, exec_lo, s3
.LBB481_176:
	s_delay_alu instid0(SALU_CYCLE_1)
	s_or_b32 exec_lo, exec_lo, s4
.LBB481_177:
                                        ; implicit-def: $vgpr3_vgpr4
                                        ; implicit-def: $vgpr5
	s_delay_alu instid0(SALU_CYCLE_1)
	s_mov_b32 s2, exec_lo
	v_cmpx_eq_u32_e32 0, v0
	s_xor_b32 s4, exec_lo, s2
	s_cbranch_execz .LBB481_181
; %bb.178:
	s_waitcnt lgkmcnt(0)
	v_dual_mov_b32 v3, s20 :: v_dual_mov_b32 v4, s21
	v_mov_b32_e32 v5, s24
	s_cmp_eq_u64 s[14:15], 0
	s_cbranch_scc1 .LBB481_180
; %bb.179:
	v_and_b32_e32 v3, 1, v6
	v_cmp_gt_i64_e32 vcc_lo, s[20:21], v[1:2]
	s_bitcmp1_b32 s24, 0
	s_cselect_b32 s3, -1, 0
	s_delay_alu instid0(VALU_DEP_2) | instskip(NEXT) | instid1(VALU_DEP_1)
	v_cmp_eq_u32_e64 s2, 1, v3
	s_and_b32 vcc_lo, s2, vcc_lo
	v_cndmask_b32_e64 v3, s24, 1, s2
	v_cndmask_b32_e32 v7, s20, v1, vcc_lo
	v_cndmask_b32_e32 v4, s21, v2, vcc_lo
	s_delay_alu instid0(VALU_DEP_3) | instskip(NEXT) | instid1(VALU_DEP_3)
	v_cndmask_b32_e64 v5, v6, v3, s3
	v_cndmask_b32_e64 v3, v1, v7, s3
	s_delay_alu instid0(VALU_DEP_3)
	v_cndmask_b32_e64 v4, v2, v4, s3
.LBB481_180:
	s_or_b32 s26, s26, exec_lo
.LBB481_181:
	s_or_b32 exec_lo, exec_lo, s4
	s_branch .LBB481_200
.LBB481_182:
	s_cmp_eq_u32 s25, 1
	s_cbranch_scc0 .LBB481_199
; %bb.183:
	s_mov_b32 s5, 0
	s_lshr_b64 s[2:3], s[14:15], 8
	s_mov_b32 s11, s5
	s_lshl_b32 s4, s10, 8
	s_cmp_lg_u64 s[2:3], s[10:11]
	s_cbranch_scc0 .LBB481_203
; %bb.184:
	s_lshl_b64 s[2:3], s[4:5], 3
	s_waitcnt lgkmcnt(1)
	v_lshlrev_b32_e32 v3, 3, v0
	s_add_u32 s6, s16, s2
	s_addc_u32 s7, s17, s3
	s_add_u32 s2, s18, s2
	s_addc_u32 s3, s19, s3
	global_load_b64 v[1:2], v3, s[6:7]
	s_waitcnt lgkmcnt(0)
	global_load_b64 v[3:4], v3, s[2:3]
	s_add_u32 s2, s12, s4
	s_addc_u32 s3, s13, 0
	s_waitcnt vmcnt(0)
	v_cmp_ne_u64_e32 vcc_lo, v[1:2], v[3:4]
	v_cndmask_b32_e64 v1, 0, 1, vcc_lo
	v_cndmask_b32_e64 v6, 0, 1, vcc_lo
	s_delay_alu instid0(VALU_DEP_2) | instskip(SKIP_1) | instid1(VALU_DEP_1)
	v_mov_b32_dpp v5, v1 quad_perm:[1,0,3,2] row_mask:0xf bank_mask:0xf
	v_add_co_u32 v1, s2, s2, v0
	v_add_co_ci_u32_e64 v2, null, s3, 0, s2
	s_delay_alu instid0(VALU_DEP_3) | instskip(NEXT) | instid1(VALU_DEP_3)
	v_and_b32_e32 v7, 1, v5
	v_mov_b32_dpp v3, v1 quad_perm:[1,0,3,2] row_mask:0xf bank_mask:0xf
	s_mov_b32 s3, exec_lo
	s_delay_alu instid0(VALU_DEP_3) | instskip(NEXT) | instid1(VALU_DEP_3)
	v_mov_b32_dpp v4, v2 quad_perm:[1,0,3,2] row_mask:0xf bank_mask:0xf
	v_cmpx_eq_u32_e32 1, v7
; %bb.185:
	s_delay_alu instid0(VALU_DEP_2) | instskip(SKIP_1) | instid1(VALU_DEP_2)
	v_cmp_lt_i64_e64 s2, v[1:2], v[3:4]
	v_cndmask_b32_e64 v6, v5, 1, vcc_lo
	s_and_b32 vcc_lo, vcc_lo, s2
	v_dual_cndmask_b32 v2, v4, v2 :: v_dual_cndmask_b32 v1, v3, v1
; %bb.186:
	s_or_b32 exec_lo, exec_lo, s3
	s_delay_alu instid0(VALU_DEP_2) | instskip(SKIP_1) | instid1(VALU_DEP_3)
	v_and_b32_e32 v5, 0xff, v6
	v_and_b32_e32 v6, 1, v6
	v_mov_b32_dpp v3, v1 quad_perm:[2,3,0,1] row_mask:0xf bank_mask:0xf
	v_mov_b32_dpp v4, v2 quad_perm:[2,3,0,1] row_mask:0xf bank_mask:0xf
	s_mov_b32 s6, exec_lo
	v_mov_b32_dpp v7, v5 quad_perm:[2,3,0,1] row_mask:0xf bank_mask:0xf
	v_cmp_eq_u32_e64 s3, 1, v6
	s_delay_alu instid0(VALU_DEP_2) | instskip(NEXT) | instid1(VALU_DEP_1)
	v_and_b32_e32 v8, 1, v7
	v_cmpx_eq_u32_e32 1, v8
; %bb.187:
	s_delay_alu instid0(VALU_DEP_3) | instskip(SKIP_1) | instid1(VALU_DEP_2)
	v_cndmask_b32_e64 v5, v7, 1, s3
	v_cmp_lt_i64_e32 vcc_lo, v[1:2], v[3:4]
	v_and_b32_e32 v6, 1, v5
	v_and_b32_e32 v5, 0xff, v5
	s_and_b32 vcc_lo, s3, vcc_lo
	s_and_not1_b32 s3, s3, exec_lo
	v_dual_cndmask_b32 v2, v4, v2 :: v_dual_cndmask_b32 v1, v3, v1
	v_cmp_eq_u32_e64 s2, 1, v6
	s_delay_alu instid0(VALU_DEP_1) | instskip(NEXT) | instid1(SALU_CYCLE_1)
	s_and_b32 s2, s2, exec_lo
	s_or_b32 s3, s3, s2
; %bb.188:
	s_or_b32 exec_lo, exec_lo, s6
	v_mov_b32_dpp v6, v5 row_ror:4 row_mask:0xf bank_mask:0xf
	v_mov_b32_dpp v3, v1 row_ror:4 row_mask:0xf bank_mask:0xf
	;; [unrolled: 1-line block ×3, first 2 shown]
	s_mov_b32 s6, exec_lo
	s_delay_alu instid0(VALU_DEP_3) | instskip(NEXT) | instid1(VALU_DEP_1)
	v_and_b32_e32 v7, 1, v6
	v_cmpx_eq_u32_e32 1, v7
; %bb.189:
	v_cndmask_b32_e64 v5, v6, 1, s3
	v_cmp_lt_i64_e32 vcc_lo, v[1:2], v[3:4]
	s_delay_alu instid0(VALU_DEP_2)
	v_and_b32_e32 v6, 1, v5
	v_and_b32_e32 v5, 0xff, v5
	s_and_b32 vcc_lo, s3, vcc_lo
	s_and_not1_b32 s3, s3, exec_lo
	v_dual_cndmask_b32 v2, v4, v2 :: v_dual_cndmask_b32 v1, v3, v1
	v_cmp_eq_u32_e64 s2, 1, v6
	s_delay_alu instid0(VALU_DEP_1) | instskip(NEXT) | instid1(SALU_CYCLE_1)
	s_and_b32 s2, s2, exec_lo
	s_or_b32 s3, s3, s2
; %bb.190:
	s_or_b32 exec_lo, exec_lo, s6
	v_mov_b32_dpp v6, v5 row_ror:8 row_mask:0xf bank_mask:0xf
	v_mov_b32_dpp v3, v1 row_ror:8 row_mask:0xf bank_mask:0xf
	;; [unrolled: 1-line block ×3, first 2 shown]
	s_mov_b32 s6, exec_lo
	s_delay_alu instid0(VALU_DEP_3) | instskip(NEXT) | instid1(VALU_DEP_1)
	v_and_b32_e32 v7, 1, v6
	v_cmpx_eq_u32_e32 1, v7
; %bb.191:
	v_cndmask_b32_e64 v5, v6, 1, s3
	v_cmp_lt_i64_e32 vcc_lo, v[1:2], v[3:4]
	s_delay_alu instid0(VALU_DEP_2)
	v_and_b32_e32 v6, 1, v5
	v_and_b32_e32 v5, 0xff, v5
	s_and_b32 vcc_lo, s3, vcc_lo
	s_and_not1_b32 s3, s3, exec_lo
	v_dual_cndmask_b32 v2, v4, v2 :: v_dual_cndmask_b32 v1, v3, v1
	v_cmp_eq_u32_e64 s2, 1, v6
	s_delay_alu instid0(VALU_DEP_1) | instskip(NEXT) | instid1(SALU_CYCLE_1)
	s_and_b32 s2, s2, exec_lo
	s_or_b32 s3, s3, s2
; %bb.192:
	s_or_b32 exec_lo, exec_lo, s6
	ds_swizzle_b32 v6, v5 offset:swizzle(BROADCAST,32,15)
	ds_swizzle_b32 v3, v1 offset:swizzle(BROADCAST,32,15)
	;; [unrolled: 1-line block ×3, first 2 shown]
	s_mov_b32 s2, exec_lo
	s_waitcnt lgkmcnt(2)
	v_and_b32_e32 v7, 1, v6
	s_delay_alu instid0(VALU_DEP_1)
	v_cmpx_eq_u32_e32 1, v7
	s_cbranch_execz .LBB481_194
; %bb.193:
	s_waitcnt lgkmcnt(0)
	v_cmp_lt_i64_e32 vcc_lo, v[1:2], v[3:4]
	v_and_b32_e32 v5, 0xff, v6
	s_delay_alu instid0(VALU_DEP_1)
	v_cndmask_b32_e64 v5, v5, 1, s3
	s_and_b32 vcc_lo, s3, vcc_lo
	v_dual_cndmask_b32 v1, v3, v1 :: v_dual_cndmask_b32 v2, v4, v2
.LBB481_194:
	s_or_b32 exec_lo, exec_lo, s2
	s_waitcnt lgkmcnt(1)
	v_mov_b32_e32 v3, 0
	s_mov_b32 s2, exec_lo
	ds_bpermute_b32 v6, v3, v5 offset:124
	ds_bpermute_b32 v1, v3, v1 offset:124
	ds_bpermute_b32 v2, v3, v2 offset:124
	v_mbcnt_lo_u32_b32 v3, -1, 0
	s_delay_alu instid0(VALU_DEP_1)
	v_cmpx_eq_u32_e32 0, v3
	s_cbranch_execz .LBB481_196
; %bb.195:
	s_waitcnt lgkmcnt(3)
	v_lshrrev_b32_e32 v4, 1, v0
	s_delay_alu instid0(VALU_DEP_1)
	v_and_b32_e32 v4, 0x70, v4
	s_waitcnt lgkmcnt(2)
	ds_store_b8 v4, v6
	s_waitcnt lgkmcnt(1)
	ds_store_b64 v4, v[1:2] offset:8
.LBB481_196:
	s_or_b32 exec_lo, exec_lo, s2
	s_delay_alu instid0(SALU_CYCLE_1)
	s_mov_b32 s6, exec_lo
	s_waitcnt lgkmcnt(0)
	s_barrier
	buffer_gl0_inv
	v_cmpx_gt_u32_e32 32, v0
	s_cbranch_execz .LBB481_198
; %bb.197:
	v_and_b32_e32 v6, 7, v3
	s_delay_alu instid0(VALU_DEP_1)
	v_lshlrev_b32_e32 v1, 4, v6
	v_cmp_ne_u32_e32 vcc_lo, 7, v6
	ds_load_u8 v7, v1
	ds_load_b64 v[1:2], v1 offset:8
	v_add_co_ci_u32_e32 v4, vcc_lo, 0, v3, vcc_lo
	v_cmp_gt_u32_e32 vcc_lo, 6, v6
	s_delay_alu instid0(VALU_DEP_2)
	v_lshlrev_b32_e32 v5, 2, v4
	v_cndmask_b32_e64 v10, 0, 1, vcc_lo
	s_waitcnt lgkmcnt(1)
	v_and_b32_e32 v4, 0xff, v7
	v_and_b32_e32 v11, 1, v7
	ds_bpermute_b32 v8, v5, v4
	s_waitcnt lgkmcnt(1)
	ds_bpermute_b32 v4, v5, v1
	ds_bpermute_b32 v5, v5, v2
	v_cmp_eq_u32_e64 s3, 1, v11
	s_waitcnt lgkmcnt(2)
	v_and_b32_e32 v9, 1, v8
	s_waitcnt lgkmcnt(0)
	v_cmp_lt_i64_e64 s2, v[4:5], v[1:2]
	s_delay_alu instid0(VALU_DEP_2) | instskip(SKIP_2) | instid1(VALU_DEP_4)
	v_cmp_eq_u32_e32 vcc_lo, 1, v9
	v_lshlrev_b32_e32 v9, 1, v10
	v_cndmask_b32_e64 v7, v7, 1, vcc_lo
	s_and_b32 vcc_lo, vcc_lo, s2
	v_dual_cndmask_b32 v1, v1, v4 :: v_dual_cndmask_b32 v2, v2, v5
	s_delay_alu instid0(VALU_DEP_2) | instskip(SKIP_2) | instid1(VALU_DEP_4)
	v_cndmask_b32_e64 v7, v8, v7, s3
	v_add_lshl_u32 v8, v9, v3, 2
	v_cmp_gt_u32_e32 vcc_lo, 4, v6
	v_cndmask_b32_e64 v1, v4, v1, s3
	v_cndmask_b32_e64 v2, v5, v2, s3
	v_and_b32_e32 v9, 0xff, v7
	v_and_b32_e32 v10, 1, v7
	v_cndmask_b32_e64 v6, 0, 1, vcc_lo
	ds_bpermute_b32 v4, v8, v1
	ds_bpermute_b32 v5, v8, v2
	;; [unrolled: 1-line block ×3, first 2 shown]
	v_cmp_eq_u32_e64 s3, 1, v10
	s_waitcnt lgkmcnt(1)
	v_cmp_lt_i64_e64 s2, v[4:5], v[1:2]
	s_waitcnt lgkmcnt(0)
	v_and_b32_e32 v8, 1, v9
	s_delay_alu instid0(VALU_DEP_1) | instskip(SKIP_1) | instid1(VALU_DEP_4)
	v_cmp_eq_u32_e32 vcc_lo, 1, v8
	v_cndmask_b32_e64 v7, v7, 1, vcc_lo
	s_and_b32 vcc_lo, vcc_lo, s2
	v_dual_cndmask_b32 v1, v1, v4 :: v_dual_cndmask_b32 v2, v2, v5
	s_delay_alu instid0(VALU_DEP_2) | instskip(NEXT) | instid1(VALU_DEP_2)
	v_cndmask_b32_e64 v7, v9, v7, s3
	v_cndmask_b32_e64 v1, v4, v1, s3
	v_lshlrev_b32_e32 v6, 2, v6
	s_delay_alu instid0(VALU_DEP_4) | instskip(NEXT) | instid1(VALU_DEP_2)
	v_cndmask_b32_e64 v2, v5, v2, s3
	v_add_lshl_u32 v6, v6, v3, 2
	v_and_b32_e32 v3, 0xff, v7
	ds_bpermute_b32 v4, v6, v2
	ds_bpermute_b32 v5, v6, v3
	;; [unrolled: 1-line block ×3, first 2 shown]
	s_waitcnt lgkmcnt(1)
	v_and_b32_e32 v6, 1, v5
	s_waitcnt lgkmcnt(0)
	v_cmp_lt_i64_e32 vcc_lo, v[3:4], v[1:2]
	s_delay_alu instid0(VALU_DEP_2) | instskip(SKIP_1) | instid1(VALU_DEP_2)
	v_cmp_eq_u32_e64 s2, 1, v6
	v_and_b32_e32 v6, 1, v7
	v_cndmask_b32_e64 v7, v7, 1, s2
	s_and_b32 vcc_lo, s2, vcc_lo
	s_delay_alu instid0(VALU_DEP_2) | instskip(SKIP_1) | instid1(VALU_DEP_2)
	v_cmp_eq_u32_e64 s2, 1, v6
	v_dual_cndmask_b32 v1, v1, v3 :: v_dual_cndmask_b32 v2, v2, v4
	v_cndmask_b32_e64 v5, v5, v7, s2
	s_delay_alu instid0(VALU_DEP_2) | instskip(NEXT) | instid1(VALU_DEP_3)
	v_cndmask_b32_e64 v1, v3, v1, s2
	v_cndmask_b32_e64 v2, v4, v2, s2
	s_delay_alu instid0(VALU_DEP_3)
	v_and_b32_e32 v6, 0xff, v5
.LBB481_198:
	s_or_b32 exec_lo, exec_lo, s6
	s_branch .LBB481_227
.LBB481_199:
                                        ; implicit-def: $vgpr3_vgpr4
                                        ; implicit-def: $vgpr5
                                        ; implicit-def: $sgpr10_sgpr11
.LBB481_200:
	s_and_saveexec_b32 s2, s26
	s_cbranch_execz .LBB481_202
.LBB481_201:
	s_load_b64 s[0:1], s[0:1], 0x38
	s_lshl_b64 s[2:3], s[10:11], 4
	v_mov_b32_e32 v0, 0
	s_waitcnt lgkmcnt(0)
	s_add_u32 s0, s0, s2
	s_addc_u32 s1, s1, s3
	s_clause 0x1
	global_store_b8 v0, v5, s[0:1]
	global_store_b64 v0, v[3:4], s[0:1] offset:8
.LBB481_202:
	s_nop 0
	s_sendmsg sendmsg(MSG_DEALLOC_VGPRS)
	s_endpgm
.LBB481_203:
                                        ; implicit-def: $vgpr1_vgpr2
                                        ; implicit-def: $vgpr6
	s_cbranch_execz .LBB481_227
; %bb.204:
	v_mov_b32_e32 v1, 0
	v_dual_mov_b32 v2, 0 :: v_dual_mov_b32 v7, 0
	s_sub_i32 s2, s14, s4
	s_mov_b32 s3, exec_lo
	v_cmpx_gt_u32_e64 s2, v0
	s_cbranch_execz .LBB481_206
; %bb.205:
	s_lshl_b64 s[6:7], s[4:5], 3
	v_lshlrev_b32_e32 v1, 3, v0
	s_add_u32 s8, s18, s6
	s_addc_u32 s9, s19, s7
	s_add_u32 s6, s16, s6
	s_addc_u32 s7, s17, s7
	s_add_u32 s4, s12, s4
	s_waitcnt lgkmcnt(0)
	s_clause 0x1
	global_load_b64 v[3:4], v1, s[6:7]
	global_load_b64 v[5:6], v1, s[8:9]
	s_addc_u32 s5, s13, 0
	v_add_co_u32 v1, s4, s4, v0
	s_delay_alu instid0(VALU_DEP_1)
	v_add_co_ci_u32_e64 v2, null, s5, 0, s4
	s_waitcnt vmcnt(0)
	v_cmp_ne_u64_e32 vcc_lo, v[3:4], v[5:6]
	v_cndmask_b32_e64 v7, 0, 1, vcc_lo
.LBB481_206:
	s_or_b32 exec_lo, exec_lo, s3
	s_waitcnt lgkmcnt(2)
	v_mbcnt_lo_u32_b32 v5, -1, 0
	s_delay_alu instid0(VALU_DEP_2)
	v_and_b32_e32 v6, 0xffff, v7
	v_and_b32_e32 v8, 0xe0, v0
	s_min_u32 s3, s2, 0x100
	s_mov_b32 s4, exec_lo
	v_cmp_ne_u32_e32 vcc_lo, 31, v5
	v_add_nc_u32_e32 v10, 1, v5
	v_sub_nc_u32_e64 v8, s3, v8 clamp
	s_waitcnt lgkmcnt(1)
	v_add_co_ci_u32_e32 v3, vcc_lo, 0, v5, vcc_lo
	s_waitcnt lgkmcnt(0)
	s_delay_alu instid0(VALU_DEP_1)
	v_lshlrev_b32_e32 v4, 2, v3
	ds_bpermute_b32 v9, v4, v6
	ds_bpermute_b32 v3, v4, v1
	ds_bpermute_b32 v4, v4, v2
	v_cmpx_lt_u32_e64 v10, v8
	s_cbranch_execz .LBB481_208
; %bb.207:
	s_waitcnt lgkmcnt(2)
	v_and_b32_e32 v6, 1, v9
	s_waitcnt lgkmcnt(0)
	v_cmp_lt_i64_e32 vcc_lo, v[3:4], v[1:2]
	s_delay_alu instid0(VALU_DEP_2) | instskip(SKIP_1) | instid1(VALU_DEP_2)
	v_cmp_eq_u32_e64 s2, 1, v6
	v_and_b32_e32 v6, 1, v7
	v_cndmask_b32_e64 v7, v7, 1, s2
	s_and_b32 vcc_lo, s2, vcc_lo
	s_delay_alu instid0(VALU_DEP_2) | instskip(SKIP_1) | instid1(VALU_DEP_2)
	v_cmp_eq_u32_e64 s2, 1, v6
	v_dual_cndmask_b32 v1, v1, v3 :: v_dual_cndmask_b32 v2, v2, v4
	v_cndmask_b32_e64 v7, v9, v7, s2
	s_delay_alu instid0(VALU_DEP_2) | instskip(NEXT) | instid1(VALU_DEP_3)
	v_cndmask_b32_e64 v1, v3, v1, s2
	v_cndmask_b32_e64 v2, v4, v2, s2
	s_delay_alu instid0(VALU_DEP_3)
	v_and_b32_e32 v6, 0xff, v7
.LBB481_208:
	s_or_b32 exec_lo, exec_lo, s4
	v_cmp_gt_u32_e32 vcc_lo, 30, v5
	v_add_nc_u32_e32 v10, 2, v5
	s_mov_b32 s4, exec_lo
	s_waitcnt lgkmcnt(1)
	v_cndmask_b32_e64 v3, 0, 1, vcc_lo
	s_delay_alu instid0(VALU_DEP_1) | instskip(SKIP_1) | instid1(VALU_DEP_1)
	v_lshlrev_b32_e32 v3, 1, v3
	s_waitcnt lgkmcnt(0)
	v_add_lshl_u32 v4, v3, v5, 2
	ds_bpermute_b32 v9, v4, v6
	ds_bpermute_b32 v3, v4, v1
	ds_bpermute_b32 v4, v4, v2
	v_cmpx_lt_u32_e64 v10, v8
	s_cbranch_execz .LBB481_210
; %bb.209:
	s_waitcnt lgkmcnt(2)
	v_and_b32_e32 v6, 1, v9
	s_waitcnt lgkmcnt(0)
	v_cmp_lt_i64_e32 vcc_lo, v[3:4], v[1:2]
	s_delay_alu instid0(VALU_DEP_2) | instskip(SKIP_1) | instid1(VALU_DEP_2)
	v_cmp_eq_u32_e64 s2, 1, v6
	v_and_b32_e32 v6, 1, v7
	v_cndmask_b32_e64 v7, v7, 1, s2
	s_and_b32 vcc_lo, s2, vcc_lo
	s_delay_alu instid0(VALU_DEP_2) | instskip(SKIP_1) | instid1(VALU_DEP_2)
	v_cmp_eq_u32_e64 s2, 1, v6
	v_dual_cndmask_b32 v1, v1, v3 :: v_dual_cndmask_b32 v2, v2, v4
	v_cndmask_b32_e64 v7, v9, v7, s2
	s_delay_alu instid0(VALU_DEP_2) | instskip(NEXT) | instid1(VALU_DEP_3)
	v_cndmask_b32_e64 v1, v3, v1, s2
	v_cndmask_b32_e64 v2, v4, v2, s2
	s_delay_alu instid0(VALU_DEP_3)
	v_and_b32_e32 v6, 0xff, v7
.LBB481_210:
	s_or_b32 exec_lo, exec_lo, s4
	v_cmp_gt_u32_e32 vcc_lo, 28, v5
	v_add_nc_u32_e32 v10, 4, v5
	s_mov_b32 s4, exec_lo
	s_waitcnt lgkmcnt(1)
	v_cndmask_b32_e64 v3, 0, 1, vcc_lo
	s_delay_alu instid0(VALU_DEP_1) | instskip(SKIP_1) | instid1(VALU_DEP_1)
	v_lshlrev_b32_e32 v3, 2, v3
	s_waitcnt lgkmcnt(0)
	v_add_lshl_u32 v4, v3, v5, 2
	;; [unrolled: 35-line block ×4, first 2 shown]
	ds_bpermute_b32 v9, v4, v6
	ds_bpermute_b32 v3, v4, v1
	;; [unrolled: 1-line block ×3, first 2 shown]
	v_cmpx_lt_u32_e64 v10, v8
	s_cbranch_execz .LBB481_216
; %bb.215:
	s_waitcnt lgkmcnt(2)
	v_and_b32_e32 v6, 1, v9
	s_waitcnt lgkmcnt(0)
	v_cmp_lt_i64_e32 vcc_lo, v[3:4], v[1:2]
	s_delay_alu instid0(VALU_DEP_2) | instskip(SKIP_1) | instid1(VALU_DEP_2)
	v_cmp_eq_u32_e64 s2, 1, v6
	v_and_b32_e32 v6, 1, v7
	v_cndmask_b32_e64 v7, v7, 1, s2
	s_and_b32 vcc_lo, s2, vcc_lo
	s_delay_alu instid0(VALU_DEP_2) | instskip(SKIP_1) | instid1(VALU_DEP_2)
	v_cmp_eq_u32_e64 s2, 1, v6
	v_dual_cndmask_b32 v1, v1, v3 :: v_dual_cndmask_b32 v2, v2, v4
	v_cndmask_b32_e64 v7, v9, v7, s2
	s_delay_alu instid0(VALU_DEP_2) | instskip(NEXT) | instid1(VALU_DEP_3)
	v_cndmask_b32_e64 v1, v3, v1, s2
	v_cndmask_b32_e64 v2, v4, v2, s2
	s_delay_alu instid0(VALU_DEP_3)
	v_and_b32_e32 v6, 0xff, v7
.LBB481_216:
	s_or_b32 exec_lo, exec_lo, s4
	s_delay_alu instid0(SALU_CYCLE_1)
	s_mov_b32 s2, exec_lo
	v_cmpx_eq_u32_e32 0, v5
	s_cbranch_execz .LBB481_218
; %bb.217:
	s_waitcnt lgkmcnt(1)
	v_lshrrev_b32_e32 v3, 1, v0
	s_delay_alu instid0(VALU_DEP_1)
	v_and_b32_e32 v3, 0x70, v3
	ds_store_b8 v3, v7 offset:512
	ds_store_b64 v3, v[1:2] offset:520
.LBB481_218:
	s_or_b32 exec_lo, exec_lo, s2
	s_delay_alu instid0(SALU_CYCLE_1)
	s_mov_b32 s4, exec_lo
	s_waitcnt lgkmcnt(0)
	s_barrier
	buffer_gl0_inv
	v_cmpx_gt_u32_e32 8, v0
	s_cbranch_execz .LBB481_226
; %bb.219:
	v_lshlrev_b32_e32 v1, 4, v5
	v_and_b32_e32 v8, 7, v5
	s_add_i32 s3, s3, 31
	s_mov_b32 s5, exec_lo
	s_lshr_b32 s3, s3, 5
	ds_load_u8 v7, v1 offset:512
	ds_load_b64 v[1:2], v1 offset:520
	v_cmp_ne_u32_e32 vcc_lo, 7, v8
	v_add_nc_u32_e32 v10, 1, v8
	v_add_co_ci_u32_e32 v3, vcc_lo, 0, v5, vcc_lo
	s_delay_alu instid0(VALU_DEP_1)
	v_lshlrev_b32_e32 v4, 2, v3
	s_waitcnt lgkmcnt(1)
	v_and_b32_e32 v6, 0xff, v7
	s_waitcnt lgkmcnt(0)
	ds_bpermute_b32 v3, v4, v1
	ds_bpermute_b32 v9, v4, v6
	;; [unrolled: 1-line block ×3, first 2 shown]
	v_cmpx_gt_u32_e64 s3, v10
	s_cbranch_execz .LBB481_221
; %bb.220:
	s_waitcnt lgkmcnt(1)
	v_and_b32_e32 v6, 1, v9
	s_waitcnt lgkmcnt(0)
	v_cmp_lt_i64_e32 vcc_lo, v[3:4], v[1:2]
	s_delay_alu instid0(VALU_DEP_2) | instskip(SKIP_1) | instid1(VALU_DEP_2)
	v_cmp_eq_u32_e64 s2, 1, v6
	v_and_b32_e32 v6, 1, v7
	v_cndmask_b32_e64 v7, v7, 1, s2
	s_and_b32 vcc_lo, s2, vcc_lo
	s_delay_alu instid0(VALU_DEP_2) | instskip(SKIP_1) | instid1(VALU_DEP_2)
	v_cmp_eq_u32_e64 s2, 1, v6
	v_dual_cndmask_b32 v1, v1, v3 :: v_dual_cndmask_b32 v2, v2, v4
	v_cndmask_b32_e64 v7, v9, v7, s2
	s_delay_alu instid0(VALU_DEP_2) | instskip(NEXT) | instid1(VALU_DEP_3)
	v_cndmask_b32_e64 v1, v3, v1, s2
	v_cndmask_b32_e64 v2, v4, v2, s2
	s_delay_alu instid0(VALU_DEP_3)
	v_and_b32_e32 v6, 0xff, v7
.LBB481_221:
	s_or_b32 exec_lo, exec_lo, s5
	v_cmp_gt_u32_e32 vcc_lo, 6, v8
	v_add_nc_u32_e32 v10, 2, v8
	s_mov_b32 s5, exec_lo
	s_waitcnt lgkmcnt(2)
	v_cndmask_b32_e64 v3, 0, 1, vcc_lo
	s_delay_alu instid0(VALU_DEP_1) | instskip(SKIP_1) | instid1(VALU_DEP_1)
	v_lshlrev_b32_e32 v3, 1, v3
	s_waitcnt lgkmcnt(0)
	v_add_lshl_u32 v4, v3, v5, 2
	ds_bpermute_b32 v9, v4, v6
	ds_bpermute_b32 v3, v4, v1
	;; [unrolled: 1-line block ×3, first 2 shown]
	v_cmpx_gt_u32_e64 s3, v10
	s_cbranch_execz .LBB481_223
; %bb.222:
	s_waitcnt lgkmcnt(2)
	v_and_b32_e32 v6, 1, v9
	s_waitcnt lgkmcnt(0)
	v_cmp_lt_i64_e32 vcc_lo, v[3:4], v[1:2]
	s_delay_alu instid0(VALU_DEP_2) | instskip(SKIP_1) | instid1(VALU_DEP_2)
	v_cmp_eq_u32_e64 s2, 1, v6
	v_and_b32_e32 v6, 1, v7
	v_cndmask_b32_e64 v7, v7, 1, s2
	s_and_b32 vcc_lo, s2, vcc_lo
	s_delay_alu instid0(VALU_DEP_2) | instskip(SKIP_1) | instid1(VALU_DEP_2)
	v_cmp_eq_u32_e64 s2, 1, v6
	v_dual_cndmask_b32 v1, v1, v3 :: v_dual_cndmask_b32 v2, v2, v4
	v_cndmask_b32_e64 v7, v9, v7, s2
	s_delay_alu instid0(VALU_DEP_2) | instskip(NEXT) | instid1(VALU_DEP_3)
	v_cndmask_b32_e64 v1, v3, v1, s2
	v_cndmask_b32_e64 v2, v4, v2, s2
	s_delay_alu instid0(VALU_DEP_3)
	v_and_b32_e32 v6, 0xff, v7
.LBB481_223:
	s_or_b32 exec_lo, exec_lo, s5
	v_cmp_gt_u32_e32 vcc_lo, 4, v8
	v_add_nc_u32_e32 v8, 4, v8
	s_waitcnt lgkmcnt(1)
	v_cndmask_b32_e64 v3, 0, 1, vcc_lo
	s_delay_alu instid0(VALU_DEP_2) | instskip(NEXT) | instid1(VALU_DEP_2)
	v_cmp_gt_u32_e32 vcc_lo, s3, v8
	v_lshlrev_b32_e32 v3, 2, v3
	s_waitcnt lgkmcnt(0)
	s_delay_alu instid0(VALU_DEP_1)
	v_add_lshl_u32 v4, v3, v5, 2
	ds_bpermute_b32 v5, v4, v6
	ds_bpermute_b32 v3, v4, v1
	;; [unrolled: 1-line block ×3, first 2 shown]
	s_and_saveexec_b32 s3, vcc_lo
	s_cbranch_execz .LBB481_225
; %bb.224:
	s_waitcnt lgkmcnt(2)
	v_and_b32_e32 v6, 1, v5
	s_waitcnt lgkmcnt(0)
	v_cmp_lt_i64_e32 vcc_lo, v[3:4], v[1:2]
	s_delay_alu instid0(VALU_DEP_2) | instskip(SKIP_1) | instid1(VALU_DEP_2)
	v_cmp_eq_u32_e64 s2, 1, v6
	v_and_b32_e32 v6, 1, v7
	v_cndmask_b32_e64 v7, v7, 1, s2
	s_and_b32 vcc_lo, s2, vcc_lo
	s_delay_alu instid0(VALU_DEP_2) | instskip(SKIP_1) | instid1(VALU_DEP_2)
	v_cmp_eq_u32_e64 s2, 1, v6
	v_dual_cndmask_b32 v1, v1, v3 :: v_dual_cndmask_b32 v2, v2, v4
	v_cndmask_b32_e64 v5, v5, v7, s2
	s_delay_alu instid0(VALU_DEP_2) | instskip(NEXT) | instid1(VALU_DEP_3)
	v_cndmask_b32_e64 v1, v3, v1, s2
	v_cndmask_b32_e64 v2, v4, v2, s2
	s_delay_alu instid0(VALU_DEP_3)
	v_and_b32_e32 v6, 0xff, v5
.LBB481_225:
	s_or_b32 exec_lo, exec_lo, s3
.LBB481_226:
	s_delay_alu instid0(SALU_CYCLE_1)
	s_or_b32 exec_lo, exec_lo, s4
.LBB481_227:
	s_delay_alu instid0(SALU_CYCLE_1)
	s_mov_b32 s4, exec_lo
                                        ; implicit-def: $vgpr3_vgpr4
                                        ; implicit-def: $vgpr5
	v_cmpx_eq_u32_e32 0, v0
	s_cbranch_execz .LBB481_231
; %bb.228:
	s_waitcnt lgkmcnt(0)
	v_dual_mov_b32 v3, s20 :: v_dual_mov_b32 v4, s21
	v_mov_b32_e32 v5, s24
	s_cmp_eq_u64 s[14:15], 0
	s_cbranch_scc1 .LBB481_230
; %bb.229:
	v_and_b32_e32 v0, 1, v6
	v_cmp_gt_i64_e32 vcc_lo, s[20:21], v[1:2]
	s_bitcmp1_b32 s24, 0
	s_cselect_b32 s3, -1, 0
	s_delay_alu instid0(VALU_DEP_2) | instskip(NEXT) | instid1(VALU_DEP_1)
	v_cmp_eq_u32_e64 s2, 1, v0
	s_and_b32 vcc_lo, s2, vcc_lo
	v_cndmask_b32_e64 v0, s24, 1, s2
	v_cndmask_b32_e32 v3, s20, v1, vcc_lo
	v_cndmask_b32_e32 v4, s21, v2, vcc_lo
	s_delay_alu instid0(VALU_DEP_3) | instskip(NEXT) | instid1(VALU_DEP_3)
	v_cndmask_b32_e64 v5, v6, v0, s3
	v_cndmask_b32_e64 v3, v1, v3, s3
	s_delay_alu instid0(VALU_DEP_3)
	v_cndmask_b32_e64 v4, v2, v4, s3
.LBB481_230:
	s_or_b32 s26, s26, exec_lo
.LBB481_231:
	s_or_b32 exec_lo, exec_lo, s4
	s_and_saveexec_b32 s2, s26
	s_cbranch_execnz .LBB481_201
	s_branch .LBB481_202
.LBB481_232:
	v_lshlrev_b32_e32 v3, 3, v25
	s_clause 0x1
	global_load_b64 v[26:27], v3, s[8:9]
	global_load_b64 v[28:29], v3, s[22:23]
	v_add_co_u32 v3, s8, s26, v25
	s_delay_alu instid0(VALU_DEP_1) | instskip(SKIP_2) | instid1(VALU_DEP_1)
	v_add_co_ci_u32_e64 v4, null, s28, 0, s8
	s_waitcnt vmcnt(0)
	v_cmp_ne_u64_e64 s8, v[26:27], v[28:29]
	v_cndmask_b32_e64 v18, 0, 1, s8
	s_or_b32 exec_lo, exec_lo, s30
	s_and_saveexec_b32 s9, s7
	s_cbranch_execz .LBB481_57
.LBB481_233:
	v_and_b32_e32 v25, 1, v21
	v_cmp_lt_i64_e64 s7, v[9:10], v[1:2]
	s_delay_alu instid0(VALU_DEP_2) | instskip(SKIP_1) | instid1(VALU_DEP_2)
	v_cmp_eq_u32_e64 s8, 1, v25
	v_and_b32_e32 v25, 1, v17
	s_and_b32 s7, s8, s7
	v_cndmask_b32_e64 v17, v17, 1, s8
	v_cndmask_b32_e64 v1, v1, v9, s7
	;; [unrolled: 1-line block ×3, first 2 shown]
	v_cmp_eq_u32_e64 s7, 1, v25
	s_delay_alu instid0(VALU_DEP_1) | instskip(NEXT) | instid1(VALU_DEP_3)
	v_cndmask_b32_e64 v17, v21, v17, s7
	v_cndmask_b32_e64 v2, v10, v2, s7
	;; [unrolled: 1-line block ×3, first 2 shown]
	s_or_b32 exec_lo, exec_lo, s9
	s_and_saveexec_b32 s8, s6
	s_cbranch_execz .LBB481_58
.LBB481_234:
	v_and_b32_e32 v9, 1, v24
	v_cmp_lt_i64_e64 s6, v[15:16], v[1:2]
	s_delay_alu instid0(VALU_DEP_2) | instskip(SKIP_1) | instid1(VALU_DEP_2)
	v_cmp_eq_u32_e64 s7, 1, v9
	v_and_b32_e32 v9, 1, v17
	s_and_b32 s6, s7, s6
	v_cndmask_b32_e64 v10, v17, 1, s7
	v_cndmask_b32_e64 v1, v1, v15, s6
	;; [unrolled: 1-line block ×3, first 2 shown]
	v_cmp_eq_u32_e64 s6, 1, v9
	s_delay_alu instid0(VALU_DEP_1) | instskip(NEXT) | instid1(VALU_DEP_3)
	v_cndmask_b32_e64 v17, v24, v10, s6
	v_cndmask_b32_e64 v2, v16, v2, s6
	;; [unrolled: 1-line block ×3, first 2 shown]
	s_or_b32 exec_lo, exec_lo, s8
	s_and_saveexec_b32 s7, s5
	s_cbranch_execz .LBB481_59
.LBB481_235:
	v_and_b32_e32 v9, 1, v20
	v_cmp_lt_i64_e64 s5, v[7:8], v[1:2]
	s_delay_alu instid0(VALU_DEP_2) | instskip(SKIP_1) | instid1(VALU_DEP_2)
	v_cmp_eq_u32_e64 s6, 1, v9
	v_and_b32_e32 v9, 1, v17
	s_and_b32 s5, s6, s5
	v_cndmask_b32_e64 v10, v17, 1, s6
	v_cndmask_b32_e64 v1, v1, v7, s5
	;; [unrolled: 1-line block ×3, first 2 shown]
	v_cmp_eq_u32_e64 s5, 1, v9
	s_delay_alu instid0(VALU_DEP_1) | instskip(NEXT) | instid1(VALU_DEP_3)
	v_cndmask_b32_e64 v17, v20, v10, s5
	v_cndmask_b32_e64 v2, v8, v2, s5
	;; [unrolled: 1-line block ×3, first 2 shown]
	s_or_b32 exec_lo, exec_lo, s7
	s_and_saveexec_b32 s6, s4
	s_cbranch_execz .LBB481_60
.LBB481_236:
	v_and_b32_e32 v7, 1, v23
	v_cmp_lt_i64_e64 s4, v[13:14], v[1:2]
	s_delay_alu instid0(VALU_DEP_2) | instskip(SKIP_1) | instid1(VALU_DEP_2)
	v_cmp_eq_u32_e64 s5, 1, v7
	v_and_b32_e32 v7, 1, v17
	s_and_b32 s4, s5, s4
	v_cndmask_b32_e64 v8, v17, 1, s5
	v_cndmask_b32_e64 v1, v1, v13, s4
	;; [unrolled: 1-line block ×3, first 2 shown]
	v_cmp_eq_u32_e64 s4, 1, v7
	s_delay_alu instid0(VALU_DEP_1) | instskip(NEXT) | instid1(VALU_DEP_3)
	v_cndmask_b32_e64 v17, v23, v8, s4
	v_cndmask_b32_e64 v2, v14, v2, s4
	;; [unrolled: 1-line block ×3, first 2 shown]
	s_or_b32 exec_lo, exec_lo, s6
	s_and_saveexec_b32 s5, s3
	s_cbranch_execz .LBB481_61
.LBB481_237:
	v_and_b32_e32 v7, 1, v19
	v_cmp_lt_i64_e64 s3, v[5:6], v[1:2]
	s_delay_alu instid0(VALU_DEP_2) | instskip(SKIP_1) | instid1(VALU_DEP_2)
	v_cmp_eq_u32_e64 s4, 1, v7
	v_and_b32_e32 v7, 1, v17
	s_and_b32 s3, s4, s3
	v_cndmask_b32_e64 v8, v17, 1, s4
	v_cndmask_b32_e64 v1, v1, v5, s3
	;; [unrolled: 1-line block ×3, first 2 shown]
	v_cmp_eq_u32_e64 s3, 1, v7
	s_delay_alu instid0(VALU_DEP_1) | instskip(NEXT) | instid1(VALU_DEP_3)
	v_cndmask_b32_e64 v17, v19, v8, s3
	v_cndmask_b32_e64 v2, v6, v2, s3
	v_cndmask_b32_e64 v1, v5, v1, s3
	s_or_b32 exec_lo, exec_lo, s5
	s_and_saveexec_b32 s4, s2
	s_cbranch_execz .LBB481_62
.LBB481_238:
	v_and_b32_e32 v5, 1, v22
	v_cmp_lt_i64_e64 s2, v[11:12], v[1:2]
	s_delay_alu instid0(VALU_DEP_2) | instskip(SKIP_1) | instid1(VALU_DEP_2)
	v_cmp_eq_u32_e64 s3, 1, v5
	v_and_b32_e32 v5, 1, v17
	s_and_b32 s2, s3, s2
	v_cndmask_b32_e64 v6, v17, 1, s3
	v_cndmask_b32_e64 v1, v1, v11, s2
	;; [unrolled: 1-line block ×3, first 2 shown]
	v_cmp_eq_u32_e64 s2, 1, v5
	s_delay_alu instid0(VALU_DEP_1) | instskip(NEXT) | instid1(VALU_DEP_3)
	v_cndmask_b32_e64 v17, v22, v6, s2
	v_cndmask_b32_e64 v2, v12, v2, s2
	;; [unrolled: 1-line block ×3, first 2 shown]
	s_or_b32 exec_lo, exec_lo, s4
	s_and_saveexec_b32 s3, vcc_lo
	s_cbranch_execnz .LBB481_63
	s_branch .LBB481_64
.LBB481_239:
	v_lshlrev_b32_e32 v3, 3, v13
	s_clause 0x1
	global_load_b64 v[14:15], v3, s[6:7]
	global_load_b64 v[16:17], v3, s[8:9]
	v_add_co_u32 v3, s4, s5, v13
	s_delay_alu instid0(VALU_DEP_1) | instskip(SKIP_2) | instid1(VALU_DEP_1)
	v_add_co_ci_u32_e64 v4, null, s23, 0, s4
	s_waitcnt vmcnt(0)
	v_cmp_ne_u64_e64 s4, v[14:15], v[16:17]
	v_cndmask_b32_e64 v10, 0, 1, s4
	s_or_b32 exec_lo, exec_lo, s27
	s_and_saveexec_b32 s5, s3
	s_cbranch_execz .LBB481_100
.LBB481_240:
	v_and_b32_e32 v13, 1, v11
	v_cmp_lt_i64_e64 s3, v[5:6], v[1:2]
	s_delay_alu instid0(VALU_DEP_2) | instskip(SKIP_1) | instid1(VALU_DEP_2)
	v_cmp_eq_u32_e64 s4, 1, v13
	v_and_b32_e32 v13, 1, v9
	s_and_b32 s3, s4, s3
	v_cndmask_b32_e64 v9, v9, 1, s4
	v_cndmask_b32_e64 v1, v1, v5, s3
	;; [unrolled: 1-line block ×3, first 2 shown]
	v_cmp_eq_u32_e64 s3, 1, v13
	s_delay_alu instid0(VALU_DEP_1) | instskip(NEXT) | instid1(VALU_DEP_3)
	v_cndmask_b32_e64 v9, v11, v9, s3
	v_cndmask_b32_e64 v2, v6, v2, s3
	;; [unrolled: 1-line block ×3, first 2 shown]
	s_or_b32 exec_lo, exec_lo, s5
	s_and_saveexec_b32 s4, s2
	s_cbranch_execz .LBB481_101
.LBB481_241:
	v_and_b32_e32 v5, 1, v12
	v_cmp_lt_i64_e64 s2, v[7:8], v[1:2]
	s_delay_alu instid0(VALU_DEP_2) | instskip(SKIP_1) | instid1(VALU_DEP_2)
	v_cmp_eq_u32_e64 s3, 1, v5
	v_and_b32_e32 v5, 1, v9
	s_and_b32 s2, s3, s2
	v_cndmask_b32_e64 v6, v9, 1, s3
	v_cndmask_b32_e64 v1, v1, v7, s2
	;; [unrolled: 1-line block ×3, first 2 shown]
	v_cmp_eq_u32_e64 s2, 1, v5
	s_delay_alu instid0(VALU_DEP_1) | instskip(NEXT) | instid1(VALU_DEP_3)
	v_cndmask_b32_e64 v9, v12, v6, s2
	v_cndmask_b32_e64 v2, v8, v2, s2
	;; [unrolled: 1-line block ×3, first 2 shown]
	s_or_b32 exec_lo, exec_lo, s4
	s_and_saveexec_b32 s3, vcc_lo
	s_cbranch_execnz .LBB481_102
	s_branch .LBB481_103
	.section	.rodata,"a",@progbits
	.p2align	6, 0x0
	.amdhsa_kernel _ZN7rocprim17ROCPRIM_400000_NS6detail17trampoline_kernelINS0_14default_configENS1_22reduce_config_selectorIN6thrust23THRUST_200600_302600_NS5tupleIblNS6_9null_typeES8_S8_S8_S8_S8_S8_S8_EEEEZNS1_11reduce_implILb1ES3_NS6_12zip_iteratorINS7_INS6_11hip_rocprim26transform_input_iterator_tIbNSD_35transform_pair_of_input_iterators_tIbNS6_6detail15normal_iteratorINS6_10device_ptrIKyEEEESL_NS6_8equal_toIyEEEENSG_9not_fun_tINSD_8identityEEEEENSD_19counting_iterator_tIlEES8_S8_S8_S8_S8_S8_S8_S8_EEEEPS9_S9_NSD_9__find_if7functorIS9_EEEE10hipError_tPvRmT1_T2_T3_mT4_P12ihipStream_tbEUlT_E1_NS1_11comp_targetILNS1_3genE9ELNS1_11target_archE1100ELNS1_3gpuE3ELNS1_3repE0EEENS1_30default_config_static_selectorELNS0_4arch9wavefront6targetE0EEEvS14_
		.amdhsa_group_segment_fixed_size 640
		.amdhsa_private_segment_fixed_size 0
		.amdhsa_kernarg_size 88
		.amdhsa_user_sgpr_count 15
		.amdhsa_user_sgpr_dispatch_ptr 0
		.amdhsa_user_sgpr_queue_ptr 0
		.amdhsa_user_sgpr_kernarg_segment_ptr 1
		.amdhsa_user_sgpr_dispatch_id 0
		.amdhsa_user_sgpr_private_segment_size 0
		.amdhsa_wavefront_size32 1
		.amdhsa_uses_dynamic_stack 0
		.amdhsa_enable_private_segment 0
		.amdhsa_system_sgpr_workgroup_id_x 1
		.amdhsa_system_sgpr_workgroup_id_y 0
		.amdhsa_system_sgpr_workgroup_id_z 0
		.amdhsa_system_sgpr_workgroup_info 0
		.amdhsa_system_vgpr_workitem_id 0
		.amdhsa_next_free_vgpr 34
		.amdhsa_next_free_sgpr 32
		.amdhsa_reserve_vcc 1
		.amdhsa_float_round_mode_32 0
		.amdhsa_float_round_mode_16_64 0
		.amdhsa_float_denorm_mode_32 3
		.amdhsa_float_denorm_mode_16_64 3
		.amdhsa_dx10_clamp 1
		.amdhsa_ieee_mode 1
		.amdhsa_fp16_overflow 0
		.amdhsa_workgroup_processor_mode 1
		.amdhsa_memory_ordered 1
		.amdhsa_forward_progress 0
		.amdhsa_shared_vgpr_count 0
		.amdhsa_exception_fp_ieee_invalid_op 0
		.amdhsa_exception_fp_denorm_src 0
		.amdhsa_exception_fp_ieee_div_zero 0
		.amdhsa_exception_fp_ieee_overflow 0
		.amdhsa_exception_fp_ieee_underflow 0
		.amdhsa_exception_fp_ieee_inexact 0
		.amdhsa_exception_int_div_zero 0
	.end_amdhsa_kernel
	.section	.text._ZN7rocprim17ROCPRIM_400000_NS6detail17trampoline_kernelINS0_14default_configENS1_22reduce_config_selectorIN6thrust23THRUST_200600_302600_NS5tupleIblNS6_9null_typeES8_S8_S8_S8_S8_S8_S8_EEEEZNS1_11reduce_implILb1ES3_NS6_12zip_iteratorINS7_INS6_11hip_rocprim26transform_input_iterator_tIbNSD_35transform_pair_of_input_iterators_tIbNS6_6detail15normal_iteratorINS6_10device_ptrIKyEEEESL_NS6_8equal_toIyEEEENSG_9not_fun_tINSD_8identityEEEEENSD_19counting_iterator_tIlEES8_S8_S8_S8_S8_S8_S8_S8_EEEEPS9_S9_NSD_9__find_if7functorIS9_EEEE10hipError_tPvRmT1_T2_T3_mT4_P12ihipStream_tbEUlT_E1_NS1_11comp_targetILNS1_3genE9ELNS1_11target_archE1100ELNS1_3gpuE3ELNS1_3repE0EEENS1_30default_config_static_selectorELNS0_4arch9wavefront6targetE0EEEvS14_,"axG",@progbits,_ZN7rocprim17ROCPRIM_400000_NS6detail17trampoline_kernelINS0_14default_configENS1_22reduce_config_selectorIN6thrust23THRUST_200600_302600_NS5tupleIblNS6_9null_typeES8_S8_S8_S8_S8_S8_S8_EEEEZNS1_11reduce_implILb1ES3_NS6_12zip_iteratorINS7_INS6_11hip_rocprim26transform_input_iterator_tIbNSD_35transform_pair_of_input_iterators_tIbNS6_6detail15normal_iteratorINS6_10device_ptrIKyEEEESL_NS6_8equal_toIyEEEENSG_9not_fun_tINSD_8identityEEEEENSD_19counting_iterator_tIlEES8_S8_S8_S8_S8_S8_S8_S8_EEEEPS9_S9_NSD_9__find_if7functorIS9_EEEE10hipError_tPvRmT1_T2_T3_mT4_P12ihipStream_tbEUlT_E1_NS1_11comp_targetILNS1_3genE9ELNS1_11target_archE1100ELNS1_3gpuE3ELNS1_3repE0EEENS1_30default_config_static_selectorELNS0_4arch9wavefront6targetE0EEEvS14_,comdat
.Lfunc_end481:
	.size	_ZN7rocprim17ROCPRIM_400000_NS6detail17trampoline_kernelINS0_14default_configENS1_22reduce_config_selectorIN6thrust23THRUST_200600_302600_NS5tupleIblNS6_9null_typeES8_S8_S8_S8_S8_S8_S8_EEEEZNS1_11reduce_implILb1ES3_NS6_12zip_iteratorINS7_INS6_11hip_rocprim26transform_input_iterator_tIbNSD_35transform_pair_of_input_iterators_tIbNS6_6detail15normal_iteratorINS6_10device_ptrIKyEEEESL_NS6_8equal_toIyEEEENSG_9not_fun_tINSD_8identityEEEEENSD_19counting_iterator_tIlEES8_S8_S8_S8_S8_S8_S8_S8_EEEEPS9_S9_NSD_9__find_if7functorIS9_EEEE10hipError_tPvRmT1_T2_T3_mT4_P12ihipStream_tbEUlT_E1_NS1_11comp_targetILNS1_3genE9ELNS1_11target_archE1100ELNS1_3gpuE3ELNS1_3repE0EEENS1_30default_config_static_selectorELNS0_4arch9wavefront6targetE0EEEvS14_, .Lfunc_end481-_ZN7rocprim17ROCPRIM_400000_NS6detail17trampoline_kernelINS0_14default_configENS1_22reduce_config_selectorIN6thrust23THRUST_200600_302600_NS5tupleIblNS6_9null_typeES8_S8_S8_S8_S8_S8_S8_EEEEZNS1_11reduce_implILb1ES3_NS6_12zip_iteratorINS7_INS6_11hip_rocprim26transform_input_iterator_tIbNSD_35transform_pair_of_input_iterators_tIbNS6_6detail15normal_iteratorINS6_10device_ptrIKyEEEESL_NS6_8equal_toIyEEEENSG_9not_fun_tINSD_8identityEEEEENSD_19counting_iterator_tIlEES8_S8_S8_S8_S8_S8_S8_S8_EEEEPS9_S9_NSD_9__find_if7functorIS9_EEEE10hipError_tPvRmT1_T2_T3_mT4_P12ihipStream_tbEUlT_E1_NS1_11comp_targetILNS1_3genE9ELNS1_11target_archE1100ELNS1_3gpuE3ELNS1_3repE0EEENS1_30default_config_static_selectorELNS0_4arch9wavefront6targetE0EEEvS14_
                                        ; -- End function
	.section	.AMDGPU.csdata,"",@progbits
; Kernel info:
; codeLenInByte = 16136
; NumSgprs: 34
; NumVgprs: 34
; ScratchSize: 0
; MemoryBound: 0
; FloatMode: 240
; IeeeMode: 1
; LDSByteSize: 640 bytes/workgroup (compile time only)
; SGPRBlocks: 4
; VGPRBlocks: 4
; NumSGPRsForWavesPerEU: 34
; NumVGPRsForWavesPerEU: 34
; Occupancy: 16
; WaveLimiterHint : 0
; COMPUTE_PGM_RSRC2:SCRATCH_EN: 0
; COMPUTE_PGM_RSRC2:USER_SGPR: 15
; COMPUTE_PGM_RSRC2:TRAP_HANDLER: 0
; COMPUTE_PGM_RSRC2:TGID_X_EN: 1
; COMPUTE_PGM_RSRC2:TGID_Y_EN: 0
; COMPUTE_PGM_RSRC2:TGID_Z_EN: 0
; COMPUTE_PGM_RSRC2:TIDIG_COMP_CNT: 0
	.section	.text._ZN7rocprim17ROCPRIM_400000_NS6detail17trampoline_kernelINS0_14default_configENS1_22reduce_config_selectorIN6thrust23THRUST_200600_302600_NS5tupleIblNS6_9null_typeES8_S8_S8_S8_S8_S8_S8_EEEEZNS1_11reduce_implILb1ES3_NS6_12zip_iteratorINS7_INS6_11hip_rocprim26transform_input_iterator_tIbNSD_35transform_pair_of_input_iterators_tIbNS6_6detail15normal_iteratorINS6_10device_ptrIKyEEEESL_NS6_8equal_toIyEEEENSG_9not_fun_tINSD_8identityEEEEENSD_19counting_iterator_tIlEES8_S8_S8_S8_S8_S8_S8_S8_EEEEPS9_S9_NSD_9__find_if7functorIS9_EEEE10hipError_tPvRmT1_T2_T3_mT4_P12ihipStream_tbEUlT_E1_NS1_11comp_targetILNS1_3genE8ELNS1_11target_archE1030ELNS1_3gpuE2ELNS1_3repE0EEENS1_30default_config_static_selectorELNS0_4arch9wavefront6targetE0EEEvS14_,"axG",@progbits,_ZN7rocprim17ROCPRIM_400000_NS6detail17trampoline_kernelINS0_14default_configENS1_22reduce_config_selectorIN6thrust23THRUST_200600_302600_NS5tupleIblNS6_9null_typeES8_S8_S8_S8_S8_S8_S8_EEEEZNS1_11reduce_implILb1ES3_NS6_12zip_iteratorINS7_INS6_11hip_rocprim26transform_input_iterator_tIbNSD_35transform_pair_of_input_iterators_tIbNS6_6detail15normal_iteratorINS6_10device_ptrIKyEEEESL_NS6_8equal_toIyEEEENSG_9not_fun_tINSD_8identityEEEEENSD_19counting_iterator_tIlEES8_S8_S8_S8_S8_S8_S8_S8_EEEEPS9_S9_NSD_9__find_if7functorIS9_EEEE10hipError_tPvRmT1_T2_T3_mT4_P12ihipStream_tbEUlT_E1_NS1_11comp_targetILNS1_3genE8ELNS1_11target_archE1030ELNS1_3gpuE2ELNS1_3repE0EEENS1_30default_config_static_selectorELNS0_4arch9wavefront6targetE0EEEvS14_,comdat
	.protected	_ZN7rocprim17ROCPRIM_400000_NS6detail17trampoline_kernelINS0_14default_configENS1_22reduce_config_selectorIN6thrust23THRUST_200600_302600_NS5tupleIblNS6_9null_typeES8_S8_S8_S8_S8_S8_S8_EEEEZNS1_11reduce_implILb1ES3_NS6_12zip_iteratorINS7_INS6_11hip_rocprim26transform_input_iterator_tIbNSD_35transform_pair_of_input_iterators_tIbNS6_6detail15normal_iteratorINS6_10device_ptrIKyEEEESL_NS6_8equal_toIyEEEENSG_9not_fun_tINSD_8identityEEEEENSD_19counting_iterator_tIlEES8_S8_S8_S8_S8_S8_S8_S8_EEEEPS9_S9_NSD_9__find_if7functorIS9_EEEE10hipError_tPvRmT1_T2_T3_mT4_P12ihipStream_tbEUlT_E1_NS1_11comp_targetILNS1_3genE8ELNS1_11target_archE1030ELNS1_3gpuE2ELNS1_3repE0EEENS1_30default_config_static_selectorELNS0_4arch9wavefront6targetE0EEEvS14_ ; -- Begin function _ZN7rocprim17ROCPRIM_400000_NS6detail17trampoline_kernelINS0_14default_configENS1_22reduce_config_selectorIN6thrust23THRUST_200600_302600_NS5tupleIblNS6_9null_typeES8_S8_S8_S8_S8_S8_S8_EEEEZNS1_11reduce_implILb1ES3_NS6_12zip_iteratorINS7_INS6_11hip_rocprim26transform_input_iterator_tIbNSD_35transform_pair_of_input_iterators_tIbNS6_6detail15normal_iteratorINS6_10device_ptrIKyEEEESL_NS6_8equal_toIyEEEENSG_9not_fun_tINSD_8identityEEEEENSD_19counting_iterator_tIlEES8_S8_S8_S8_S8_S8_S8_S8_EEEEPS9_S9_NSD_9__find_if7functorIS9_EEEE10hipError_tPvRmT1_T2_T3_mT4_P12ihipStream_tbEUlT_E1_NS1_11comp_targetILNS1_3genE8ELNS1_11target_archE1030ELNS1_3gpuE2ELNS1_3repE0EEENS1_30default_config_static_selectorELNS0_4arch9wavefront6targetE0EEEvS14_
	.globl	_ZN7rocprim17ROCPRIM_400000_NS6detail17trampoline_kernelINS0_14default_configENS1_22reduce_config_selectorIN6thrust23THRUST_200600_302600_NS5tupleIblNS6_9null_typeES8_S8_S8_S8_S8_S8_S8_EEEEZNS1_11reduce_implILb1ES3_NS6_12zip_iteratorINS7_INS6_11hip_rocprim26transform_input_iterator_tIbNSD_35transform_pair_of_input_iterators_tIbNS6_6detail15normal_iteratorINS6_10device_ptrIKyEEEESL_NS6_8equal_toIyEEEENSG_9not_fun_tINSD_8identityEEEEENSD_19counting_iterator_tIlEES8_S8_S8_S8_S8_S8_S8_S8_EEEEPS9_S9_NSD_9__find_if7functorIS9_EEEE10hipError_tPvRmT1_T2_T3_mT4_P12ihipStream_tbEUlT_E1_NS1_11comp_targetILNS1_3genE8ELNS1_11target_archE1030ELNS1_3gpuE2ELNS1_3repE0EEENS1_30default_config_static_selectorELNS0_4arch9wavefront6targetE0EEEvS14_
	.p2align	8
	.type	_ZN7rocprim17ROCPRIM_400000_NS6detail17trampoline_kernelINS0_14default_configENS1_22reduce_config_selectorIN6thrust23THRUST_200600_302600_NS5tupleIblNS6_9null_typeES8_S8_S8_S8_S8_S8_S8_EEEEZNS1_11reduce_implILb1ES3_NS6_12zip_iteratorINS7_INS6_11hip_rocprim26transform_input_iterator_tIbNSD_35transform_pair_of_input_iterators_tIbNS6_6detail15normal_iteratorINS6_10device_ptrIKyEEEESL_NS6_8equal_toIyEEEENSG_9not_fun_tINSD_8identityEEEEENSD_19counting_iterator_tIlEES8_S8_S8_S8_S8_S8_S8_S8_EEEEPS9_S9_NSD_9__find_if7functorIS9_EEEE10hipError_tPvRmT1_T2_T3_mT4_P12ihipStream_tbEUlT_E1_NS1_11comp_targetILNS1_3genE8ELNS1_11target_archE1030ELNS1_3gpuE2ELNS1_3repE0EEENS1_30default_config_static_selectorELNS0_4arch9wavefront6targetE0EEEvS14_,@function
_ZN7rocprim17ROCPRIM_400000_NS6detail17trampoline_kernelINS0_14default_configENS1_22reduce_config_selectorIN6thrust23THRUST_200600_302600_NS5tupleIblNS6_9null_typeES8_S8_S8_S8_S8_S8_S8_EEEEZNS1_11reduce_implILb1ES3_NS6_12zip_iteratorINS7_INS6_11hip_rocprim26transform_input_iterator_tIbNSD_35transform_pair_of_input_iterators_tIbNS6_6detail15normal_iteratorINS6_10device_ptrIKyEEEESL_NS6_8equal_toIyEEEENSG_9not_fun_tINSD_8identityEEEEENSD_19counting_iterator_tIlEES8_S8_S8_S8_S8_S8_S8_S8_EEEEPS9_S9_NSD_9__find_if7functorIS9_EEEE10hipError_tPvRmT1_T2_T3_mT4_P12ihipStream_tbEUlT_E1_NS1_11comp_targetILNS1_3genE8ELNS1_11target_archE1030ELNS1_3gpuE2ELNS1_3repE0EEENS1_30default_config_static_selectorELNS0_4arch9wavefront6targetE0EEEvS14_: ; @_ZN7rocprim17ROCPRIM_400000_NS6detail17trampoline_kernelINS0_14default_configENS1_22reduce_config_selectorIN6thrust23THRUST_200600_302600_NS5tupleIblNS6_9null_typeES8_S8_S8_S8_S8_S8_S8_EEEEZNS1_11reduce_implILb1ES3_NS6_12zip_iteratorINS7_INS6_11hip_rocprim26transform_input_iterator_tIbNSD_35transform_pair_of_input_iterators_tIbNS6_6detail15normal_iteratorINS6_10device_ptrIKyEEEESL_NS6_8equal_toIyEEEENSG_9not_fun_tINSD_8identityEEEEENSD_19counting_iterator_tIlEES8_S8_S8_S8_S8_S8_S8_S8_EEEEPS9_S9_NSD_9__find_if7functorIS9_EEEE10hipError_tPvRmT1_T2_T3_mT4_P12ihipStream_tbEUlT_E1_NS1_11comp_targetILNS1_3genE8ELNS1_11target_archE1030ELNS1_3gpuE2ELNS1_3repE0EEENS1_30default_config_static_selectorELNS0_4arch9wavefront6targetE0EEEvS14_
; %bb.0:
	.section	.rodata,"a",@progbits
	.p2align	6, 0x0
	.amdhsa_kernel _ZN7rocprim17ROCPRIM_400000_NS6detail17trampoline_kernelINS0_14default_configENS1_22reduce_config_selectorIN6thrust23THRUST_200600_302600_NS5tupleIblNS6_9null_typeES8_S8_S8_S8_S8_S8_S8_EEEEZNS1_11reduce_implILb1ES3_NS6_12zip_iteratorINS7_INS6_11hip_rocprim26transform_input_iterator_tIbNSD_35transform_pair_of_input_iterators_tIbNS6_6detail15normal_iteratorINS6_10device_ptrIKyEEEESL_NS6_8equal_toIyEEEENSG_9not_fun_tINSD_8identityEEEEENSD_19counting_iterator_tIlEES8_S8_S8_S8_S8_S8_S8_S8_EEEEPS9_S9_NSD_9__find_if7functorIS9_EEEE10hipError_tPvRmT1_T2_T3_mT4_P12ihipStream_tbEUlT_E1_NS1_11comp_targetILNS1_3genE8ELNS1_11target_archE1030ELNS1_3gpuE2ELNS1_3repE0EEENS1_30default_config_static_selectorELNS0_4arch9wavefront6targetE0EEEvS14_
		.amdhsa_group_segment_fixed_size 0
		.amdhsa_private_segment_fixed_size 0
		.amdhsa_kernarg_size 88
		.amdhsa_user_sgpr_count 15
		.amdhsa_user_sgpr_dispatch_ptr 0
		.amdhsa_user_sgpr_queue_ptr 0
		.amdhsa_user_sgpr_kernarg_segment_ptr 1
		.amdhsa_user_sgpr_dispatch_id 0
		.amdhsa_user_sgpr_private_segment_size 0
		.amdhsa_wavefront_size32 1
		.amdhsa_uses_dynamic_stack 0
		.amdhsa_enable_private_segment 0
		.amdhsa_system_sgpr_workgroup_id_x 1
		.amdhsa_system_sgpr_workgroup_id_y 0
		.amdhsa_system_sgpr_workgroup_id_z 0
		.amdhsa_system_sgpr_workgroup_info 0
		.amdhsa_system_vgpr_workitem_id 0
		.amdhsa_next_free_vgpr 1
		.amdhsa_next_free_sgpr 1
		.amdhsa_reserve_vcc 0
		.amdhsa_float_round_mode_32 0
		.amdhsa_float_round_mode_16_64 0
		.amdhsa_float_denorm_mode_32 3
		.amdhsa_float_denorm_mode_16_64 3
		.amdhsa_dx10_clamp 1
		.amdhsa_ieee_mode 1
		.amdhsa_fp16_overflow 0
		.amdhsa_workgroup_processor_mode 1
		.amdhsa_memory_ordered 1
		.amdhsa_forward_progress 0
		.amdhsa_shared_vgpr_count 0
		.amdhsa_exception_fp_ieee_invalid_op 0
		.amdhsa_exception_fp_denorm_src 0
		.amdhsa_exception_fp_ieee_div_zero 0
		.amdhsa_exception_fp_ieee_overflow 0
		.amdhsa_exception_fp_ieee_underflow 0
		.amdhsa_exception_fp_ieee_inexact 0
		.amdhsa_exception_int_div_zero 0
	.end_amdhsa_kernel
	.section	.text._ZN7rocprim17ROCPRIM_400000_NS6detail17trampoline_kernelINS0_14default_configENS1_22reduce_config_selectorIN6thrust23THRUST_200600_302600_NS5tupleIblNS6_9null_typeES8_S8_S8_S8_S8_S8_S8_EEEEZNS1_11reduce_implILb1ES3_NS6_12zip_iteratorINS7_INS6_11hip_rocprim26transform_input_iterator_tIbNSD_35transform_pair_of_input_iterators_tIbNS6_6detail15normal_iteratorINS6_10device_ptrIKyEEEESL_NS6_8equal_toIyEEEENSG_9not_fun_tINSD_8identityEEEEENSD_19counting_iterator_tIlEES8_S8_S8_S8_S8_S8_S8_S8_EEEEPS9_S9_NSD_9__find_if7functorIS9_EEEE10hipError_tPvRmT1_T2_T3_mT4_P12ihipStream_tbEUlT_E1_NS1_11comp_targetILNS1_3genE8ELNS1_11target_archE1030ELNS1_3gpuE2ELNS1_3repE0EEENS1_30default_config_static_selectorELNS0_4arch9wavefront6targetE0EEEvS14_,"axG",@progbits,_ZN7rocprim17ROCPRIM_400000_NS6detail17trampoline_kernelINS0_14default_configENS1_22reduce_config_selectorIN6thrust23THRUST_200600_302600_NS5tupleIblNS6_9null_typeES8_S8_S8_S8_S8_S8_S8_EEEEZNS1_11reduce_implILb1ES3_NS6_12zip_iteratorINS7_INS6_11hip_rocprim26transform_input_iterator_tIbNSD_35transform_pair_of_input_iterators_tIbNS6_6detail15normal_iteratorINS6_10device_ptrIKyEEEESL_NS6_8equal_toIyEEEENSG_9not_fun_tINSD_8identityEEEEENSD_19counting_iterator_tIlEES8_S8_S8_S8_S8_S8_S8_S8_EEEEPS9_S9_NSD_9__find_if7functorIS9_EEEE10hipError_tPvRmT1_T2_T3_mT4_P12ihipStream_tbEUlT_E1_NS1_11comp_targetILNS1_3genE8ELNS1_11target_archE1030ELNS1_3gpuE2ELNS1_3repE0EEENS1_30default_config_static_selectorELNS0_4arch9wavefront6targetE0EEEvS14_,comdat
.Lfunc_end482:
	.size	_ZN7rocprim17ROCPRIM_400000_NS6detail17trampoline_kernelINS0_14default_configENS1_22reduce_config_selectorIN6thrust23THRUST_200600_302600_NS5tupleIblNS6_9null_typeES8_S8_S8_S8_S8_S8_S8_EEEEZNS1_11reduce_implILb1ES3_NS6_12zip_iteratorINS7_INS6_11hip_rocprim26transform_input_iterator_tIbNSD_35transform_pair_of_input_iterators_tIbNS6_6detail15normal_iteratorINS6_10device_ptrIKyEEEESL_NS6_8equal_toIyEEEENSG_9not_fun_tINSD_8identityEEEEENSD_19counting_iterator_tIlEES8_S8_S8_S8_S8_S8_S8_S8_EEEEPS9_S9_NSD_9__find_if7functorIS9_EEEE10hipError_tPvRmT1_T2_T3_mT4_P12ihipStream_tbEUlT_E1_NS1_11comp_targetILNS1_3genE8ELNS1_11target_archE1030ELNS1_3gpuE2ELNS1_3repE0EEENS1_30default_config_static_selectorELNS0_4arch9wavefront6targetE0EEEvS14_, .Lfunc_end482-_ZN7rocprim17ROCPRIM_400000_NS6detail17trampoline_kernelINS0_14default_configENS1_22reduce_config_selectorIN6thrust23THRUST_200600_302600_NS5tupleIblNS6_9null_typeES8_S8_S8_S8_S8_S8_S8_EEEEZNS1_11reduce_implILb1ES3_NS6_12zip_iteratorINS7_INS6_11hip_rocprim26transform_input_iterator_tIbNSD_35transform_pair_of_input_iterators_tIbNS6_6detail15normal_iteratorINS6_10device_ptrIKyEEEESL_NS6_8equal_toIyEEEENSG_9not_fun_tINSD_8identityEEEEENSD_19counting_iterator_tIlEES8_S8_S8_S8_S8_S8_S8_S8_EEEEPS9_S9_NSD_9__find_if7functorIS9_EEEE10hipError_tPvRmT1_T2_T3_mT4_P12ihipStream_tbEUlT_E1_NS1_11comp_targetILNS1_3genE8ELNS1_11target_archE1030ELNS1_3gpuE2ELNS1_3repE0EEENS1_30default_config_static_selectorELNS0_4arch9wavefront6targetE0EEEvS14_
                                        ; -- End function
	.section	.AMDGPU.csdata,"",@progbits
; Kernel info:
; codeLenInByte = 0
; NumSgprs: 0
; NumVgprs: 0
; ScratchSize: 0
; MemoryBound: 0
; FloatMode: 240
; IeeeMode: 1
; LDSByteSize: 0 bytes/workgroup (compile time only)
; SGPRBlocks: 0
; VGPRBlocks: 0
; NumSGPRsForWavesPerEU: 1
; NumVGPRsForWavesPerEU: 1
; Occupancy: 16
; WaveLimiterHint : 0
; COMPUTE_PGM_RSRC2:SCRATCH_EN: 0
; COMPUTE_PGM_RSRC2:USER_SGPR: 15
; COMPUTE_PGM_RSRC2:TRAP_HANDLER: 0
; COMPUTE_PGM_RSRC2:TGID_X_EN: 1
; COMPUTE_PGM_RSRC2:TGID_Y_EN: 0
; COMPUTE_PGM_RSRC2:TGID_Z_EN: 0
; COMPUTE_PGM_RSRC2:TIDIG_COMP_CNT: 0
	.section	.text._ZN7rocprim17ROCPRIM_400000_NS6detail17trampoline_kernelINS0_14default_configENS1_22reduce_config_selectorIN6thrust23THRUST_200600_302600_NS5tupleIblNS6_9null_typeES8_S8_S8_S8_S8_S8_S8_EEEEZNS1_11reduce_implILb1ES3_NS6_12zip_iteratorINS7_INS6_11hip_rocprim26transform_input_iterator_tIbNSD_35transform_pair_of_input_iterators_tIbNS6_6detail15normal_iteratorINS6_10device_ptrIKjEEEESL_NS6_8equal_toIjEEEENSG_9not_fun_tINSD_8identityEEEEENSD_19counting_iterator_tIlEES8_S8_S8_S8_S8_S8_S8_S8_EEEEPS9_S9_NSD_9__find_if7functorIS9_EEEE10hipError_tPvRmT1_T2_T3_mT4_P12ihipStream_tbEUlT_E0_NS1_11comp_targetILNS1_3genE0ELNS1_11target_archE4294967295ELNS1_3gpuE0ELNS1_3repE0EEENS1_30default_config_static_selectorELNS0_4arch9wavefront6targetE0EEEvS14_,"axG",@progbits,_ZN7rocprim17ROCPRIM_400000_NS6detail17trampoline_kernelINS0_14default_configENS1_22reduce_config_selectorIN6thrust23THRUST_200600_302600_NS5tupleIblNS6_9null_typeES8_S8_S8_S8_S8_S8_S8_EEEEZNS1_11reduce_implILb1ES3_NS6_12zip_iteratorINS7_INS6_11hip_rocprim26transform_input_iterator_tIbNSD_35transform_pair_of_input_iterators_tIbNS6_6detail15normal_iteratorINS6_10device_ptrIKjEEEESL_NS6_8equal_toIjEEEENSG_9not_fun_tINSD_8identityEEEEENSD_19counting_iterator_tIlEES8_S8_S8_S8_S8_S8_S8_S8_EEEEPS9_S9_NSD_9__find_if7functorIS9_EEEE10hipError_tPvRmT1_T2_T3_mT4_P12ihipStream_tbEUlT_E0_NS1_11comp_targetILNS1_3genE0ELNS1_11target_archE4294967295ELNS1_3gpuE0ELNS1_3repE0EEENS1_30default_config_static_selectorELNS0_4arch9wavefront6targetE0EEEvS14_,comdat
	.protected	_ZN7rocprim17ROCPRIM_400000_NS6detail17trampoline_kernelINS0_14default_configENS1_22reduce_config_selectorIN6thrust23THRUST_200600_302600_NS5tupleIblNS6_9null_typeES8_S8_S8_S8_S8_S8_S8_EEEEZNS1_11reduce_implILb1ES3_NS6_12zip_iteratorINS7_INS6_11hip_rocprim26transform_input_iterator_tIbNSD_35transform_pair_of_input_iterators_tIbNS6_6detail15normal_iteratorINS6_10device_ptrIKjEEEESL_NS6_8equal_toIjEEEENSG_9not_fun_tINSD_8identityEEEEENSD_19counting_iterator_tIlEES8_S8_S8_S8_S8_S8_S8_S8_EEEEPS9_S9_NSD_9__find_if7functorIS9_EEEE10hipError_tPvRmT1_T2_T3_mT4_P12ihipStream_tbEUlT_E0_NS1_11comp_targetILNS1_3genE0ELNS1_11target_archE4294967295ELNS1_3gpuE0ELNS1_3repE0EEENS1_30default_config_static_selectorELNS0_4arch9wavefront6targetE0EEEvS14_ ; -- Begin function _ZN7rocprim17ROCPRIM_400000_NS6detail17trampoline_kernelINS0_14default_configENS1_22reduce_config_selectorIN6thrust23THRUST_200600_302600_NS5tupleIblNS6_9null_typeES8_S8_S8_S8_S8_S8_S8_EEEEZNS1_11reduce_implILb1ES3_NS6_12zip_iteratorINS7_INS6_11hip_rocprim26transform_input_iterator_tIbNSD_35transform_pair_of_input_iterators_tIbNS6_6detail15normal_iteratorINS6_10device_ptrIKjEEEESL_NS6_8equal_toIjEEEENSG_9not_fun_tINSD_8identityEEEEENSD_19counting_iterator_tIlEES8_S8_S8_S8_S8_S8_S8_S8_EEEEPS9_S9_NSD_9__find_if7functorIS9_EEEE10hipError_tPvRmT1_T2_T3_mT4_P12ihipStream_tbEUlT_E0_NS1_11comp_targetILNS1_3genE0ELNS1_11target_archE4294967295ELNS1_3gpuE0ELNS1_3repE0EEENS1_30default_config_static_selectorELNS0_4arch9wavefront6targetE0EEEvS14_
	.globl	_ZN7rocprim17ROCPRIM_400000_NS6detail17trampoline_kernelINS0_14default_configENS1_22reduce_config_selectorIN6thrust23THRUST_200600_302600_NS5tupleIblNS6_9null_typeES8_S8_S8_S8_S8_S8_S8_EEEEZNS1_11reduce_implILb1ES3_NS6_12zip_iteratorINS7_INS6_11hip_rocprim26transform_input_iterator_tIbNSD_35transform_pair_of_input_iterators_tIbNS6_6detail15normal_iteratorINS6_10device_ptrIKjEEEESL_NS6_8equal_toIjEEEENSG_9not_fun_tINSD_8identityEEEEENSD_19counting_iterator_tIlEES8_S8_S8_S8_S8_S8_S8_S8_EEEEPS9_S9_NSD_9__find_if7functorIS9_EEEE10hipError_tPvRmT1_T2_T3_mT4_P12ihipStream_tbEUlT_E0_NS1_11comp_targetILNS1_3genE0ELNS1_11target_archE4294967295ELNS1_3gpuE0ELNS1_3repE0EEENS1_30default_config_static_selectorELNS0_4arch9wavefront6targetE0EEEvS14_
	.p2align	8
	.type	_ZN7rocprim17ROCPRIM_400000_NS6detail17trampoline_kernelINS0_14default_configENS1_22reduce_config_selectorIN6thrust23THRUST_200600_302600_NS5tupleIblNS6_9null_typeES8_S8_S8_S8_S8_S8_S8_EEEEZNS1_11reduce_implILb1ES3_NS6_12zip_iteratorINS7_INS6_11hip_rocprim26transform_input_iterator_tIbNSD_35transform_pair_of_input_iterators_tIbNS6_6detail15normal_iteratorINS6_10device_ptrIKjEEEESL_NS6_8equal_toIjEEEENSG_9not_fun_tINSD_8identityEEEEENSD_19counting_iterator_tIlEES8_S8_S8_S8_S8_S8_S8_S8_EEEEPS9_S9_NSD_9__find_if7functorIS9_EEEE10hipError_tPvRmT1_T2_T3_mT4_P12ihipStream_tbEUlT_E0_NS1_11comp_targetILNS1_3genE0ELNS1_11target_archE4294967295ELNS1_3gpuE0ELNS1_3repE0EEENS1_30default_config_static_selectorELNS0_4arch9wavefront6targetE0EEEvS14_,@function
_ZN7rocprim17ROCPRIM_400000_NS6detail17trampoline_kernelINS0_14default_configENS1_22reduce_config_selectorIN6thrust23THRUST_200600_302600_NS5tupleIblNS6_9null_typeES8_S8_S8_S8_S8_S8_S8_EEEEZNS1_11reduce_implILb1ES3_NS6_12zip_iteratorINS7_INS6_11hip_rocprim26transform_input_iterator_tIbNSD_35transform_pair_of_input_iterators_tIbNS6_6detail15normal_iteratorINS6_10device_ptrIKjEEEESL_NS6_8equal_toIjEEEENSG_9not_fun_tINSD_8identityEEEEENSD_19counting_iterator_tIlEES8_S8_S8_S8_S8_S8_S8_S8_EEEEPS9_S9_NSD_9__find_if7functorIS9_EEEE10hipError_tPvRmT1_T2_T3_mT4_P12ihipStream_tbEUlT_E0_NS1_11comp_targetILNS1_3genE0ELNS1_11target_archE4294967295ELNS1_3gpuE0ELNS1_3repE0EEENS1_30default_config_static_selectorELNS0_4arch9wavefront6targetE0EEEvS14_: ; @_ZN7rocprim17ROCPRIM_400000_NS6detail17trampoline_kernelINS0_14default_configENS1_22reduce_config_selectorIN6thrust23THRUST_200600_302600_NS5tupleIblNS6_9null_typeES8_S8_S8_S8_S8_S8_S8_EEEEZNS1_11reduce_implILb1ES3_NS6_12zip_iteratorINS7_INS6_11hip_rocprim26transform_input_iterator_tIbNSD_35transform_pair_of_input_iterators_tIbNS6_6detail15normal_iteratorINS6_10device_ptrIKjEEEESL_NS6_8equal_toIjEEEENSG_9not_fun_tINSD_8identityEEEEENSD_19counting_iterator_tIlEES8_S8_S8_S8_S8_S8_S8_S8_EEEEPS9_S9_NSD_9__find_if7functorIS9_EEEE10hipError_tPvRmT1_T2_T3_mT4_P12ihipStream_tbEUlT_E0_NS1_11comp_targetILNS1_3genE0ELNS1_11target_archE4294967295ELNS1_3gpuE0ELNS1_3repE0EEENS1_30default_config_static_selectorELNS0_4arch9wavefront6targetE0EEEvS14_
; %bb.0:
	.section	.rodata,"a",@progbits
	.p2align	6, 0x0
	.amdhsa_kernel _ZN7rocprim17ROCPRIM_400000_NS6detail17trampoline_kernelINS0_14default_configENS1_22reduce_config_selectorIN6thrust23THRUST_200600_302600_NS5tupleIblNS6_9null_typeES8_S8_S8_S8_S8_S8_S8_EEEEZNS1_11reduce_implILb1ES3_NS6_12zip_iteratorINS7_INS6_11hip_rocprim26transform_input_iterator_tIbNSD_35transform_pair_of_input_iterators_tIbNS6_6detail15normal_iteratorINS6_10device_ptrIKjEEEESL_NS6_8equal_toIjEEEENSG_9not_fun_tINSD_8identityEEEEENSD_19counting_iterator_tIlEES8_S8_S8_S8_S8_S8_S8_S8_EEEEPS9_S9_NSD_9__find_if7functorIS9_EEEE10hipError_tPvRmT1_T2_T3_mT4_P12ihipStream_tbEUlT_E0_NS1_11comp_targetILNS1_3genE0ELNS1_11target_archE4294967295ELNS1_3gpuE0ELNS1_3repE0EEENS1_30default_config_static_selectorELNS0_4arch9wavefront6targetE0EEEvS14_
		.amdhsa_group_segment_fixed_size 0
		.amdhsa_private_segment_fixed_size 0
		.amdhsa_kernarg_size 104
		.amdhsa_user_sgpr_count 15
		.amdhsa_user_sgpr_dispatch_ptr 0
		.amdhsa_user_sgpr_queue_ptr 0
		.amdhsa_user_sgpr_kernarg_segment_ptr 1
		.amdhsa_user_sgpr_dispatch_id 0
		.amdhsa_user_sgpr_private_segment_size 0
		.amdhsa_wavefront_size32 1
		.amdhsa_uses_dynamic_stack 0
		.amdhsa_enable_private_segment 0
		.amdhsa_system_sgpr_workgroup_id_x 1
		.amdhsa_system_sgpr_workgroup_id_y 0
		.amdhsa_system_sgpr_workgroup_id_z 0
		.amdhsa_system_sgpr_workgroup_info 0
		.amdhsa_system_vgpr_workitem_id 0
		.amdhsa_next_free_vgpr 1
		.amdhsa_next_free_sgpr 1
		.amdhsa_reserve_vcc 0
		.amdhsa_float_round_mode_32 0
		.amdhsa_float_round_mode_16_64 0
		.amdhsa_float_denorm_mode_32 3
		.amdhsa_float_denorm_mode_16_64 3
		.amdhsa_dx10_clamp 1
		.amdhsa_ieee_mode 1
		.amdhsa_fp16_overflow 0
		.amdhsa_workgroup_processor_mode 1
		.amdhsa_memory_ordered 1
		.amdhsa_forward_progress 0
		.amdhsa_shared_vgpr_count 0
		.amdhsa_exception_fp_ieee_invalid_op 0
		.amdhsa_exception_fp_denorm_src 0
		.amdhsa_exception_fp_ieee_div_zero 0
		.amdhsa_exception_fp_ieee_overflow 0
		.amdhsa_exception_fp_ieee_underflow 0
		.amdhsa_exception_fp_ieee_inexact 0
		.amdhsa_exception_int_div_zero 0
	.end_amdhsa_kernel
	.section	.text._ZN7rocprim17ROCPRIM_400000_NS6detail17trampoline_kernelINS0_14default_configENS1_22reduce_config_selectorIN6thrust23THRUST_200600_302600_NS5tupleIblNS6_9null_typeES8_S8_S8_S8_S8_S8_S8_EEEEZNS1_11reduce_implILb1ES3_NS6_12zip_iteratorINS7_INS6_11hip_rocprim26transform_input_iterator_tIbNSD_35transform_pair_of_input_iterators_tIbNS6_6detail15normal_iteratorINS6_10device_ptrIKjEEEESL_NS6_8equal_toIjEEEENSG_9not_fun_tINSD_8identityEEEEENSD_19counting_iterator_tIlEES8_S8_S8_S8_S8_S8_S8_S8_EEEEPS9_S9_NSD_9__find_if7functorIS9_EEEE10hipError_tPvRmT1_T2_T3_mT4_P12ihipStream_tbEUlT_E0_NS1_11comp_targetILNS1_3genE0ELNS1_11target_archE4294967295ELNS1_3gpuE0ELNS1_3repE0EEENS1_30default_config_static_selectorELNS0_4arch9wavefront6targetE0EEEvS14_,"axG",@progbits,_ZN7rocprim17ROCPRIM_400000_NS6detail17trampoline_kernelINS0_14default_configENS1_22reduce_config_selectorIN6thrust23THRUST_200600_302600_NS5tupleIblNS6_9null_typeES8_S8_S8_S8_S8_S8_S8_EEEEZNS1_11reduce_implILb1ES3_NS6_12zip_iteratorINS7_INS6_11hip_rocprim26transform_input_iterator_tIbNSD_35transform_pair_of_input_iterators_tIbNS6_6detail15normal_iteratorINS6_10device_ptrIKjEEEESL_NS6_8equal_toIjEEEENSG_9not_fun_tINSD_8identityEEEEENSD_19counting_iterator_tIlEES8_S8_S8_S8_S8_S8_S8_S8_EEEEPS9_S9_NSD_9__find_if7functorIS9_EEEE10hipError_tPvRmT1_T2_T3_mT4_P12ihipStream_tbEUlT_E0_NS1_11comp_targetILNS1_3genE0ELNS1_11target_archE4294967295ELNS1_3gpuE0ELNS1_3repE0EEENS1_30default_config_static_selectorELNS0_4arch9wavefront6targetE0EEEvS14_,comdat
.Lfunc_end483:
	.size	_ZN7rocprim17ROCPRIM_400000_NS6detail17trampoline_kernelINS0_14default_configENS1_22reduce_config_selectorIN6thrust23THRUST_200600_302600_NS5tupleIblNS6_9null_typeES8_S8_S8_S8_S8_S8_S8_EEEEZNS1_11reduce_implILb1ES3_NS6_12zip_iteratorINS7_INS6_11hip_rocprim26transform_input_iterator_tIbNSD_35transform_pair_of_input_iterators_tIbNS6_6detail15normal_iteratorINS6_10device_ptrIKjEEEESL_NS6_8equal_toIjEEEENSG_9not_fun_tINSD_8identityEEEEENSD_19counting_iterator_tIlEES8_S8_S8_S8_S8_S8_S8_S8_EEEEPS9_S9_NSD_9__find_if7functorIS9_EEEE10hipError_tPvRmT1_T2_T3_mT4_P12ihipStream_tbEUlT_E0_NS1_11comp_targetILNS1_3genE0ELNS1_11target_archE4294967295ELNS1_3gpuE0ELNS1_3repE0EEENS1_30default_config_static_selectorELNS0_4arch9wavefront6targetE0EEEvS14_, .Lfunc_end483-_ZN7rocprim17ROCPRIM_400000_NS6detail17trampoline_kernelINS0_14default_configENS1_22reduce_config_selectorIN6thrust23THRUST_200600_302600_NS5tupleIblNS6_9null_typeES8_S8_S8_S8_S8_S8_S8_EEEEZNS1_11reduce_implILb1ES3_NS6_12zip_iteratorINS7_INS6_11hip_rocprim26transform_input_iterator_tIbNSD_35transform_pair_of_input_iterators_tIbNS6_6detail15normal_iteratorINS6_10device_ptrIKjEEEESL_NS6_8equal_toIjEEEENSG_9not_fun_tINSD_8identityEEEEENSD_19counting_iterator_tIlEES8_S8_S8_S8_S8_S8_S8_S8_EEEEPS9_S9_NSD_9__find_if7functorIS9_EEEE10hipError_tPvRmT1_T2_T3_mT4_P12ihipStream_tbEUlT_E0_NS1_11comp_targetILNS1_3genE0ELNS1_11target_archE4294967295ELNS1_3gpuE0ELNS1_3repE0EEENS1_30default_config_static_selectorELNS0_4arch9wavefront6targetE0EEEvS14_
                                        ; -- End function
	.section	.AMDGPU.csdata,"",@progbits
; Kernel info:
; codeLenInByte = 0
; NumSgprs: 0
; NumVgprs: 0
; ScratchSize: 0
; MemoryBound: 0
; FloatMode: 240
; IeeeMode: 1
; LDSByteSize: 0 bytes/workgroup (compile time only)
; SGPRBlocks: 0
; VGPRBlocks: 0
; NumSGPRsForWavesPerEU: 1
; NumVGPRsForWavesPerEU: 1
; Occupancy: 16
; WaveLimiterHint : 0
; COMPUTE_PGM_RSRC2:SCRATCH_EN: 0
; COMPUTE_PGM_RSRC2:USER_SGPR: 15
; COMPUTE_PGM_RSRC2:TRAP_HANDLER: 0
; COMPUTE_PGM_RSRC2:TGID_X_EN: 1
; COMPUTE_PGM_RSRC2:TGID_Y_EN: 0
; COMPUTE_PGM_RSRC2:TGID_Z_EN: 0
; COMPUTE_PGM_RSRC2:TIDIG_COMP_CNT: 0
	.section	.text._ZN7rocprim17ROCPRIM_400000_NS6detail17trampoline_kernelINS0_14default_configENS1_22reduce_config_selectorIN6thrust23THRUST_200600_302600_NS5tupleIblNS6_9null_typeES8_S8_S8_S8_S8_S8_S8_EEEEZNS1_11reduce_implILb1ES3_NS6_12zip_iteratorINS7_INS6_11hip_rocprim26transform_input_iterator_tIbNSD_35transform_pair_of_input_iterators_tIbNS6_6detail15normal_iteratorINS6_10device_ptrIKjEEEESL_NS6_8equal_toIjEEEENSG_9not_fun_tINSD_8identityEEEEENSD_19counting_iterator_tIlEES8_S8_S8_S8_S8_S8_S8_S8_EEEEPS9_S9_NSD_9__find_if7functorIS9_EEEE10hipError_tPvRmT1_T2_T3_mT4_P12ihipStream_tbEUlT_E0_NS1_11comp_targetILNS1_3genE5ELNS1_11target_archE942ELNS1_3gpuE9ELNS1_3repE0EEENS1_30default_config_static_selectorELNS0_4arch9wavefront6targetE0EEEvS14_,"axG",@progbits,_ZN7rocprim17ROCPRIM_400000_NS6detail17trampoline_kernelINS0_14default_configENS1_22reduce_config_selectorIN6thrust23THRUST_200600_302600_NS5tupleIblNS6_9null_typeES8_S8_S8_S8_S8_S8_S8_EEEEZNS1_11reduce_implILb1ES3_NS6_12zip_iteratorINS7_INS6_11hip_rocprim26transform_input_iterator_tIbNSD_35transform_pair_of_input_iterators_tIbNS6_6detail15normal_iteratorINS6_10device_ptrIKjEEEESL_NS6_8equal_toIjEEEENSG_9not_fun_tINSD_8identityEEEEENSD_19counting_iterator_tIlEES8_S8_S8_S8_S8_S8_S8_S8_EEEEPS9_S9_NSD_9__find_if7functorIS9_EEEE10hipError_tPvRmT1_T2_T3_mT4_P12ihipStream_tbEUlT_E0_NS1_11comp_targetILNS1_3genE5ELNS1_11target_archE942ELNS1_3gpuE9ELNS1_3repE0EEENS1_30default_config_static_selectorELNS0_4arch9wavefront6targetE0EEEvS14_,comdat
	.protected	_ZN7rocprim17ROCPRIM_400000_NS6detail17trampoline_kernelINS0_14default_configENS1_22reduce_config_selectorIN6thrust23THRUST_200600_302600_NS5tupleIblNS6_9null_typeES8_S8_S8_S8_S8_S8_S8_EEEEZNS1_11reduce_implILb1ES3_NS6_12zip_iteratorINS7_INS6_11hip_rocprim26transform_input_iterator_tIbNSD_35transform_pair_of_input_iterators_tIbNS6_6detail15normal_iteratorINS6_10device_ptrIKjEEEESL_NS6_8equal_toIjEEEENSG_9not_fun_tINSD_8identityEEEEENSD_19counting_iterator_tIlEES8_S8_S8_S8_S8_S8_S8_S8_EEEEPS9_S9_NSD_9__find_if7functorIS9_EEEE10hipError_tPvRmT1_T2_T3_mT4_P12ihipStream_tbEUlT_E0_NS1_11comp_targetILNS1_3genE5ELNS1_11target_archE942ELNS1_3gpuE9ELNS1_3repE0EEENS1_30default_config_static_selectorELNS0_4arch9wavefront6targetE0EEEvS14_ ; -- Begin function _ZN7rocprim17ROCPRIM_400000_NS6detail17trampoline_kernelINS0_14default_configENS1_22reduce_config_selectorIN6thrust23THRUST_200600_302600_NS5tupleIblNS6_9null_typeES8_S8_S8_S8_S8_S8_S8_EEEEZNS1_11reduce_implILb1ES3_NS6_12zip_iteratorINS7_INS6_11hip_rocprim26transform_input_iterator_tIbNSD_35transform_pair_of_input_iterators_tIbNS6_6detail15normal_iteratorINS6_10device_ptrIKjEEEESL_NS6_8equal_toIjEEEENSG_9not_fun_tINSD_8identityEEEEENSD_19counting_iterator_tIlEES8_S8_S8_S8_S8_S8_S8_S8_EEEEPS9_S9_NSD_9__find_if7functorIS9_EEEE10hipError_tPvRmT1_T2_T3_mT4_P12ihipStream_tbEUlT_E0_NS1_11comp_targetILNS1_3genE5ELNS1_11target_archE942ELNS1_3gpuE9ELNS1_3repE0EEENS1_30default_config_static_selectorELNS0_4arch9wavefront6targetE0EEEvS14_
	.globl	_ZN7rocprim17ROCPRIM_400000_NS6detail17trampoline_kernelINS0_14default_configENS1_22reduce_config_selectorIN6thrust23THRUST_200600_302600_NS5tupleIblNS6_9null_typeES8_S8_S8_S8_S8_S8_S8_EEEEZNS1_11reduce_implILb1ES3_NS6_12zip_iteratorINS7_INS6_11hip_rocprim26transform_input_iterator_tIbNSD_35transform_pair_of_input_iterators_tIbNS6_6detail15normal_iteratorINS6_10device_ptrIKjEEEESL_NS6_8equal_toIjEEEENSG_9not_fun_tINSD_8identityEEEEENSD_19counting_iterator_tIlEES8_S8_S8_S8_S8_S8_S8_S8_EEEEPS9_S9_NSD_9__find_if7functorIS9_EEEE10hipError_tPvRmT1_T2_T3_mT4_P12ihipStream_tbEUlT_E0_NS1_11comp_targetILNS1_3genE5ELNS1_11target_archE942ELNS1_3gpuE9ELNS1_3repE0EEENS1_30default_config_static_selectorELNS0_4arch9wavefront6targetE0EEEvS14_
	.p2align	8
	.type	_ZN7rocprim17ROCPRIM_400000_NS6detail17trampoline_kernelINS0_14default_configENS1_22reduce_config_selectorIN6thrust23THRUST_200600_302600_NS5tupleIblNS6_9null_typeES8_S8_S8_S8_S8_S8_S8_EEEEZNS1_11reduce_implILb1ES3_NS6_12zip_iteratorINS7_INS6_11hip_rocprim26transform_input_iterator_tIbNSD_35transform_pair_of_input_iterators_tIbNS6_6detail15normal_iteratorINS6_10device_ptrIKjEEEESL_NS6_8equal_toIjEEEENSG_9not_fun_tINSD_8identityEEEEENSD_19counting_iterator_tIlEES8_S8_S8_S8_S8_S8_S8_S8_EEEEPS9_S9_NSD_9__find_if7functorIS9_EEEE10hipError_tPvRmT1_T2_T3_mT4_P12ihipStream_tbEUlT_E0_NS1_11comp_targetILNS1_3genE5ELNS1_11target_archE942ELNS1_3gpuE9ELNS1_3repE0EEENS1_30default_config_static_selectorELNS0_4arch9wavefront6targetE0EEEvS14_,@function
_ZN7rocprim17ROCPRIM_400000_NS6detail17trampoline_kernelINS0_14default_configENS1_22reduce_config_selectorIN6thrust23THRUST_200600_302600_NS5tupleIblNS6_9null_typeES8_S8_S8_S8_S8_S8_S8_EEEEZNS1_11reduce_implILb1ES3_NS6_12zip_iteratorINS7_INS6_11hip_rocprim26transform_input_iterator_tIbNSD_35transform_pair_of_input_iterators_tIbNS6_6detail15normal_iteratorINS6_10device_ptrIKjEEEESL_NS6_8equal_toIjEEEENSG_9not_fun_tINSD_8identityEEEEENSD_19counting_iterator_tIlEES8_S8_S8_S8_S8_S8_S8_S8_EEEEPS9_S9_NSD_9__find_if7functorIS9_EEEE10hipError_tPvRmT1_T2_T3_mT4_P12ihipStream_tbEUlT_E0_NS1_11comp_targetILNS1_3genE5ELNS1_11target_archE942ELNS1_3gpuE9ELNS1_3repE0EEENS1_30default_config_static_selectorELNS0_4arch9wavefront6targetE0EEEvS14_: ; @_ZN7rocprim17ROCPRIM_400000_NS6detail17trampoline_kernelINS0_14default_configENS1_22reduce_config_selectorIN6thrust23THRUST_200600_302600_NS5tupleIblNS6_9null_typeES8_S8_S8_S8_S8_S8_S8_EEEEZNS1_11reduce_implILb1ES3_NS6_12zip_iteratorINS7_INS6_11hip_rocprim26transform_input_iterator_tIbNSD_35transform_pair_of_input_iterators_tIbNS6_6detail15normal_iteratorINS6_10device_ptrIKjEEEESL_NS6_8equal_toIjEEEENSG_9not_fun_tINSD_8identityEEEEENSD_19counting_iterator_tIlEES8_S8_S8_S8_S8_S8_S8_S8_EEEEPS9_S9_NSD_9__find_if7functorIS9_EEEE10hipError_tPvRmT1_T2_T3_mT4_P12ihipStream_tbEUlT_E0_NS1_11comp_targetILNS1_3genE5ELNS1_11target_archE942ELNS1_3gpuE9ELNS1_3repE0EEENS1_30default_config_static_selectorELNS0_4arch9wavefront6targetE0EEEvS14_
; %bb.0:
	.section	.rodata,"a",@progbits
	.p2align	6, 0x0
	.amdhsa_kernel _ZN7rocprim17ROCPRIM_400000_NS6detail17trampoline_kernelINS0_14default_configENS1_22reduce_config_selectorIN6thrust23THRUST_200600_302600_NS5tupleIblNS6_9null_typeES8_S8_S8_S8_S8_S8_S8_EEEEZNS1_11reduce_implILb1ES3_NS6_12zip_iteratorINS7_INS6_11hip_rocprim26transform_input_iterator_tIbNSD_35transform_pair_of_input_iterators_tIbNS6_6detail15normal_iteratorINS6_10device_ptrIKjEEEESL_NS6_8equal_toIjEEEENSG_9not_fun_tINSD_8identityEEEEENSD_19counting_iterator_tIlEES8_S8_S8_S8_S8_S8_S8_S8_EEEEPS9_S9_NSD_9__find_if7functorIS9_EEEE10hipError_tPvRmT1_T2_T3_mT4_P12ihipStream_tbEUlT_E0_NS1_11comp_targetILNS1_3genE5ELNS1_11target_archE942ELNS1_3gpuE9ELNS1_3repE0EEENS1_30default_config_static_selectorELNS0_4arch9wavefront6targetE0EEEvS14_
		.amdhsa_group_segment_fixed_size 0
		.amdhsa_private_segment_fixed_size 0
		.amdhsa_kernarg_size 104
		.amdhsa_user_sgpr_count 15
		.amdhsa_user_sgpr_dispatch_ptr 0
		.amdhsa_user_sgpr_queue_ptr 0
		.amdhsa_user_sgpr_kernarg_segment_ptr 1
		.amdhsa_user_sgpr_dispatch_id 0
		.amdhsa_user_sgpr_private_segment_size 0
		.amdhsa_wavefront_size32 1
		.amdhsa_uses_dynamic_stack 0
		.amdhsa_enable_private_segment 0
		.amdhsa_system_sgpr_workgroup_id_x 1
		.amdhsa_system_sgpr_workgroup_id_y 0
		.amdhsa_system_sgpr_workgroup_id_z 0
		.amdhsa_system_sgpr_workgroup_info 0
		.amdhsa_system_vgpr_workitem_id 0
		.amdhsa_next_free_vgpr 1
		.amdhsa_next_free_sgpr 1
		.amdhsa_reserve_vcc 0
		.amdhsa_float_round_mode_32 0
		.amdhsa_float_round_mode_16_64 0
		.amdhsa_float_denorm_mode_32 3
		.amdhsa_float_denorm_mode_16_64 3
		.amdhsa_dx10_clamp 1
		.amdhsa_ieee_mode 1
		.amdhsa_fp16_overflow 0
		.amdhsa_workgroup_processor_mode 1
		.amdhsa_memory_ordered 1
		.amdhsa_forward_progress 0
		.amdhsa_shared_vgpr_count 0
		.amdhsa_exception_fp_ieee_invalid_op 0
		.amdhsa_exception_fp_denorm_src 0
		.amdhsa_exception_fp_ieee_div_zero 0
		.amdhsa_exception_fp_ieee_overflow 0
		.amdhsa_exception_fp_ieee_underflow 0
		.amdhsa_exception_fp_ieee_inexact 0
		.amdhsa_exception_int_div_zero 0
	.end_amdhsa_kernel
	.section	.text._ZN7rocprim17ROCPRIM_400000_NS6detail17trampoline_kernelINS0_14default_configENS1_22reduce_config_selectorIN6thrust23THRUST_200600_302600_NS5tupleIblNS6_9null_typeES8_S8_S8_S8_S8_S8_S8_EEEEZNS1_11reduce_implILb1ES3_NS6_12zip_iteratorINS7_INS6_11hip_rocprim26transform_input_iterator_tIbNSD_35transform_pair_of_input_iterators_tIbNS6_6detail15normal_iteratorINS6_10device_ptrIKjEEEESL_NS6_8equal_toIjEEEENSG_9not_fun_tINSD_8identityEEEEENSD_19counting_iterator_tIlEES8_S8_S8_S8_S8_S8_S8_S8_EEEEPS9_S9_NSD_9__find_if7functorIS9_EEEE10hipError_tPvRmT1_T2_T3_mT4_P12ihipStream_tbEUlT_E0_NS1_11comp_targetILNS1_3genE5ELNS1_11target_archE942ELNS1_3gpuE9ELNS1_3repE0EEENS1_30default_config_static_selectorELNS0_4arch9wavefront6targetE0EEEvS14_,"axG",@progbits,_ZN7rocprim17ROCPRIM_400000_NS6detail17trampoline_kernelINS0_14default_configENS1_22reduce_config_selectorIN6thrust23THRUST_200600_302600_NS5tupleIblNS6_9null_typeES8_S8_S8_S8_S8_S8_S8_EEEEZNS1_11reduce_implILb1ES3_NS6_12zip_iteratorINS7_INS6_11hip_rocprim26transform_input_iterator_tIbNSD_35transform_pair_of_input_iterators_tIbNS6_6detail15normal_iteratorINS6_10device_ptrIKjEEEESL_NS6_8equal_toIjEEEENSG_9not_fun_tINSD_8identityEEEEENSD_19counting_iterator_tIlEES8_S8_S8_S8_S8_S8_S8_S8_EEEEPS9_S9_NSD_9__find_if7functorIS9_EEEE10hipError_tPvRmT1_T2_T3_mT4_P12ihipStream_tbEUlT_E0_NS1_11comp_targetILNS1_3genE5ELNS1_11target_archE942ELNS1_3gpuE9ELNS1_3repE0EEENS1_30default_config_static_selectorELNS0_4arch9wavefront6targetE0EEEvS14_,comdat
.Lfunc_end484:
	.size	_ZN7rocprim17ROCPRIM_400000_NS6detail17trampoline_kernelINS0_14default_configENS1_22reduce_config_selectorIN6thrust23THRUST_200600_302600_NS5tupleIblNS6_9null_typeES8_S8_S8_S8_S8_S8_S8_EEEEZNS1_11reduce_implILb1ES3_NS6_12zip_iteratorINS7_INS6_11hip_rocprim26transform_input_iterator_tIbNSD_35transform_pair_of_input_iterators_tIbNS6_6detail15normal_iteratorINS6_10device_ptrIKjEEEESL_NS6_8equal_toIjEEEENSG_9not_fun_tINSD_8identityEEEEENSD_19counting_iterator_tIlEES8_S8_S8_S8_S8_S8_S8_S8_EEEEPS9_S9_NSD_9__find_if7functorIS9_EEEE10hipError_tPvRmT1_T2_T3_mT4_P12ihipStream_tbEUlT_E0_NS1_11comp_targetILNS1_3genE5ELNS1_11target_archE942ELNS1_3gpuE9ELNS1_3repE0EEENS1_30default_config_static_selectorELNS0_4arch9wavefront6targetE0EEEvS14_, .Lfunc_end484-_ZN7rocprim17ROCPRIM_400000_NS6detail17trampoline_kernelINS0_14default_configENS1_22reduce_config_selectorIN6thrust23THRUST_200600_302600_NS5tupleIblNS6_9null_typeES8_S8_S8_S8_S8_S8_S8_EEEEZNS1_11reduce_implILb1ES3_NS6_12zip_iteratorINS7_INS6_11hip_rocprim26transform_input_iterator_tIbNSD_35transform_pair_of_input_iterators_tIbNS6_6detail15normal_iteratorINS6_10device_ptrIKjEEEESL_NS6_8equal_toIjEEEENSG_9not_fun_tINSD_8identityEEEEENSD_19counting_iterator_tIlEES8_S8_S8_S8_S8_S8_S8_S8_EEEEPS9_S9_NSD_9__find_if7functorIS9_EEEE10hipError_tPvRmT1_T2_T3_mT4_P12ihipStream_tbEUlT_E0_NS1_11comp_targetILNS1_3genE5ELNS1_11target_archE942ELNS1_3gpuE9ELNS1_3repE0EEENS1_30default_config_static_selectorELNS0_4arch9wavefront6targetE0EEEvS14_
                                        ; -- End function
	.section	.AMDGPU.csdata,"",@progbits
; Kernel info:
; codeLenInByte = 0
; NumSgprs: 0
; NumVgprs: 0
; ScratchSize: 0
; MemoryBound: 0
; FloatMode: 240
; IeeeMode: 1
; LDSByteSize: 0 bytes/workgroup (compile time only)
; SGPRBlocks: 0
; VGPRBlocks: 0
; NumSGPRsForWavesPerEU: 1
; NumVGPRsForWavesPerEU: 1
; Occupancy: 16
; WaveLimiterHint : 0
; COMPUTE_PGM_RSRC2:SCRATCH_EN: 0
; COMPUTE_PGM_RSRC2:USER_SGPR: 15
; COMPUTE_PGM_RSRC2:TRAP_HANDLER: 0
; COMPUTE_PGM_RSRC2:TGID_X_EN: 1
; COMPUTE_PGM_RSRC2:TGID_Y_EN: 0
; COMPUTE_PGM_RSRC2:TGID_Z_EN: 0
; COMPUTE_PGM_RSRC2:TIDIG_COMP_CNT: 0
	.section	.text._ZN7rocprim17ROCPRIM_400000_NS6detail17trampoline_kernelINS0_14default_configENS1_22reduce_config_selectorIN6thrust23THRUST_200600_302600_NS5tupleIblNS6_9null_typeES8_S8_S8_S8_S8_S8_S8_EEEEZNS1_11reduce_implILb1ES3_NS6_12zip_iteratorINS7_INS6_11hip_rocprim26transform_input_iterator_tIbNSD_35transform_pair_of_input_iterators_tIbNS6_6detail15normal_iteratorINS6_10device_ptrIKjEEEESL_NS6_8equal_toIjEEEENSG_9not_fun_tINSD_8identityEEEEENSD_19counting_iterator_tIlEES8_S8_S8_S8_S8_S8_S8_S8_EEEEPS9_S9_NSD_9__find_if7functorIS9_EEEE10hipError_tPvRmT1_T2_T3_mT4_P12ihipStream_tbEUlT_E0_NS1_11comp_targetILNS1_3genE4ELNS1_11target_archE910ELNS1_3gpuE8ELNS1_3repE0EEENS1_30default_config_static_selectorELNS0_4arch9wavefront6targetE0EEEvS14_,"axG",@progbits,_ZN7rocprim17ROCPRIM_400000_NS6detail17trampoline_kernelINS0_14default_configENS1_22reduce_config_selectorIN6thrust23THRUST_200600_302600_NS5tupleIblNS6_9null_typeES8_S8_S8_S8_S8_S8_S8_EEEEZNS1_11reduce_implILb1ES3_NS6_12zip_iteratorINS7_INS6_11hip_rocprim26transform_input_iterator_tIbNSD_35transform_pair_of_input_iterators_tIbNS6_6detail15normal_iteratorINS6_10device_ptrIKjEEEESL_NS6_8equal_toIjEEEENSG_9not_fun_tINSD_8identityEEEEENSD_19counting_iterator_tIlEES8_S8_S8_S8_S8_S8_S8_S8_EEEEPS9_S9_NSD_9__find_if7functorIS9_EEEE10hipError_tPvRmT1_T2_T3_mT4_P12ihipStream_tbEUlT_E0_NS1_11comp_targetILNS1_3genE4ELNS1_11target_archE910ELNS1_3gpuE8ELNS1_3repE0EEENS1_30default_config_static_selectorELNS0_4arch9wavefront6targetE0EEEvS14_,comdat
	.protected	_ZN7rocprim17ROCPRIM_400000_NS6detail17trampoline_kernelINS0_14default_configENS1_22reduce_config_selectorIN6thrust23THRUST_200600_302600_NS5tupleIblNS6_9null_typeES8_S8_S8_S8_S8_S8_S8_EEEEZNS1_11reduce_implILb1ES3_NS6_12zip_iteratorINS7_INS6_11hip_rocprim26transform_input_iterator_tIbNSD_35transform_pair_of_input_iterators_tIbNS6_6detail15normal_iteratorINS6_10device_ptrIKjEEEESL_NS6_8equal_toIjEEEENSG_9not_fun_tINSD_8identityEEEEENSD_19counting_iterator_tIlEES8_S8_S8_S8_S8_S8_S8_S8_EEEEPS9_S9_NSD_9__find_if7functorIS9_EEEE10hipError_tPvRmT1_T2_T3_mT4_P12ihipStream_tbEUlT_E0_NS1_11comp_targetILNS1_3genE4ELNS1_11target_archE910ELNS1_3gpuE8ELNS1_3repE0EEENS1_30default_config_static_selectorELNS0_4arch9wavefront6targetE0EEEvS14_ ; -- Begin function _ZN7rocprim17ROCPRIM_400000_NS6detail17trampoline_kernelINS0_14default_configENS1_22reduce_config_selectorIN6thrust23THRUST_200600_302600_NS5tupleIblNS6_9null_typeES8_S8_S8_S8_S8_S8_S8_EEEEZNS1_11reduce_implILb1ES3_NS6_12zip_iteratorINS7_INS6_11hip_rocprim26transform_input_iterator_tIbNSD_35transform_pair_of_input_iterators_tIbNS6_6detail15normal_iteratorINS6_10device_ptrIKjEEEESL_NS6_8equal_toIjEEEENSG_9not_fun_tINSD_8identityEEEEENSD_19counting_iterator_tIlEES8_S8_S8_S8_S8_S8_S8_S8_EEEEPS9_S9_NSD_9__find_if7functorIS9_EEEE10hipError_tPvRmT1_T2_T3_mT4_P12ihipStream_tbEUlT_E0_NS1_11comp_targetILNS1_3genE4ELNS1_11target_archE910ELNS1_3gpuE8ELNS1_3repE0EEENS1_30default_config_static_selectorELNS0_4arch9wavefront6targetE0EEEvS14_
	.globl	_ZN7rocprim17ROCPRIM_400000_NS6detail17trampoline_kernelINS0_14default_configENS1_22reduce_config_selectorIN6thrust23THRUST_200600_302600_NS5tupleIblNS6_9null_typeES8_S8_S8_S8_S8_S8_S8_EEEEZNS1_11reduce_implILb1ES3_NS6_12zip_iteratorINS7_INS6_11hip_rocprim26transform_input_iterator_tIbNSD_35transform_pair_of_input_iterators_tIbNS6_6detail15normal_iteratorINS6_10device_ptrIKjEEEESL_NS6_8equal_toIjEEEENSG_9not_fun_tINSD_8identityEEEEENSD_19counting_iterator_tIlEES8_S8_S8_S8_S8_S8_S8_S8_EEEEPS9_S9_NSD_9__find_if7functorIS9_EEEE10hipError_tPvRmT1_T2_T3_mT4_P12ihipStream_tbEUlT_E0_NS1_11comp_targetILNS1_3genE4ELNS1_11target_archE910ELNS1_3gpuE8ELNS1_3repE0EEENS1_30default_config_static_selectorELNS0_4arch9wavefront6targetE0EEEvS14_
	.p2align	8
	.type	_ZN7rocprim17ROCPRIM_400000_NS6detail17trampoline_kernelINS0_14default_configENS1_22reduce_config_selectorIN6thrust23THRUST_200600_302600_NS5tupleIblNS6_9null_typeES8_S8_S8_S8_S8_S8_S8_EEEEZNS1_11reduce_implILb1ES3_NS6_12zip_iteratorINS7_INS6_11hip_rocprim26transform_input_iterator_tIbNSD_35transform_pair_of_input_iterators_tIbNS6_6detail15normal_iteratorINS6_10device_ptrIKjEEEESL_NS6_8equal_toIjEEEENSG_9not_fun_tINSD_8identityEEEEENSD_19counting_iterator_tIlEES8_S8_S8_S8_S8_S8_S8_S8_EEEEPS9_S9_NSD_9__find_if7functorIS9_EEEE10hipError_tPvRmT1_T2_T3_mT4_P12ihipStream_tbEUlT_E0_NS1_11comp_targetILNS1_3genE4ELNS1_11target_archE910ELNS1_3gpuE8ELNS1_3repE0EEENS1_30default_config_static_selectorELNS0_4arch9wavefront6targetE0EEEvS14_,@function
_ZN7rocprim17ROCPRIM_400000_NS6detail17trampoline_kernelINS0_14default_configENS1_22reduce_config_selectorIN6thrust23THRUST_200600_302600_NS5tupleIblNS6_9null_typeES8_S8_S8_S8_S8_S8_S8_EEEEZNS1_11reduce_implILb1ES3_NS6_12zip_iteratorINS7_INS6_11hip_rocprim26transform_input_iterator_tIbNSD_35transform_pair_of_input_iterators_tIbNS6_6detail15normal_iteratorINS6_10device_ptrIKjEEEESL_NS6_8equal_toIjEEEENSG_9not_fun_tINSD_8identityEEEEENSD_19counting_iterator_tIlEES8_S8_S8_S8_S8_S8_S8_S8_EEEEPS9_S9_NSD_9__find_if7functorIS9_EEEE10hipError_tPvRmT1_T2_T3_mT4_P12ihipStream_tbEUlT_E0_NS1_11comp_targetILNS1_3genE4ELNS1_11target_archE910ELNS1_3gpuE8ELNS1_3repE0EEENS1_30default_config_static_selectorELNS0_4arch9wavefront6targetE0EEEvS14_: ; @_ZN7rocprim17ROCPRIM_400000_NS6detail17trampoline_kernelINS0_14default_configENS1_22reduce_config_selectorIN6thrust23THRUST_200600_302600_NS5tupleIblNS6_9null_typeES8_S8_S8_S8_S8_S8_S8_EEEEZNS1_11reduce_implILb1ES3_NS6_12zip_iteratorINS7_INS6_11hip_rocprim26transform_input_iterator_tIbNSD_35transform_pair_of_input_iterators_tIbNS6_6detail15normal_iteratorINS6_10device_ptrIKjEEEESL_NS6_8equal_toIjEEEENSG_9not_fun_tINSD_8identityEEEEENSD_19counting_iterator_tIlEES8_S8_S8_S8_S8_S8_S8_S8_EEEEPS9_S9_NSD_9__find_if7functorIS9_EEEE10hipError_tPvRmT1_T2_T3_mT4_P12ihipStream_tbEUlT_E0_NS1_11comp_targetILNS1_3genE4ELNS1_11target_archE910ELNS1_3gpuE8ELNS1_3repE0EEENS1_30default_config_static_selectorELNS0_4arch9wavefront6targetE0EEEvS14_
; %bb.0:
	.section	.rodata,"a",@progbits
	.p2align	6, 0x0
	.amdhsa_kernel _ZN7rocprim17ROCPRIM_400000_NS6detail17trampoline_kernelINS0_14default_configENS1_22reduce_config_selectorIN6thrust23THRUST_200600_302600_NS5tupleIblNS6_9null_typeES8_S8_S8_S8_S8_S8_S8_EEEEZNS1_11reduce_implILb1ES3_NS6_12zip_iteratorINS7_INS6_11hip_rocprim26transform_input_iterator_tIbNSD_35transform_pair_of_input_iterators_tIbNS6_6detail15normal_iteratorINS6_10device_ptrIKjEEEESL_NS6_8equal_toIjEEEENSG_9not_fun_tINSD_8identityEEEEENSD_19counting_iterator_tIlEES8_S8_S8_S8_S8_S8_S8_S8_EEEEPS9_S9_NSD_9__find_if7functorIS9_EEEE10hipError_tPvRmT1_T2_T3_mT4_P12ihipStream_tbEUlT_E0_NS1_11comp_targetILNS1_3genE4ELNS1_11target_archE910ELNS1_3gpuE8ELNS1_3repE0EEENS1_30default_config_static_selectorELNS0_4arch9wavefront6targetE0EEEvS14_
		.amdhsa_group_segment_fixed_size 0
		.amdhsa_private_segment_fixed_size 0
		.amdhsa_kernarg_size 104
		.amdhsa_user_sgpr_count 15
		.amdhsa_user_sgpr_dispatch_ptr 0
		.amdhsa_user_sgpr_queue_ptr 0
		.amdhsa_user_sgpr_kernarg_segment_ptr 1
		.amdhsa_user_sgpr_dispatch_id 0
		.amdhsa_user_sgpr_private_segment_size 0
		.amdhsa_wavefront_size32 1
		.amdhsa_uses_dynamic_stack 0
		.amdhsa_enable_private_segment 0
		.amdhsa_system_sgpr_workgroup_id_x 1
		.amdhsa_system_sgpr_workgroup_id_y 0
		.amdhsa_system_sgpr_workgroup_id_z 0
		.amdhsa_system_sgpr_workgroup_info 0
		.amdhsa_system_vgpr_workitem_id 0
		.amdhsa_next_free_vgpr 1
		.amdhsa_next_free_sgpr 1
		.amdhsa_reserve_vcc 0
		.amdhsa_float_round_mode_32 0
		.amdhsa_float_round_mode_16_64 0
		.amdhsa_float_denorm_mode_32 3
		.amdhsa_float_denorm_mode_16_64 3
		.amdhsa_dx10_clamp 1
		.amdhsa_ieee_mode 1
		.amdhsa_fp16_overflow 0
		.amdhsa_workgroup_processor_mode 1
		.amdhsa_memory_ordered 1
		.amdhsa_forward_progress 0
		.amdhsa_shared_vgpr_count 0
		.amdhsa_exception_fp_ieee_invalid_op 0
		.amdhsa_exception_fp_denorm_src 0
		.amdhsa_exception_fp_ieee_div_zero 0
		.amdhsa_exception_fp_ieee_overflow 0
		.amdhsa_exception_fp_ieee_underflow 0
		.amdhsa_exception_fp_ieee_inexact 0
		.amdhsa_exception_int_div_zero 0
	.end_amdhsa_kernel
	.section	.text._ZN7rocprim17ROCPRIM_400000_NS6detail17trampoline_kernelINS0_14default_configENS1_22reduce_config_selectorIN6thrust23THRUST_200600_302600_NS5tupleIblNS6_9null_typeES8_S8_S8_S8_S8_S8_S8_EEEEZNS1_11reduce_implILb1ES3_NS6_12zip_iteratorINS7_INS6_11hip_rocprim26transform_input_iterator_tIbNSD_35transform_pair_of_input_iterators_tIbNS6_6detail15normal_iteratorINS6_10device_ptrIKjEEEESL_NS6_8equal_toIjEEEENSG_9not_fun_tINSD_8identityEEEEENSD_19counting_iterator_tIlEES8_S8_S8_S8_S8_S8_S8_S8_EEEEPS9_S9_NSD_9__find_if7functorIS9_EEEE10hipError_tPvRmT1_T2_T3_mT4_P12ihipStream_tbEUlT_E0_NS1_11comp_targetILNS1_3genE4ELNS1_11target_archE910ELNS1_3gpuE8ELNS1_3repE0EEENS1_30default_config_static_selectorELNS0_4arch9wavefront6targetE0EEEvS14_,"axG",@progbits,_ZN7rocprim17ROCPRIM_400000_NS6detail17trampoline_kernelINS0_14default_configENS1_22reduce_config_selectorIN6thrust23THRUST_200600_302600_NS5tupleIblNS6_9null_typeES8_S8_S8_S8_S8_S8_S8_EEEEZNS1_11reduce_implILb1ES3_NS6_12zip_iteratorINS7_INS6_11hip_rocprim26transform_input_iterator_tIbNSD_35transform_pair_of_input_iterators_tIbNS6_6detail15normal_iteratorINS6_10device_ptrIKjEEEESL_NS6_8equal_toIjEEEENSG_9not_fun_tINSD_8identityEEEEENSD_19counting_iterator_tIlEES8_S8_S8_S8_S8_S8_S8_S8_EEEEPS9_S9_NSD_9__find_if7functorIS9_EEEE10hipError_tPvRmT1_T2_T3_mT4_P12ihipStream_tbEUlT_E0_NS1_11comp_targetILNS1_3genE4ELNS1_11target_archE910ELNS1_3gpuE8ELNS1_3repE0EEENS1_30default_config_static_selectorELNS0_4arch9wavefront6targetE0EEEvS14_,comdat
.Lfunc_end485:
	.size	_ZN7rocprim17ROCPRIM_400000_NS6detail17trampoline_kernelINS0_14default_configENS1_22reduce_config_selectorIN6thrust23THRUST_200600_302600_NS5tupleIblNS6_9null_typeES8_S8_S8_S8_S8_S8_S8_EEEEZNS1_11reduce_implILb1ES3_NS6_12zip_iteratorINS7_INS6_11hip_rocprim26transform_input_iterator_tIbNSD_35transform_pair_of_input_iterators_tIbNS6_6detail15normal_iteratorINS6_10device_ptrIKjEEEESL_NS6_8equal_toIjEEEENSG_9not_fun_tINSD_8identityEEEEENSD_19counting_iterator_tIlEES8_S8_S8_S8_S8_S8_S8_S8_EEEEPS9_S9_NSD_9__find_if7functorIS9_EEEE10hipError_tPvRmT1_T2_T3_mT4_P12ihipStream_tbEUlT_E0_NS1_11comp_targetILNS1_3genE4ELNS1_11target_archE910ELNS1_3gpuE8ELNS1_3repE0EEENS1_30default_config_static_selectorELNS0_4arch9wavefront6targetE0EEEvS14_, .Lfunc_end485-_ZN7rocprim17ROCPRIM_400000_NS6detail17trampoline_kernelINS0_14default_configENS1_22reduce_config_selectorIN6thrust23THRUST_200600_302600_NS5tupleIblNS6_9null_typeES8_S8_S8_S8_S8_S8_S8_EEEEZNS1_11reduce_implILb1ES3_NS6_12zip_iteratorINS7_INS6_11hip_rocprim26transform_input_iterator_tIbNSD_35transform_pair_of_input_iterators_tIbNS6_6detail15normal_iteratorINS6_10device_ptrIKjEEEESL_NS6_8equal_toIjEEEENSG_9not_fun_tINSD_8identityEEEEENSD_19counting_iterator_tIlEES8_S8_S8_S8_S8_S8_S8_S8_EEEEPS9_S9_NSD_9__find_if7functorIS9_EEEE10hipError_tPvRmT1_T2_T3_mT4_P12ihipStream_tbEUlT_E0_NS1_11comp_targetILNS1_3genE4ELNS1_11target_archE910ELNS1_3gpuE8ELNS1_3repE0EEENS1_30default_config_static_selectorELNS0_4arch9wavefront6targetE0EEEvS14_
                                        ; -- End function
	.section	.AMDGPU.csdata,"",@progbits
; Kernel info:
; codeLenInByte = 0
; NumSgprs: 0
; NumVgprs: 0
; ScratchSize: 0
; MemoryBound: 0
; FloatMode: 240
; IeeeMode: 1
; LDSByteSize: 0 bytes/workgroup (compile time only)
; SGPRBlocks: 0
; VGPRBlocks: 0
; NumSGPRsForWavesPerEU: 1
; NumVGPRsForWavesPerEU: 1
; Occupancy: 16
; WaveLimiterHint : 0
; COMPUTE_PGM_RSRC2:SCRATCH_EN: 0
; COMPUTE_PGM_RSRC2:USER_SGPR: 15
; COMPUTE_PGM_RSRC2:TRAP_HANDLER: 0
; COMPUTE_PGM_RSRC2:TGID_X_EN: 1
; COMPUTE_PGM_RSRC2:TGID_Y_EN: 0
; COMPUTE_PGM_RSRC2:TGID_Z_EN: 0
; COMPUTE_PGM_RSRC2:TIDIG_COMP_CNT: 0
	.section	.text._ZN7rocprim17ROCPRIM_400000_NS6detail17trampoline_kernelINS0_14default_configENS1_22reduce_config_selectorIN6thrust23THRUST_200600_302600_NS5tupleIblNS6_9null_typeES8_S8_S8_S8_S8_S8_S8_EEEEZNS1_11reduce_implILb1ES3_NS6_12zip_iteratorINS7_INS6_11hip_rocprim26transform_input_iterator_tIbNSD_35transform_pair_of_input_iterators_tIbNS6_6detail15normal_iteratorINS6_10device_ptrIKjEEEESL_NS6_8equal_toIjEEEENSG_9not_fun_tINSD_8identityEEEEENSD_19counting_iterator_tIlEES8_S8_S8_S8_S8_S8_S8_S8_EEEEPS9_S9_NSD_9__find_if7functorIS9_EEEE10hipError_tPvRmT1_T2_T3_mT4_P12ihipStream_tbEUlT_E0_NS1_11comp_targetILNS1_3genE3ELNS1_11target_archE908ELNS1_3gpuE7ELNS1_3repE0EEENS1_30default_config_static_selectorELNS0_4arch9wavefront6targetE0EEEvS14_,"axG",@progbits,_ZN7rocprim17ROCPRIM_400000_NS6detail17trampoline_kernelINS0_14default_configENS1_22reduce_config_selectorIN6thrust23THRUST_200600_302600_NS5tupleIblNS6_9null_typeES8_S8_S8_S8_S8_S8_S8_EEEEZNS1_11reduce_implILb1ES3_NS6_12zip_iteratorINS7_INS6_11hip_rocprim26transform_input_iterator_tIbNSD_35transform_pair_of_input_iterators_tIbNS6_6detail15normal_iteratorINS6_10device_ptrIKjEEEESL_NS6_8equal_toIjEEEENSG_9not_fun_tINSD_8identityEEEEENSD_19counting_iterator_tIlEES8_S8_S8_S8_S8_S8_S8_S8_EEEEPS9_S9_NSD_9__find_if7functorIS9_EEEE10hipError_tPvRmT1_T2_T3_mT4_P12ihipStream_tbEUlT_E0_NS1_11comp_targetILNS1_3genE3ELNS1_11target_archE908ELNS1_3gpuE7ELNS1_3repE0EEENS1_30default_config_static_selectorELNS0_4arch9wavefront6targetE0EEEvS14_,comdat
	.protected	_ZN7rocprim17ROCPRIM_400000_NS6detail17trampoline_kernelINS0_14default_configENS1_22reduce_config_selectorIN6thrust23THRUST_200600_302600_NS5tupleIblNS6_9null_typeES8_S8_S8_S8_S8_S8_S8_EEEEZNS1_11reduce_implILb1ES3_NS6_12zip_iteratorINS7_INS6_11hip_rocprim26transform_input_iterator_tIbNSD_35transform_pair_of_input_iterators_tIbNS6_6detail15normal_iteratorINS6_10device_ptrIKjEEEESL_NS6_8equal_toIjEEEENSG_9not_fun_tINSD_8identityEEEEENSD_19counting_iterator_tIlEES8_S8_S8_S8_S8_S8_S8_S8_EEEEPS9_S9_NSD_9__find_if7functorIS9_EEEE10hipError_tPvRmT1_T2_T3_mT4_P12ihipStream_tbEUlT_E0_NS1_11comp_targetILNS1_3genE3ELNS1_11target_archE908ELNS1_3gpuE7ELNS1_3repE0EEENS1_30default_config_static_selectorELNS0_4arch9wavefront6targetE0EEEvS14_ ; -- Begin function _ZN7rocprim17ROCPRIM_400000_NS6detail17trampoline_kernelINS0_14default_configENS1_22reduce_config_selectorIN6thrust23THRUST_200600_302600_NS5tupleIblNS6_9null_typeES8_S8_S8_S8_S8_S8_S8_EEEEZNS1_11reduce_implILb1ES3_NS6_12zip_iteratorINS7_INS6_11hip_rocprim26transform_input_iterator_tIbNSD_35transform_pair_of_input_iterators_tIbNS6_6detail15normal_iteratorINS6_10device_ptrIKjEEEESL_NS6_8equal_toIjEEEENSG_9not_fun_tINSD_8identityEEEEENSD_19counting_iterator_tIlEES8_S8_S8_S8_S8_S8_S8_S8_EEEEPS9_S9_NSD_9__find_if7functorIS9_EEEE10hipError_tPvRmT1_T2_T3_mT4_P12ihipStream_tbEUlT_E0_NS1_11comp_targetILNS1_3genE3ELNS1_11target_archE908ELNS1_3gpuE7ELNS1_3repE0EEENS1_30default_config_static_selectorELNS0_4arch9wavefront6targetE0EEEvS14_
	.globl	_ZN7rocprim17ROCPRIM_400000_NS6detail17trampoline_kernelINS0_14default_configENS1_22reduce_config_selectorIN6thrust23THRUST_200600_302600_NS5tupleIblNS6_9null_typeES8_S8_S8_S8_S8_S8_S8_EEEEZNS1_11reduce_implILb1ES3_NS6_12zip_iteratorINS7_INS6_11hip_rocprim26transform_input_iterator_tIbNSD_35transform_pair_of_input_iterators_tIbNS6_6detail15normal_iteratorINS6_10device_ptrIKjEEEESL_NS6_8equal_toIjEEEENSG_9not_fun_tINSD_8identityEEEEENSD_19counting_iterator_tIlEES8_S8_S8_S8_S8_S8_S8_S8_EEEEPS9_S9_NSD_9__find_if7functorIS9_EEEE10hipError_tPvRmT1_T2_T3_mT4_P12ihipStream_tbEUlT_E0_NS1_11comp_targetILNS1_3genE3ELNS1_11target_archE908ELNS1_3gpuE7ELNS1_3repE0EEENS1_30default_config_static_selectorELNS0_4arch9wavefront6targetE0EEEvS14_
	.p2align	8
	.type	_ZN7rocprim17ROCPRIM_400000_NS6detail17trampoline_kernelINS0_14default_configENS1_22reduce_config_selectorIN6thrust23THRUST_200600_302600_NS5tupleIblNS6_9null_typeES8_S8_S8_S8_S8_S8_S8_EEEEZNS1_11reduce_implILb1ES3_NS6_12zip_iteratorINS7_INS6_11hip_rocprim26transform_input_iterator_tIbNSD_35transform_pair_of_input_iterators_tIbNS6_6detail15normal_iteratorINS6_10device_ptrIKjEEEESL_NS6_8equal_toIjEEEENSG_9not_fun_tINSD_8identityEEEEENSD_19counting_iterator_tIlEES8_S8_S8_S8_S8_S8_S8_S8_EEEEPS9_S9_NSD_9__find_if7functorIS9_EEEE10hipError_tPvRmT1_T2_T3_mT4_P12ihipStream_tbEUlT_E0_NS1_11comp_targetILNS1_3genE3ELNS1_11target_archE908ELNS1_3gpuE7ELNS1_3repE0EEENS1_30default_config_static_selectorELNS0_4arch9wavefront6targetE0EEEvS14_,@function
_ZN7rocprim17ROCPRIM_400000_NS6detail17trampoline_kernelINS0_14default_configENS1_22reduce_config_selectorIN6thrust23THRUST_200600_302600_NS5tupleIblNS6_9null_typeES8_S8_S8_S8_S8_S8_S8_EEEEZNS1_11reduce_implILb1ES3_NS6_12zip_iteratorINS7_INS6_11hip_rocprim26transform_input_iterator_tIbNSD_35transform_pair_of_input_iterators_tIbNS6_6detail15normal_iteratorINS6_10device_ptrIKjEEEESL_NS6_8equal_toIjEEEENSG_9not_fun_tINSD_8identityEEEEENSD_19counting_iterator_tIlEES8_S8_S8_S8_S8_S8_S8_S8_EEEEPS9_S9_NSD_9__find_if7functorIS9_EEEE10hipError_tPvRmT1_T2_T3_mT4_P12ihipStream_tbEUlT_E0_NS1_11comp_targetILNS1_3genE3ELNS1_11target_archE908ELNS1_3gpuE7ELNS1_3repE0EEENS1_30default_config_static_selectorELNS0_4arch9wavefront6targetE0EEEvS14_: ; @_ZN7rocprim17ROCPRIM_400000_NS6detail17trampoline_kernelINS0_14default_configENS1_22reduce_config_selectorIN6thrust23THRUST_200600_302600_NS5tupleIblNS6_9null_typeES8_S8_S8_S8_S8_S8_S8_EEEEZNS1_11reduce_implILb1ES3_NS6_12zip_iteratorINS7_INS6_11hip_rocprim26transform_input_iterator_tIbNSD_35transform_pair_of_input_iterators_tIbNS6_6detail15normal_iteratorINS6_10device_ptrIKjEEEESL_NS6_8equal_toIjEEEENSG_9not_fun_tINSD_8identityEEEEENSD_19counting_iterator_tIlEES8_S8_S8_S8_S8_S8_S8_S8_EEEEPS9_S9_NSD_9__find_if7functorIS9_EEEE10hipError_tPvRmT1_T2_T3_mT4_P12ihipStream_tbEUlT_E0_NS1_11comp_targetILNS1_3genE3ELNS1_11target_archE908ELNS1_3gpuE7ELNS1_3repE0EEENS1_30default_config_static_selectorELNS0_4arch9wavefront6targetE0EEEvS14_
; %bb.0:
	.section	.rodata,"a",@progbits
	.p2align	6, 0x0
	.amdhsa_kernel _ZN7rocprim17ROCPRIM_400000_NS6detail17trampoline_kernelINS0_14default_configENS1_22reduce_config_selectorIN6thrust23THRUST_200600_302600_NS5tupleIblNS6_9null_typeES8_S8_S8_S8_S8_S8_S8_EEEEZNS1_11reduce_implILb1ES3_NS6_12zip_iteratorINS7_INS6_11hip_rocprim26transform_input_iterator_tIbNSD_35transform_pair_of_input_iterators_tIbNS6_6detail15normal_iteratorINS6_10device_ptrIKjEEEESL_NS6_8equal_toIjEEEENSG_9not_fun_tINSD_8identityEEEEENSD_19counting_iterator_tIlEES8_S8_S8_S8_S8_S8_S8_S8_EEEEPS9_S9_NSD_9__find_if7functorIS9_EEEE10hipError_tPvRmT1_T2_T3_mT4_P12ihipStream_tbEUlT_E0_NS1_11comp_targetILNS1_3genE3ELNS1_11target_archE908ELNS1_3gpuE7ELNS1_3repE0EEENS1_30default_config_static_selectorELNS0_4arch9wavefront6targetE0EEEvS14_
		.amdhsa_group_segment_fixed_size 0
		.amdhsa_private_segment_fixed_size 0
		.amdhsa_kernarg_size 104
		.amdhsa_user_sgpr_count 15
		.amdhsa_user_sgpr_dispatch_ptr 0
		.amdhsa_user_sgpr_queue_ptr 0
		.amdhsa_user_sgpr_kernarg_segment_ptr 1
		.amdhsa_user_sgpr_dispatch_id 0
		.amdhsa_user_sgpr_private_segment_size 0
		.amdhsa_wavefront_size32 1
		.amdhsa_uses_dynamic_stack 0
		.amdhsa_enable_private_segment 0
		.amdhsa_system_sgpr_workgroup_id_x 1
		.amdhsa_system_sgpr_workgroup_id_y 0
		.amdhsa_system_sgpr_workgroup_id_z 0
		.amdhsa_system_sgpr_workgroup_info 0
		.amdhsa_system_vgpr_workitem_id 0
		.amdhsa_next_free_vgpr 1
		.amdhsa_next_free_sgpr 1
		.amdhsa_reserve_vcc 0
		.amdhsa_float_round_mode_32 0
		.amdhsa_float_round_mode_16_64 0
		.amdhsa_float_denorm_mode_32 3
		.amdhsa_float_denorm_mode_16_64 3
		.amdhsa_dx10_clamp 1
		.amdhsa_ieee_mode 1
		.amdhsa_fp16_overflow 0
		.amdhsa_workgroup_processor_mode 1
		.amdhsa_memory_ordered 1
		.amdhsa_forward_progress 0
		.amdhsa_shared_vgpr_count 0
		.amdhsa_exception_fp_ieee_invalid_op 0
		.amdhsa_exception_fp_denorm_src 0
		.amdhsa_exception_fp_ieee_div_zero 0
		.amdhsa_exception_fp_ieee_overflow 0
		.amdhsa_exception_fp_ieee_underflow 0
		.amdhsa_exception_fp_ieee_inexact 0
		.amdhsa_exception_int_div_zero 0
	.end_amdhsa_kernel
	.section	.text._ZN7rocprim17ROCPRIM_400000_NS6detail17trampoline_kernelINS0_14default_configENS1_22reduce_config_selectorIN6thrust23THRUST_200600_302600_NS5tupleIblNS6_9null_typeES8_S8_S8_S8_S8_S8_S8_EEEEZNS1_11reduce_implILb1ES3_NS6_12zip_iteratorINS7_INS6_11hip_rocprim26transform_input_iterator_tIbNSD_35transform_pair_of_input_iterators_tIbNS6_6detail15normal_iteratorINS6_10device_ptrIKjEEEESL_NS6_8equal_toIjEEEENSG_9not_fun_tINSD_8identityEEEEENSD_19counting_iterator_tIlEES8_S8_S8_S8_S8_S8_S8_S8_EEEEPS9_S9_NSD_9__find_if7functorIS9_EEEE10hipError_tPvRmT1_T2_T3_mT4_P12ihipStream_tbEUlT_E0_NS1_11comp_targetILNS1_3genE3ELNS1_11target_archE908ELNS1_3gpuE7ELNS1_3repE0EEENS1_30default_config_static_selectorELNS0_4arch9wavefront6targetE0EEEvS14_,"axG",@progbits,_ZN7rocprim17ROCPRIM_400000_NS6detail17trampoline_kernelINS0_14default_configENS1_22reduce_config_selectorIN6thrust23THRUST_200600_302600_NS5tupleIblNS6_9null_typeES8_S8_S8_S8_S8_S8_S8_EEEEZNS1_11reduce_implILb1ES3_NS6_12zip_iteratorINS7_INS6_11hip_rocprim26transform_input_iterator_tIbNSD_35transform_pair_of_input_iterators_tIbNS6_6detail15normal_iteratorINS6_10device_ptrIKjEEEESL_NS6_8equal_toIjEEEENSG_9not_fun_tINSD_8identityEEEEENSD_19counting_iterator_tIlEES8_S8_S8_S8_S8_S8_S8_S8_EEEEPS9_S9_NSD_9__find_if7functorIS9_EEEE10hipError_tPvRmT1_T2_T3_mT4_P12ihipStream_tbEUlT_E0_NS1_11comp_targetILNS1_3genE3ELNS1_11target_archE908ELNS1_3gpuE7ELNS1_3repE0EEENS1_30default_config_static_selectorELNS0_4arch9wavefront6targetE0EEEvS14_,comdat
.Lfunc_end486:
	.size	_ZN7rocprim17ROCPRIM_400000_NS6detail17trampoline_kernelINS0_14default_configENS1_22reduce_config_selectorIN6thrust23THRUST_200600_302600_NS5tupleIblNS6_9null_typeES8_S8_S8_S8_S8_S8_S8_EEEEZNS1_11reduce_implILb1ES3_NS6_12zip_iteratorINS7_INS6_11hip_rocprim26transform_input_iterator_tIbNSD_35transform_pair_of_input_iterators_tIbNS6_6detail15normal_iteratorINS6_10device_ptrIKjEEEESL_NS6_8equal_toIjEEEENSG_9not_fun_tINSD_8identityEEEEENSD_19counting_iterator_tIlEES8_S8_S8_S8_S8_S8_S8_S8_EEEEPS9_S9_NSD_9__find_if7functorIS9_EEEE10hipError_tPvRmT1_T2_T3_mT4_P12ihipStream_tbEUlT_E0_NS1_11comp_targetILNS1_3genE3ELNS1_11target_archE908ELNS1_3gpuE7ELNS1_3repE0EEENS1_30default_config_static_selectorELNS0_4arch9wavefront6targetE0EEEvS14_, .Lfunc_end486-_ZN7rocprim17ROCPRIM_400000_NS6detail17trampoline_kernelINS0_14default_configENS1_22reduce_config_selectorIN6thrust23THRUST_200600_302600_NS5tupleIblNS6_9null_typeES8_S8_S8_S8_S8_S8_S8_EEEEZNS1_11reduce_implILb1ES3_NS6_12zip_iteratorINS7_INS6_11hip_rocprim26transform_input_iterator_tIbNSD_35transform_pair_of_input_iterators_tIbNS6_6detail15normal_iteratorINS6_10device_ptrIKjEEEESL_NS6_8equal_toIjEEEENSG_9not_fun_tINSD_8identityEEEEENSD_19counting_iterator_tIlEES8_S8_S8_S8_S8_S8_S8_S8_EEEEPS9_S9_NSD_9__find_if7functorIS9_EEEE10hipError_tPvRmT1_T2_T3_mT4_P12ihipStream_tbEUlT_E0_NS1_11comp_targetILNS1_3genE3ELNS1_11target_archE908ELNS1_3gpuE7ELNS1_3repE0EEENS1_30default_config_static_selectorELNS0_4arch9wavefront6targetE0EEEvS14_
                                        ; -- End function
	.section	.AMDGPU.csdata,"",@progbits
; Kernel info:
; codeLenInByte = 0
; NumSgprs: 0
; NumVgprs: 0
; ScratchSize: 0
; MemoryBound: 0
; FloatMode: 240
; IeeeMode: 1
; LDSByteSize: 0 bytes/workgroup (compile time only)
; SGPRBlocks: 0
; VGPRBlocks: 0
; NumSGPRsForWavesPerEU: 1
; NumVGPRsForWavesPerEU: 1
; Occupancy: 16
; WaveLimiterHint : 0
; COMPUTE_PGM_RSRC2:SCRATCH_EN: 0
; COMPUTE_PGM_RSRC2:USER_SGPR: 15
; COMPUTE_PGM_RSRC2:TRAP_HANDLER: 0
; COMPUTE_PGM_RSRC2:TGID_X_EN: 1
; COMPUTE_PGM_RSRC2:TGID_Y_EN: 0
; COMPUTE_PGM_RSRC2:TGID_Z_EN: 0
; COMPUTE_PGM_RSRC2:TIDIG_COMP_CNT: 0
	.section	.text._ZN7rocprim17ROCPRIM_400000_NS6detail17trampoline_kernelINS0_14default_configENS1_22reduce_config_selectorIN6thrust23THRUST_200600_302600_NS5tupleIblNS6_9null_typeES8_S8_S8_S8_S8_S8_S8_EEEEZNS1_11reduce_implILb1ES3_NS6_12zip_iteratorINS7_INS6_11hip_rocprim26transform_input_iterator_tIbNSD_35transform_pair_of_input_iterators_tIbNS6_6detail15normal_iteratorINS6_10device_ptrIKjEEEESL_NS6_8equal_toIjEEEENSG_9not_fun_tINSD_8identityEEEEENSD_19counting_iterator_tIlEES8_S8_S8_S8_S8_S8_S8_S8_EEEEPS9_S9_NSD_9__find_if7functorIS9_EEEE10hipError_tPvRmT1_T2_T3_mT4_P12ihipStream_tbEUlT_E0_NS1_11comp_targetILNS1_3genE2ELNS1_11target_archE906ELNS1_3gpuE6ELNS1_3repE0EEENS1_30default_config_static_selectorELNS0_4arch9wavefront6targetE0EEEvS14_,"axG",@progbits,_ZN7rocprim17ROCPRIM_400000_NS6detail17trampoline_kernelINS0_14default_configENS1_22reduce_config_selectorIN6thrust23THRUST_200600_302600_NS5tupleIblNS6_9null_typeES8_S8_S8_S8_S8_S8_S8_EEEEZNS1_11reduce_implILb1ES3_NS6_12zip_iteratorINS7_INS6_11hip_rocprim26transform_input_iterator_tIbNSD_35transform_pair_of_input_iterators_tIbNS6_6detail15normal_iteratorINS6_10device_ptrIKjEEEESL_NS6_8equal_toIjEEEENSG_9not_fun_tINSD_8identityEEEEENSD_19counting_iterator_tIlEES8_S8_S8_S8_S8_S8_S8_S8_EEEEPS9_S9_NSD_9__find_if7functorIS9_EEEE10hipError_tPvRmT1_T2_T3_mT4_P12ihipStream_tbEUlT_E0_NS1_11comp_targetILNS1_3genE2ELNS1_11target_archE906ELNS1_3gpuE6ELNS1_3repE0EEENS1_30default_config_static_selectorELNS0_4arch9wavefront6targetE0EEEvS14_,comdat
	.protected	_ZN7rocprim17ROCPRIM_400000_NS6detail17trampoline_kernelINS0_14default_configENS1_22reduce_config_selectorIN6thrust23THRUST_200600_302600_NS5tupleIblNS6_9null_typeES8_S8_S8_S8_S8_S8_S8_EEEEZNS1_11reduce_implILb1ES3_NS6_12zip_iteratorINS7_INS6_11hip_rocprim26transform_input_iterator_tIbNSD_35transform_pair_of_input_iterators_tIbNS6_6detail15normal_iteratorINS6_10device_ptrIKjEEEESL_NS6_8equal_toIjEEEENSG_9not_fun_tINSD_8identityEEEEENSD_19counting_iterator_tIlEES8_S8_S8_S8_S8_S8_S8_S8_EEEEPS9_S9_NSD_9__find_if7functorIS9_EEEE10hipError_tPvRmT1_T2_T3_mT4_P12ihipStream_tbEUlT_E0_NS1_11comp_targetILNS1_3genE2ELNS1_11target_archE906ELNS1_3gpuE6ELNS1_3repE0EEENS1_30default_config_static_selectorELNS0_4arch9wavefront6targetE0EEEvS14_ ; -- Begin function _ZN7rocprim17ROCPRIM_400000_NS6detail17trampoline_kernelINS0_14default_configENS1_22reduce_config_selectorIN6thrust23THRUST_200600_302600_NS5tupleIblNS6_9null_typeES8_S8_S8_S8_S8_S8_S8_EEEEZNS1_11reduce_implILb1ES3_NS6_12zip_iteratorINS7_INS6_11hip_rocprim26transform_input_iterator_tIbNSD_35transform_pair_of_input_iterators_tIbNS6_6detail15normal_iteratorINS6_10device_ptrIKjEEEESL_NS6_8equal_toIjEEEENSG_9not_fun_tINSD_8identityEEEEENSD_19counting_iterator_tIlEES8_S8_S8_S8_S8_S8_S8_S8_EEEEPS9_S9_NSD_9__find_if7functorIS9_EEEE10hipError_tPvRmT1_T2_T3_mT4_P12ihipStream_tbEUlT_E0_NS1_11comp_targetILNS1_3genE2ELNS1_11target_archE906ELNS1_3gpuE6ELNS1_3repE0EEENS1_30default_config_static_selectorELNS0_4arch9wavefront6targetE0EEEvS14_
	.globl	_ZN7rocprim17ROCPRIM_400000_NS6detail17trampoline_kernelINS0_14default_configENS1_22reduce_config_selectorIN6thrust23THRUST_200600_302600_NS5tupleIblNS6_9null_typeES8_S8_S8_S8_S8_S8_S8_EEEEZNS1_11reduce_implILb1ES3_NS6_12zip_iteratorINS7_INS6_11hip_rocprim26transform_input_iterator_tIbNSD_35transform_pair_of_input_iterators_tIbNS6_6detail15normal_iteratorINS6_10device_ptrIKjEEEESL_NS6_8equal_toIjEEEENSG_9not_fun_tINSD_8identityEEEEENSD_19counting_iterator_tIlEES8_S8_S8_S8_S8_S8_S8_S8_EEEEPS9_S9_NSD_9__find_if7functorIS9_EEEE10hipError_tPvRmT1_T2_T3_mT4_P12ihipStream_tbEUlT_E0_NS1_11comp_targetILNS1_3genE2ELNS1_11target_archE906ELNS1_3gpuE6ELNS1_3repE0EEENS1_30default_config_static_selectorELNS0_4arch9wavefront6targetE0EEEvS14_
	.p2align	8
	.type	_ZN7rocprim17ROCPRIM_400000_NS6detail17trampoline_kernelINS0_14default_configENS1_22reduce_config_selectorIN6thrust23THRUST_200600_302600_NS5tupleIblNS6_9null_typeES8_S8_S8_S8_S8_S8_S8_EEEEZNS1_11reduce_implILb1ES3_NS6_12zip_iteratorINS7_INS6_11hip_rocprim26transform_input_iterator_tIbNSD_35transform_pair_of_input_iterators_tIbNS6_6detail15normal_iteratorINS6_10device_ptrIKjEEEESL_NS6_8equal_toIjEEEENSG_9not_fun_tINSD_8identityEEEEENSD_19counting_iterator_tIlEES8_S8_S8_S8_S8_S8_S8_S8_EEEEPS9_S9_NSD_9__find_if7functorIS9_EEEE10hipError_tPvRmT1_T2_T3_mT4_P12ihipStream_tbEUlT_E0_NS1_11comp_targetILNS1_3genE2ELNS1_11target_archE906ELNS1_3gpuE6ELNS1_3repE0EEENS1_30default_config_static_selectorELNS0_4arch9wavefront6targetE0EEEvS14_,@function
_ZN7rocprim17ROCPRIM_400000_NS6detail17trampoline_kernelINS0_14default_configENS1_22reduce_config_selectorIN6thrust23THRUST_200600_302600_NS5tupleIblNS6_9null_typeES8_S8_S8_S8_S8_S8_S8_EEEEZNS1_11reduce_implILb1ES3_NS6_12zip_iteratorINS7_INS6_11hip_rocprim26transform_input_iterator_tIbNSD_35transform_pair_of_input_iterators_tIbNS6_6detail15normal_iteratorINS6_10device_ptrIKjEEEESL_NS6_8equal_toIjEEEENSG_9not_fun_tINSD_8identityEEEEENSD_19counting_iterator_tIlEES8_S8_S8_S8_S8_S8_S8_S8_EEEEPS9_S9_NSD_9__find_if7functorIS9_EEEE10hipError_tPvRmT1_T2_T3_mT4_P12ihipStream_tbEUlT_E0_NS1_11comp_targetILNS1_3genE2ELNS1_11target_archE906ELNS1_3gpuE6ELNS1_3repE0EEENS1_30default_config_static_selectorELNS0_4arch9wavefront6targetE0EEEvS14_: ; @_ZN7rocprim17ROCPRIM_400000_NS6detail17trampoline_kernelINS0_14default_configENS1_22reduce_config_selectorIN6thrust23THRUST_200600_302600_NS5tupleIblNS6_9null_typeES8_S8_S8_S8_S8_S8_S8_EEEEZNS1_11reduce_implILb1ES3_NS6_12zip_iteratorINS7_INS6_11hip_rocprim26transform_input_iterator_tIbNSD_35transform_pair_of_input_iterators_tIbNS6_6detail15normal_iteratorINS6_10device_ptrIKjEEEESL_NS6_8equal_toIjEEEENSG_9not_fun_tINSD_8identityEEEEENSD_19counting_iterator_tIlEES8_S8_S8_S8_S8_S8_S8_S8_EEEEPS9_S9_NSD_9__find_if7functorIS9_EEEE10hipError_tPvRmT1_T2_T3_mT4_P12ihipStream_tbEUlT_E0_NS1_11comp_targetILNS1_3genE2ELNS1_11target_archE906ELNS1_3gpuE6ELNS1_3repE0EEENS1_30default_config_static_selectorELNS0_4arch9wavefront6targetE0EEEvS14_
; %bb.0:
	.section	.rodata,"a",@progbits
	.p2align	6, 0x0
	.amdhsa_kernel _ZN7rocprim17ROCPRIM_400000_NS6detail17trampoline_kernelINS0_14default_configENS1_22reduce_config_selectorIN6thrust23THRUST_200600_302600_NS5tupleIblNS6_9null_typeES8_S8_S8_S8_S8_S8_S8_EEEEZNS1_11reduce_implILb1ES3_NS6_12zip_iteratorINS7_INS6_11hip_rocprim26transform_input_iterator_tIbNSD_35transform_pair_of_input_iterators_tIbNS6_6detail15normal_iteratorINS6_10device_ptrIKjEEEESL_NS6_8equal_toIjEEEENSG_9not_fun_tINSD_8identityEEEEENSD_19counting_iterator_tIlEES8_S8_S8_S8_S8_S8_S8_S8_EEEEPS9_S9_NSD_9__find_if7functorIS9_EEEE10hipError_tPvRmT1_T2_T3_mT4_P12ihipStream_tbEUlT_E0_NS1_11comp_targetILNS1_3genE2ELNS1_11target_archE906ELNS1_3gpuE6ELNS1_3repE0EEENS1_30default_config_static_selectorELNS0_4arch9wavefront6targetE0EEEvS14_
		.amdhsa_group_segment_fixed_size 0
		.amdhsa_private_segment_fixed_size 0
		.amdhsa_kernarg_size 104
		.amdhsa_user_sgpr_count 15
		.amdhsa_user_sgpr_dispatch_ptr 0
		.amdhsa_user_sgpr_queue_ptr 0
		.amdhsa_user_sgpr_kernarg_segment_ptr 1
		.amdhsa_user_sgpr_dispatch_id 0
		.amdhsa_user_sgpr_private_segment_size 0
		.amdhsa_wavefront_size32 1
		.amdhsa_uses_dynamic_stack 0
		.amdhsa_enable_private_segment 0
		.amdhsa_system_sgpr_workgroup_id_x 1
		.amdhsa_system_sgpr_workgroup_id_y 0
		.amdhsa_system_sgpr_workgroup_id_z 0
		.amdhsa_system_sgpr_workgroup_info 0
		.amdhsa_system_vgpr_workitem_id 0
		.amdhsa_next_free_vgpr 1
		.amdhsa_next_free_sgpr 1
		.amdhsa_reserve_vcc 0
		.amdhsa_float_round_mode_32 0
		.amdhsa_float_round_mode_16_64 0
		.amdhsa_float_denorm_mode_32 3
		.amdhsa_float_denorm_mode_16_64 3
		.amdhsa_dx10_clamp 1
		.amdhsa_ieee_mode 1
		.amdhsa_fp16_overflow 0
		.amdhsa_workgroup_processor_mode 1
		.amdhsa_memory_ordered 1
		.amdhsa_forward_progress 0
		.amdhsa_shared_vgpr_count 0
		.amdhsa_exception_fp_ieee_invalid_op 0
		.amdhsa_exception_fp_denorm_src 0
		.amdhsa_exception_fp_ieee_div_zero 0
		.amdhsa_exception_fp_ieee_overflow 0
		.amdhsa_exception_fp_ieee_underflow 0
		.amdhsa_exception_fp_ieee_inexact 0
		.amdhsa_exception_int_div_zero 0
	.end_amdhsa_kernel
	.section	.text._ZN7rocprim17ROCPRIM_400000_NS6detail17trampoline_kernelINS0_14default_configENS1_22reduce_config_selectorIN6thrust23THRUST_200600_302600_NS5tupleIblNS6_9null_typeES8_S8_S8_S8_S8_S8_S8_EEEEZNS1_11reduce_implILb1ES3_NS6_12zip_iteratorINS7_INS6_11hip_rocprim26transform_input_iterator_tIbNSD_35transform_pair_of_input_iterators_tIbNS6_6detail15normal_iteratorINS6_10device_ptrIKjEEEESL_NS6_8equal_toIjEEEENSG_9not_fun_tINSD_8identityEEEEENSD_19counting_iterator_tIlEES8_S8_S8_S8_S8_S8_S8_S8_EEEEPS9_S9_NSD_9__find_if7functorIS9_EEEE10hipError_tPvRmT1_T2_T3_mT4_P12ihipStream_tbEUlT_E0_NS1_11comp_targetILNS1_3genE2ELNS1_11target_archE906ELNS1_3gpuE6ELNS1_3repE0EEENS1_30default_config_static_selectorELNS0_4arch9wavefront6targetE0EEEvS14_,"axG",@progbits,_ZN7rocprim17ROCPRIM_400000_NS6detail17trampoline_kernelINS0_14default_configENS1_22reduce_config_selectorIN6thrust23THRUST_200600_302600_NS5tupleIblNS6_9null_typeES8_S8_S8_S8_S8_S8_S8_EEEEZNS1_11reduce_implILb1ES3_NS6_12zip_iteratorINS7_INS6_11hip_rocprim26transform_input_iterator_tIbNSD_35transform_pair_of_input_iterators_tIbNS6_6detail15normal_iteratorINS6_10device_ptrIKjEEEESL_NS6_8equal_toIjEEEENSG_9not_fun_tINSD_8identityEEEEENSD_19counting_iterator_tIlEES8_S8_S8_S8_S8_S8_S8_S8_EEEEPS9_S9_NSD_9__find_if7functorIS9_EEEE10hipError_tPvRmT1_T2_T3_mT4_P12ihipStream_tbEUlT_E0_NS1_11comp_targetILNS1_3genE2ELNS1_11target_archE906ELNS1_3gpuE6ELNS1_3repE0EEENS1_30default_config_static_selectorELNS0_4arch9wavefront6targetE0EEEvS14_,comdat
.Lfunc_end487:
	.size	_ZN7rocprim17ROCPRIM_400000_NS6detail17trampoline_kernelINS0_14default_configENS1_22reduce_config_selectorIN6thrust23THRUST_200600_302600_NS5tupleIblNS6_9null_typeES8_S8_S8_S8_S8_S8_S8_EEEEZNS1_11reduce_implILb1ES3_NS6_12zip_iteratorINS7_INS6_11hip_rocprim26transform_input_iterator_tIbNSD_35transform_pair_of_input_iterators_tIbNS6_6detail15normal_iteratorINS6_10device_ptrIKjEEEESL_NS6_8equal_toIjEEEENSG_9not_fun_tINSD_8identityEEEEENSD_19counting_iterator_tIlEES8_S8_S8_S8_S8_S8_S8_S8_EEEEPS9_S9_NSD_9__find_if7functorIS9_EEEE10hipError_tPvRmT1_T2_T3_mT4_P12ihipStream_tbEUlT_E0_NS1_11comp_targetILNS1_3genE2ELNS1_11target_archE906ELNS1_3gpuE6ELNS1_3repE0EEENS1_30default_config_static_selectorELNS0_4arch9wavefront6targetE0EEEvS14_, .Lfunc_end487-_ZN7rocprim17ROCPRIM_400000_NS6detail17trampoline_kernelINS0_14default_configENS1_22reduce_config_selectorIN6thrust23THRUST_200600_302600_NS5tupleIblNS6_9null_typeES8_S8_S8_S8_S8_S8_S8_EEEEZNS1_11reduce_implILb1ES3_NS6_12zip_iteratorINS7_INS6_11hip_rocprim26transform_input_iterator_tIbNSD_35transform_pair_of_input_iterators_tIbNS6_6detail15normal_iteratorINS6_10device_ptrIKjEEEESL_NS6_8equal_toIjEEEENSG_9not_fun_tINSD_8identityEEEEENSD_19counting_iterator_tIlEES8_S8_S8_S8_S8_S8_S8_S8_EEEEPS9_S9_NSD_9__find_if7functorIS9_EEEE10hipError_tPvRmT1_T2_T3_mT4_P12ihipStream_tbEUlT_E0_NS1_11comp_targetILNS1_3genE2ELNS1_11target_archE906ELNS1_3gpuE6ELNS1_3repE0EEENS1_30default_config_static_selectorELNS0_4arch9wavefront6targetE0EEEvS14_
                                        ; -- End function
	.section	.AMDGPU.csdata,"",@progbits
; Kernel info:
; codeLenInByte = 0
; NumSgprs: 0
; NumVgprs: 0
; ScratchSize: 0
; MemoryBound: 0
; FloatMode: 240
; IeeeMode: 1
; LDSByteSize: 0 bytes/workgroup (compile time only)
; SGPRBlocks: 0
; VGPRBlocks: 0
; NumSGPRsForWavesPerEU: 1
; NumVGPRsForWavesPerEU: 1
; Occupancy: 16
; WaveLimiterHint : 0
; COMPUTE_PGM_RSRC2:SCRATCH_EN: 0
; COMPUTE_PGM_RSRC2:USER_SGPR: 15
; COMPUTE_PGM_RSRC2:TRAP_HANDLER: 0
; COMPUTE_PGM_RSRC2:TGID_X_EN: 1
; COMPUTE_PGM_RSRC2:TGID_Y_EN: 0
; COMPUTE_PGM_RSRC2:TGID_Z_EN: 0
; COMPUTE_PGM_RSRC2:TIDIG_COMP_CNT: 0
	.section	.text._ZN7rocprim17ROCPRIM_400000_NS6detail17trampoline_kernelINS0_14default_configENS1_22reduce_config_selectorIN6thrust23THRUST_200600_302600_NS5tupleIblNS6_9null_typeES8_S8_S8_S8_S8_S8_S8_EEEEZNS1_11reduce_implILb1ES3_NS6_12zip_iteratorINS7_INS6_11hip_rocprim26transform_input_iterator_tIbNSD_35transform_pair_of_input_iterators_tIbNS6_6detail15normal_iteratorINS6_10device_ptrIKjEEEESL_NS6_8equal_toIjEEEENSG_9not_fun_tINSD_8identityEEEEENSD_19counting_iterator_tIlEES8_S8_S8_S8_S8_S8_S8_S8_EEEEPS9_S9_NSD_9__find_if7functorIS9_EEEE10hipError_tPvRmT1_T2_T3_mT4_P12ihipStream_tbEUlT_E0_NS1_11comp_targetILNS1_3genE10ELNS1_11target_archE1201ELNS1_3gpuE5ELNS1_3repE0EEENS1_30default_config_static_selectorELNS0_4arch9wavefront6targetE0EEEvS14_,"axG",@progbits,_ZN7rocprim17ROCPRIM_400000_NS6detail17trampoline_kernelINS0_14default_configENS1_22reduce_config_selectorIN6thrust23THRUST_200600_302600_NS5tupleIblNS6_9null_typeES8_S8_S8_S8_S8_S8_S8_EEEEZNS1_11reduce_implILb1ES3_NS6_12zip_iteratorINS7_INS6_11hip_rocprim26transform_input_iterator_tIbNSD_35transform_pair_of_input_iterators_tIbNS6_6detail15normal_iteratorINS6_10device_ptrIKjEEEESL_NS6_8equal_toIjEEEENSG_9not_fun_tINSD_8identityEEEEENSD_19counting_iterator_tIlEES8_S8_S8_S8_S8_S8_S8_S8_EEEEPS9_S9_NSD_9__find_if7functorIS9_EEEE10hipError_tPvRmT1_T2_T3_mT4_P12ihipStream_tbEUlT_E0_NS1_11comp_targetILNS1_3genE10ELNS1_11target_archE1201ELNS1_3gpuE5ELNS1_3repE0EEENS1_30default_config_static_selectorELNS0_4arch9wavefront6targetE0EEEvS14_,comdat
	.protected	_ZN7rocprim17ROCPRIM_400000_NS6detail17trampoline_kernelINS0_14default_configENS1_22reduce_config_selectorIN6thrust23THRUST_200600_302600_NS5tupleIblNS6_9null_typeES8_S8_S8_S8_S8_S8_S8_EEEEZNS1_11reduce_implILb1ES3_NS6_12zip_iteratorINS7_INS6_11hip_rocprim26transform_input_iterator_tIbNSD_35transform_pair_of_input_iterators_tIbNS6_6detail15normal_iteratorINS6_10device_ptrIKjEEEESL_NS6_8equal_toIjEEEENSG_9not_fun_tINSD_8identityEEEEENSD_19counting_iterator_tIlEES8_S8_S8_S8_S8_S8_S8_S8_EEEEPS9_S9_NSD_9__find_if7functorIS9_EEEE10hipError_tPvRmT1_T2_T3_mT4_P12ihipStream_tbEUlT_E0_NS1_11comp_targetILNS1_3genE10ELNS1_11target_archE1201ELNS1_3gpuE5ELNS1_3repE0EEENS1_30default_config_static_selectorELNS0_4arch9wavefront6targetE0EEEvS14_ ; -- Begin function _ZN7rocprim17ROCPRIM_400000_NS6detail17trampoline_kernelINS0_14default_configENS1_22reduce_config_selectorIN6thrust23THRUST_200600_302600_NS5tupleIblNS6_9null_typeES8_S8_S8_S8_S8_S8_S8_EEEEZNS1_11reduce_implILb1ES3_NS6_12zip_iteratorINS7_INS6_11hip_rocprim26transform_input_iterator_tIbNSD_35transform_pair_of_input_iterators_tIbNS6_6detail15normal_iteratorINS6_10device_ptrIKjEEEESL_NS6_8equal_toIjEEEENSG_9not_fun_tINSD_8identityEEEEENSD_19counting_iterator_tIlEES8_S8_S8_S8_S8_S8_S8_S8_EEEEPS9_S9_NSD_9__find_if7functorIS9_EEEE10hipError_tPvRmT1_T2_T3_mT4_P12ihipStream_tbEUlT_E0_NS1_11comp_targetILNS1_3genE10ELNS1_11target_archE1201ELNS1_3gpuE5ELNS1_3repE0EEENS1_30default_config_static_selectorELNS0_4arch9wavefront6targetE0EEEvS14_
	.globl	_ZN7rocprim17ROCPRIM_400000_NS6detail17trampoline_kernelINS0_14default_configENS1_22reduce_config_selectorIN6thrust23THRUST_200600_302600_NS5tupleIblNS6_9null_typeES8_S8_S8_S8_S8_S8_S8_EEEEZNS1_11reduce_implILb1ES3_NS6_12zip_iteratorINS7_INS6_11hip_rocprim26transform_input_iterator_tIbNSD_35transform_pair_of_input_iterators_tIbNS6_6detail15normal_iteratorINS6_10device_ptrIKjEEEESL_NS6_8equal_toIjEEEENSG_9not_fun_tINSD_8identityEEEEENSD_19counting_iterator_tIlEES8_S8_S8_S8_S8_S8_S8_S8_EEEEPS9_S9_NSD_9__find_if7functorIS9_EEEE10hipError_tPvRmT1_T2_T3_mT4_P12ihipStream_tbEUlT_E0_NS1_11comp_targetILNS1_3genE10ELNS1_11target_archE1201ELNS1_3gpuE5ELNS1_3repE0EEENS1_30default_config_static_selectorELNS0_4arch9wavefront6targetE0EEEvS14_
	.p2align	8
	.type	_ZN7rocprim17ROCPRIM_400000_NS6detail17trampoline_kernelINS0_14default_configENS1_22reduce_config_selectorIN6thrust23THRUST_200600_302600_NS5tupleIblNS6_9null_typeES8_S8_S8_S8_S8_S8_S8_EEEEZNS1_11reduce_implILb1ES3_NS6_12zip_iteratorINS7_INS6_11hip_rocprim26transform_input_iterator_tIbNSD_35transform_pair_of_input_iterators_tIbNS6_6detail15normal_iteratorINS6_10device_ptrIKjEEEESL_NS6_8equal_toIjEEEENSG_9not_fun_tINSD_8identityEEEEENSD_19counting_iterator_tIlEES8_S8_S8_S8_S8_S8_S8_S8_EEEEPS9_S9_NSD_9__find_if7functorIS9_EEEE10hipError_tPvRmT1_T2_T3_mT4_P12ihipStream_tbEUlT_E0_NS1_11comp_targetILNS1_3genE10ELNS1_11target_archE1201ELNS1_3gpuE5ELNS1_3repE0EEENS1_30default_config_static_selectorELNS0_4arch9wavefront6targetE0EEEvS14_,@function
_ZN7rocprim17ROCPRIM_400000_NS6detail17trampoline_kernelINS0_14default_configENS1_22reduce_config_selectorIN6thrust23THRUST_200600_302600_NS5tupleIblNS6_9null_typeES8_S8_S8_S8_S8_S8_S8_EEEEZNS1_11reduce_implILb1ES3_NS6_12zip_iteratorINS7_INS6_11hip_rocprim26transform_input_iterator_tIbNSD_35transform_pair_of_input_iterators_tIbNS6_6detail15normal_iteratorINS6_10device_ptrIKjEEEESL_NS6_8equal_toIjEEEENSG_9not_fun_tINSD_8identityEEEEENSD_19counting_iterator_tIlEES8_S8_S8_S8_S8_S8_S8_S8_EEEEPS9_S9_NSD_9__find_if7functorIS9_EEEE10hipError_tPvRmT1_T2_T3_mT4_P12ihipStream_tbEUlT_E0_NS1_11comp_targetILNS1_3genE10ELNS1_11target_archE1201ELNS1_3gpuE5ELNS1_3repE0EEENS1_30default_config_static_selectorELNS0_4arch9wavefront6targetE0EEEvS14_: ; @_ZN7rocprim17ROCPRIM_400000_NS6detail17trampoline_kernelINS0_14default_configENS1_22reduce_config_selectorIN6thrust23THRUST_200600_302600_NS5tupleIblNS6_9null_typeES8_S8_S8_S8_S8_S8_S8_EEEEZNS1_11reduce_implILb1ES3_NS6_12zip_iteratorINS7_INS6_11hip_rocprim26transform_input_iterator_tIbNSD_35transform_pair_of_input_iterators_tIbNS6_6detail15normal_iteratorINS6_10device_ptrIKjEEEESL_NS6_8equal_toIjEEEENSG_9not_fun_tINSD_8identityEEEEENSD_19counting_iterator_tIlEES8_S8_S8_S8_S8_S8_S8_S8_EEEEPS9_S9_NSD_9__find_if7functorIS9_EEEE10hipError_tPvRmT1_T2_T3_mT4_P12ihipStream_tbEUlT_E0_NS1_11comp_targetILNS1_3genE10ELNS1_11target_archE1201ELNS1_3gpuE5ELNS1_3repE0EEENS1_30default_config_static_selectorELNS0_4arch9wavefront6targetE0EEEvS14_
; %bb.0:
	.section	.rodata,"a",@progbits
	.p2align	6, 0x0
	.amdhsa_kernel _ZN7rocprim17ROCPRIM_400000_NS6detail17trampoline_kernelINS0_14default_configENS1_22reduce_config_selectorIN6thrust23THRUST_200600_302600_NS5tupleIblNS6_9null_typeES8_S8_S8_S8_S8_S8_S8_EEEEZNS1_11reduce_implILb1ES3_NS6_12zip_iteratorINS7_INS6_11hip_rocprim26transform_input_iterator_tIbNSD_35transform_pair_of_input_iterators_tIbNS6_6detail15normal_iteratorINS6_10device_ptrIKjEEEESL_NS6_8equal_toIjEEEENSG_9not_fun_tINSD_8identityEEEEENSD_19counting_iterator_tIlEES8_S8_S8_S8_S8_S8_S8_S8_EEEEPS9_S9_NSD_9__find_if7functorIS9_EEEE10hipError_tPvRmT1_T2_T3_mT4_P12ihipStream_tbEUlT_E0_NS1_11comp_targetILNS1_3genE10ELNS1_11target_archE1201ELNS1_3gpuE5ELNS1_3repE0EEENS1_30default_config_static_selectorELNS0_4arch9wavefront6targetE0EEEvS14_
		.amdhsa_group_segment_fixed_size 0
		.amdhsa_private_segment_fixed_size 0
		.amdhsa_kernarg_size 104
		.amdhsa_user_sgpr_count 15
		.amdhsa_user_sgpr_dispatch_ptr 0
		.amdhsa_user_sgpr_queue_ptr 0
		.amdhsa_user_sgpr_kernarg_segment_ptr 1
		.amdhsa_user_sgpr_dispatch_id 0
		.amdhsa_user_sgpr_private_segment_size 0
		.amdhsa_wavefront_size32 1
		.amdhsa_uses_dynamic_stack 0
		.amdhsa_enable_private_segment 0
		.amdhsa_system_sgpr_workgroup_id_x 1
		.amdhsa_system_sgpr_workgroup_id_y 0
		.amdhsa_system_sgpr_workgroup_id_z 0
		.amdhsa_system_sgpr_workgroup_info 0
		.amdhsa_system_vgpr_workitem_id 0
		.amdhsa_next_free_vgpr 1
		.amdhsa_next_free_sgpr 1
		.amdhsa_reserve_vcc 0
		.amdhsa_float_round_mode_32 0
		.amdhsa_float_round_mode_16_64 0
		.amdhsa_float_denorm_mode_32 3
		.amdhsa_float_denorm_mode_16_64 3
		.amdhsa_dx10_clamp 1
		.amdhsa_ieee_mode 1
		.amdhsa_fp16_overflow 0
		.amdhsa_workgroup_processor_mode 1
		.amdhsa_memory_ordered 1
		.amdhsa_forward_progress 0
		.amdhsa_shared_vgpr_count 0
		.amdhsa_exception_fp_ieee_invalid_op 0
		.amdhsa_exception_fp_denorm_src 0
		.amdhsa_exception_fp_ieee_div_zero 0
		.amdhsa_exception_fp_ieee_overflow 0
		.amdhsa_exception_fp_ieee_underflow 0
		.amdhsa_exception_fp_ieee_inexact 0
		.amdhsa_exception_int_div_zero 0
	.end_amdhsa_kernel
	.section	.text._ZN7rocprim17ROCPRIM_400000_NS6detail17trampoline_kernelINS0_14default_configENS1_22reduce_config_selectorIN6thrust23THRUST_200600_302600_NS5tupleIblNS6_9null_typeES8_S8_S8_S8_S8_S8_S8_EEEEZNS1_11reduce_implILb1ES3_NS6_12zip_iteratorINS7_INS6_11hip_rocprim26transform_input_iterator_tIbNSD_35transform_pair_of_input_iterators_tIbNS6_6detail15normal_iteratorINS6_10device_ptrIKjEEEESL_NS6_8equal_toIjEEEENSG_9not_fun_tINSD_8identityEEEEENSD_19counting_iterator_tIlEES8_S8_S8_S8_S8_S8_S8_S8_EEEEPS9_S9_NSD_9__find_if7functorIS9_EEEE10hipError_tPvRmT1_T2_T3_mT4_P12ihipStream_tbEUlT_E0_NS1_11comp_targetILNS1_3genE10ELNS1_11target_archE1201ELNS1_3gpuE5ELNS1_3repE0EEENS1_30default_config_static_selectorELNS0_4arch9wavefront6targetE0EEEvS14_,"axG",@progbits,_ZN7rocprim17ROCPRIM_400000_NS6detail17trampoline_kernelINS0_14default_configENS1_22reduce_config_selectorIN6thrust23THRUST_200600_302600_NS5tupleIblNS6_9null_typeES8_S8_S8_S8_S8_S8_S8_EEEEZNS1_11reduce_implILb1ES3_NS6_12zip_iteratorINS7_INS6_11hip_rocprim26transform_input_iterator_tIbNSD_35transform_pair_of_input_iterators_tIbNS6_6detail15normal_iteratorINS6_10device_ptrIKjEEEESL_NS6_8equal_toIjEEEENSG_9not_fun_tINSD_8identityEEEEENSD_19counting_iterator_tIlEES8_S8_S8_S8_S8_S8_S8_S8_EEEEPS9_S9_NSD_9__find_if7functorIS9_EEEE10hipError_tPvRmT1_T2_T3_mT4_P12ihipStream_tbEUlT_E0_NS1_11comp_targetILNS1_3genE10ELNS1_11target_archE1201ELNS1_3gpuE5ELNS1_3repE0EEENS1_30default_config_static_selectorELNS0_4arch9wavefront6targetE0EEEvS14_,comdat
.Lfunc_end488:
	.size	_ZN7rocprim17ROCPRIM_400000_NS6detail17trampoline_kernelINS0_14default_configENS1_22reduce_config_selectorIN6thrust23THRUST_200600_302600_NS5tupleIblNS6_9null_typeES8_S8_S8_S8_S8_S8_S8_EEEEZNS1_11reduce_implILb1ES3_NS6_12zip_iteratorINS7_INS6_11hip_rocprim26transform_input_iterator_tIbNSD_35transform_pair_of_input_iterators_tIbNS6_6detail15normal_iteratorINS6_10device_ptrIKjEEEESL_NS6_8equal_toIjEEEENSG_9not_fun_tINSD_8identityEEEEENSD_19counting_iterator_tIlEES8_S8_S8_S8_S8_S8_S8_S8_EEEEPS9_S9_NSD_9__find_if7functorIS9_EEEE10hipError_tPvRmT1_T2_T3_mT4_P12ihipStream_tbEUlT_E0_NS1_11comp_targetILNS1_3genE10ELNS1_11target_archE1201ELNS1_3gpuE5ELNS1_3repE0EEENS1_30default_config_static_selectorELNS0_4arch9wavefront6targetE0EEEvS14_, .Lfunc_end488-_ZN7rocprim17ROCPRIM_400000_NS6detail17trampoline_kernelINS0_14default_configENS1_22reduce_config_selectorIN6thrust23THRUST_200600_302600_NS5tupleIblNS6_9null_typeES8_S8_S8_S8_S8_S8_S8_EEEEZNS1_11reduce_implILb1ES3_NS6_12zip_iteratorINS7_INS6_11hip_rocprim26transform_input_iterator_tIbNSD_35transform_pair_of_input_iterators_tIbNS6_6detail15normal_iteratorINS6_10device_ptrIKjEEEESL_NS6_8equal_toIjEEEENSG_9not_fun_tINSD_8identityEEEEENSD_19counting_iterator_tIlEES8_S8_S8_S8_S8_S8_S8_S8_EEEEPS9_S9_NSD_9__find_if7functorIS9_EEEE10hipError_tPvRmT1_T2_T3_mT4_P12ihipStream_tbEUlT_E0_NS1_11comp_targetILNS1_3genE10ELNS1_11target_archE1201ELNS1_3gpuE5ELNS1_3repE0EEENS1_30default_config_static_selectorELNS0_4arch9wavefront6targetE0EEEvS14_
                                        ; -- End function
	.section	.AMDGPU.csdata,"",@progbits
; Kernel info:
; codeLenInByte = 0
; NumSgprs: 0
; NumVgprs: 0
; ScratchSize: 0
; MemoryBound: 0
; FloatMode: 240
; IeeeMode: 1
; LDSByteSize: 0 bytes/workgroup (compile time only)
; SGPRBlocks: 0
; VGPRBlocks: 0
; NumSGPRsForWavesPerEU: 1
; NumVGPRsForWavesPerEU: 1
; Occupancy: 16
; WaveLimiterHint : 0
; COMPUTE_PGM_RSRC2:SCRATCH_EN: 0
; COMPUTE_PGM_RSRC2:USER_SGPR: 15
; COMPUTE_PGM_RSRC2:TRAP_HANDLER: 0
; COMPUTE_PGM_RSRC2:TGID_X_EN: 1
; COMPUTE_PGM_RSRC2:TGID_Y_EN: 0
; COMPUTE_PGM_RSRC2:TGID_Z_EN: 0
; COMPUTE_PGM_RSRC2:TIDIG_COMP_CNT: 0
	.section	.text._ZN7rocprim17ROCPRIM_400000_NS6detail17trampoline_kernelINS0_14default_configENS1_22reduce_config_selectorIN6thrust23THRUST_200600_302600_NS5tupleIblNS6_9null_typeES8_S8_S8_S8_S8_S8_S8_EEEEZNS1_11reduce_implILb1ES3_NS6_12zip_iteratorINS7_INS6_11hip_rocprim26transform_input_iterator_tIbNSD_35transform_pair_of_input_iterators_tIbNS6_6detail15normal_iteratorINS6_10device_ptrIKjEEEESL_NS6_8equal_toIjEEEENSG_9not_fun_tINSD_8identityEEEEENSD_19counting_iterator_tIlEES8_S8_S8_S8_S8_S8_S8_S8_EEEEPS9_S9_NSD_9__find_if7functorIS9_EEEE10hipError_tPvRmT1_T2_T3_mT4_P12ihipStream_tbEUlT_E0_NS1_11comp_targetILNS1_3genE10ELNS1_11target_archE1200ELNS1_3gpuE4ELNS1_3repE0EEENS1_30default_config_static_selectorELNS0_4arch9wavefront6targetE0EEEvS14_,"axG",@progbits,_ZN7rocprim17ROCPRIM_400000_NS6detail17trampoline_kernelINS0_14default_configENS1_22reduce_config_selectorIN6thrust23THRUST_200600_302600_NS5tupleIblNS6_9null_typeES8_S8_S8_S8_S8_S8_S8_EEEEZNS1_11reduce_implILb1ES3_NS6_12zip_iteratorINS7_INS6_11hip_rocprim26transform_input_iterator_tIbNSD_35transform_pair_of_input_iterators_tIbNS6_6detail15normal_iteratorINS6_10device_ptrIKjEEEESL_NS6_8equal_toIjEEEENSG_9not_fun_tINSD_8identityEEEEENSD_19counting_iterator_tIlEES8_S8_S8_S8_S8_S8_S8_S8_EEEEPS9_S9_NSD_9__find_if7functorIS9_EEEE10hipError_tPvRmT1_T2_T3_mT4_P12ihipStream_tbEUlT_E0_NS1_11comp_targetILNS1_3genE10ELNS1_11target_archE1200ELNS1_3gpuE4ELNS1_3repE0EEENS1_30default_config_static_selectorELNS0_4arch9wavefront6targetE0EEEvS14_,comdat
	.protected	_ZN7rocprim17ROCPRIM_400000_NS6detail17trampoline_kernelINS0_14default_configENS1_22reduce_config_selectorIN6thrust23THRUST_200600_302600_NS5tupleIblNS6_9null_typeES8_S8_S8_S8_S8_S8_S8_EEEEZNS1_11reduce_implILb1ES3_NS6_12zip_iteratorINS7_INS6_11hip_rocprim26transform_input_iterator_tIbNSD_35transform_pair_of_input_iterators_tIbNS6_6detail15normal_iteratorINS6_10device_ptrIKjEEEESL_NS6_8equal_toIjEEEENSG_9not_fun_tINSD_8identityEEEEENSD_19counting_iterator_tIlEES8_S8_S8_S8_S8_S8_S8_S8_EEEEPS9_S9_NSD_9__find_if7functorIS9_EEEE10hipError_tPvRmT1_T2_T3_mT4_P12ihipStream_tbEUlT_E0_NS1_11comp_targetILNS1_3genE10ELNS1_11target_archE1200ELNS1_3gpuE4ELNS1_3repE0EEENS1_30default_config_static_selectorELNS0_4arch9wavefront6targetE0EEEvS14_ ; -- Begin function _ZN7rocprim17ROCPRIM_400000_NS6detail17trampoline_kernelINS0_14default_configENS1_22reduce_config_selectorIN6thrust23THRUST_200600_302600_NS5tupleIblNS6_9null_typeES8_S8_S8_S8_S8_S8_S8_EEEEZNS1_11reduce_implILb1ES3_NS6_12zip_iteratorINS7_INS6_11hip_rocprim26transform_input_iterator_tIbNSD_35transform_pair_of_input_iterators_tIbNS6_6detail15normal_iteratorINS6_10device_ptrIKjEEEESL_NS6_8equal_toIjEEEENSG_9not_fun_tINSD_8identityEEEEENSD_19counting_iterator_tIlEES8_S8_S8_S8_S8_S8_S8_S8_EEEEPS9_S9_NSD_9__find_if7functorIS9_EEEE10hipError_tPvRmT1_T2_T3_mT4_P12ihipStream_tbEUlT_E0_NS1_11comp_targetILNS1_3genE10ELNS1_11target_archE1200ELNS1_3gpuE4ELNS1_3repE0EEENS1_30default_config_static_selectorELNS0_4arch9wavefront6targetE0EEEvS14_
	.globl	_ZN7rocprim17ROCPRIM_400000_NS6detail17trampoline_kernelINS0_14default_configENS1_22reduce_config_selectorIN6thrust23THRUST_200600_302600_NS5tupleIblNS6_9null_typeES8_S8_S8_S8_S8_S8_S8_EEEEZNS1_11reduce_implILb1ES3_NS6_12zip_iteratorINS7_INS6_11hip_rocprim26transform_input_iterator_tIbNSD_35transform_pair_of_input_iterators_tIbNS6_6detail15normal_iteratorINS6_10device_ptrIKjEEEESL_NS6_8equal_toIjEEEENSG_9not_fun_tINSD_8identityEEEEENSD_19counting_iterator_tIlEES8_S8_S8_S8_S8_S8_S8_S8_EEEEPS9_S9_NSD_9__find_if7functorIS9_EEEE10hipError_tPvRmT1_T2_T3_mT4_P12ihipStream_tbEUlT_E0_NS1_11comp_targetILNS1_3genE10ELNS1_11target_archE1200ELNS1_3gpuE4ELNS1_3repE0EEENS1_30default_config_static_selectorELNS0_4arch9wavefront6targetE0EEEvS14_
	.p2align	8
	.type	_ZN7rocprim17ROCPRIM_400000_NS6detail17trampoline_kernelINS0_14default_configENS1_22reduce_config_selectorIN6thrust23THRUST_200600_302600_NS5tupleIblNS6_9null_typeES8_S8_S8_S8_S8_S8_S8_EEEEZNS1_11reduce_implILb1ES3_NS6_12zip_iteratorINS7_INS6_11hip_rocprim26transform_input_iterator_tIbNSD_35transform_pair_of_input_iterators_tIbNS6_6detail15normal_iteratorINS6_10device_ptrIKjEEEESL_NS6_8equal_toIjEEEENSG_9not_fun_tINSD_8identityEEEEENSD_19counting_iterator_tIlEES8_S8_S8_S8_S8_S8_S8_S8_EEEEPS9_S9_NSD_9__find_if7functorIS9_EEEE10hipError_tPvRmT1_T2_T3_mT4_P12ihipStream_tbEUlT_E0_NS1_11comp_targetILNS1_3genE10ELNS1_11target_archE1200ELNS1_3gpuE4ELNS1_3repE0EEENS1_30default_config_static_selectorELNS0_4arch9wavefront6targetE0EEEvS14_,@function
_ZN7rocprim17ROCPRIM_400000_NS6detail17trampoline_kernelINS0_14default_configENS1_22reduce_config_selectorIN6thrust23THRUST_200600_302600_NS5tupleIblNS6_9null_typeES8_S8_S8_S8_S8_S8_S8_EEEEZNS1_11reduce_implILb1ES3_NS6_12zip_iteratorINS7_INS6_11hip_rocprim26transform_input_iterator_tIbNSD_35transform_pair_of_input_iterators_tIbNS6_6detail15normal_iteratorINS6_10device_ptrIKjEEEESL_NS6_8equal_toIjEEEENSG_9not_fun_tINSD_8identityEEEEENSD_19counting_iterator_tIlEES8_S8_S8_S8_S8_S8_S8_S8_EEEEPS9_S9_NSD_9__find_if7functorIS9_EEEE10hipError_tPvRmT1_T2_T3_mT4_P12ihipStream_tbEUlT_E0_NS1_11comp_targetILNS1_3genE10ELNS1_11target_archE1200ELNS1_3gpuE4ELNS1_3repE0EEENS1_30default_config_static_selectorELNS0_4arch9wavefront6targetE0EEEvS14_: ; @_ZN7rocprim17ROCPRIM_400000_NS6detail17trampoline_kernelINS0_14default_configENS1_22reduce_config_selectorIN6thrust23THRUST_200600_302600_NS5tupleIblNS6_9null_typeES8_S8_S8_S8_S8_S8_S8_EEEEZNS1_11reduce_implILb1ES3_NS6_12zip_iteratorINS7_INS6_11hip_rocprim26transform_input_iterator_tIbNSD_35transform_pair_of_input_iterators_tIbNS6_6detail15normal_iteratorINS6_10device_ptrIKjEEEESL_NS6_8equal_toIjEEEENSG_9not_fun_tINSD_8identityEEEEENSD_19counting_iterator_tIlEES8_S8_S8_S8_S8_S8_S8_S8_EEEEPS9_S9_NSD_9__find_if7functorIS9_EEEE10hipError_tPvRmT1_T2_T3_mT4_P12ihipStream_tbEUlT_E0_NS1_11comp_targetILNS1_3genE10ELNS1_11target_archE1200ELNS1_3gpuE4ELNS1_3repE0EEENS1_30default_config_static_selectorELNS0_4arch9wavefront6targetE0EEEvS14_
; %bb.0:
	.section	.rodata,"a",@progbits
	.p2align	6, 0x0
	.amdhsa_kernel _ZN7rocprim17ROCPRIM_400000_NS6detail17trampoline_kernelINS0_14default_configENS1_22reduce_config_selectorIN6thrust23THRUST_200600_302600_NS5tupleIblNS6_9null_typeES8_S8_S8_S8_S8_S8_S8_EEEEZNS1_11reduce_implILb1ES3_NS6_12zip_iteratorINS7_INS6_11hip_rocprim26transform_input_iterator_tIbNSD_35transform_pair_of_input_iterators_tIbNS6_6detail15normal_iteratorINS6_10device_ptrIKjEEEESL_NS6_8equal_toIjEEEENSG_9not_fun_tINSD_8identityEEEEENSD_19counting_iterator_tIlEES8_S8_S8_S8_S8_S8_S8_S8_EEEEPS9_S9_NSD_9__find_if7functorIS9_EEEE10hipError_tPvRmT1_T2_T3_mT4_P12ihipStream_tbEUlT_E0_NS1_11comp_targetILNS1_3genE10ELNS1_11target_archE1200ELNS1_3gpuE4ELNS1_3repE0EEENS1_30default_config_static_selectorELNS0_4arch9wavefront6targetE0EEEvS14_
		.amdhsa_group_segment_fixed_size 0
		.amdhsa_private_segment_fixed_size 0
		.amdhsa_kernarg_size 104
		.amdhsa_user_sgpr_count 15
		.amdhsa_user_sgpr_dispatch_ptr 0
		.amdhsa_user_sgpr_queue_ptr 0
		.amdhsa_user_sgpr_kernarg_segment_ptr 1
		.amdhsa_user_sgpr_dispatch_id 0
		.amdhsa_user_sgpr_private_segment_size 0
		.amdhsa_wavefront_size32 1
		.amdhsa_uses_dynamic_stack 0
		.amdhsa_enable_private_segment 0
		.amdhsa_system_sgpr_workgroup_id_x 1
		.amdhsa_system_sgpr_workgroup_id_y 0
		.amdhsa_system_sgpr_workgroup_id_z 0
		.amdhsa_system_sgpr_workgroup_info 0
		.amdhsa_system_vgpr_workitem_id 0
		.amdhsa_next_free_vgpr 1
		.amdhsa_next_free_sgpr 1
		.amdhsa_reserve_vcc 0
		.amdhsa_float_round_mode_32 0
		.amdhsa_float_round_mode_16_64 0
		.amdhsa_float_denorm_mode_32 3
		.amdhsa_float_denorm_mode_16_64 3
		.amdhsa_dx10_clamp 1
		.amdhsa_ieee_mode 1
		.amdhsa_fp16_overflow 0
		.amdhsa_workgroup_processor_mode 1
		.amdhsa_memory_ordered 1
		.amdhsa_forward_progress 0
		.amdhsa_shared_vgpr_count 0
		.amdhsa_exception_fp_ieee_invalid_op 0
		.amdhsa_exception_fp_denorm_src 0
		.amdhsa_exception_fp_ieee_div_zero 0
		.amdhsa_exception_fp_ieee_overflow 0
		.amdhsa_exception_fp_ieee_underflow 0
		.amdhsa_exception_fp_ieee_inexact 0
		.amdhsa_exception_int_div_zero 0
	.end_amdhsa_kernel
	.section	.text._ZN7rocprim17ROCPRIM_400000_NS6detail17trampoline_kernelINS0_14default_configENS1_22reduce_config_selectorIN6thrust23THRUST_200600_302600_NS5tupleIblNS6_9null_typeES8_S8_S8_S8_S8_S8_S8_EEEEZNS1_11reduce_implILb1ES3_NS6_12zip_iteratorINS7_INS6_11hip_rocprim26transform_input_iterator_tIbNSD_35transform_pair_of_input_iterators_tIbNS6_6detail15normal_iteratorINS6_10device_ptrIKjEEEESL_NS6_8equal_toIjEEEENSG_9not_fun_tINSD_8identityEEEEENSD_19counting_iterator_tIlEES8_S8_S8_S8_S8_S8_S8_S8_EEEEPS9_S9_NSD_9__find_if7functorIS9_EEEE10hipError_tPvRmT1_T2_T3_mT4_P12ihipStream_tbEUlT_E0_NS1_11comp_targetILNS1_3genE10ELNS1_11target_archE1200ELNS1_3gpuE4ELNS1_3repE0EEENS1_30default_config_static_selectorELNS0_4arch9wavefront6targetE0EEEvS14_,"axG",@progbits,_ZN7rocprim17ROCPRIM_400000_NS6detail17trampoline_kernelINS0_14default_configENS1_22reduce_config_selectorIN6thrust23THRUST_200600_302600_NS5tupleIblNS6_9null_typeES8_S8_S8_S8_S8_S8_S8_EEEEZNS1_11reduce_implILb1ES3_NS6_12zip_iteratorINS7_INS6_11hip_rocprim26transform_input_iterator_tIbNSD_35transform_pair_of_input_iterators_tIbNS6_6detail15normal_iteratorINS6_10device_ptrIKjEEEESL_NS6_8equal_toIjEEEENSG_9not_fun_tINSD_8identityEEEEENSD_19counting_iterator_tIlEES8_S8_S8_S8_S8_S8_S8_S8_EEEEPS9_S9_NSD_9__find_if7functorIS9_EEEE10hipError_tPvRmT1_T2_T3_mT4_P12ihipStream_tbEUlT_E0_NS1_11comp_targetILNS1_3genE10ELNS1_11target_archE1200ELNS1_3gpuE4ELNS1_3repE0EEENS1_30default_config_static_selectorELNS0_4arch9wavefront6targetE0EEEvS14_,comdat
.Lfunc_end489:
	.size	_ZN7rocprim17ROCPRIM_400000_NS6detail17trampoline_kernelINS0_14default_configENS1_22reduce_config_selectorIN6thrust23THRUST_200600_302600_NS5tupleIblNS6_9null_typeES8_S8_S8_S8_S8_S8_S8_EEEEZNS1_11reduce_implILb1ES3_NS6_12zip_iteratorINS7_INS6_11hip_rocprim26transform_input_iterator_tIbNSD_35transform_pair_of_input_iterators_tIbNS6_6detail15normal_iteratorINS6_10device_ptrIKjEEEESL_NS6_8equal_toIjEEEENSG_9not_fun_tINSD_8identityEEEEENSD_19counting_iterator_tIlEES8_S8_S8_S8_S8_S8_S8_S8_EEEEPS9_S9_NSD_9__find_if7functorIS9_EEEE10hipError_tPvRmT1_T2_T3_mT4_P12ihipStream_tbEUlT_E0_NS1_11comp_targetILNS1_3genE10ELNS1_11target_archE1200ELNS1_3gpuE4ELNS1_3repE0EEENS1_30default_config_static_selectorELNS0_4arch9wavefront6targetE0EEEvS14_, .Lfunc_end489-_ZN7rocprim17ROCPRIM_400000_NS6detail17trampoline_kernelINS0_14default_configENS1_22reduce_config_selectorIN6thrust23THRUST_200600_302600_NS5tupleIblNS6_9null_typeES8_S8_S8_S8_S8_S8_S8_EEEEZNS1_11reduce_implILb1ES3_NS6_12zip_iteratorINS7_INS6_11hip_rocprim26transform_input_iterator_tIbNSD_35transform_pair_of_input_iterators_tIbNS6_6detail15normal_iteratorINS6_10device_ptrIKjEEEESL_NS6_8equal_toIjEEEENSG_9not_fun_tINSD_8identityEEEEENSD_19counting_iterator_tIlEES8_S8_S8_S8_S8_S8_S8_S8_EEEEPS9_S9_NSD_9__find_if7functorIS9_EEEE10hipError_tPvRmT1_T2_T3_mT4_P12ihipStream_tbEUlT_E0_NS1_11comp_targetILNS1_3genE10ELNS1_11target_archE1200ELNS1_3gpuE4ELNS1_3repE0EEENS1_30default_config_static_selectorELNS0_4arch9wavefront6targetE0EEEvS14_
                                        ; -- End function
	.section	.AMDGPU.csdata,"",@progbits
; Kernel info:
; codeLenInByte = 0
; NumSgprs: 0
; NumVgprs: 0
; ScratchSize: 0
; MemoryBound: 0
; FloatMode: 240
; IeeeMode: 1
; LDSByteSize: 0 bytes/workgroup (compile time only)
; SGPRBlocks: 0
; VGPRBlocks: 0
; NumSGPRsForWavesPerEU: 1
; NumVGPRsForWavesPerEU: 1
; Occupancy: 16
; WaveLimiterHint : 0
; COMPUTE_PGM_RSRC2:SCRATCH_EN: 0
; COMPUTE_PGM_RSRC2:USER_SGPR: 15
; COMPUTE_PGM_RSRC2:TRAP_HANDLER: 0
; COMPUTE_PGM_RSRC2:TGID_X_EN: 1
; COMPUTE_PGM_RSRC2:TGID_Y_EN: 0
; COMPUTE_PGM_RSRC2:TGID_Z_EN: 0
; COMPUTE_PGM_RSRC2:TIDIG_COMP_CNT: 0
	.section	.text._ZN7rocprim17ROCPRIM_400000_NS6detail17trampoline_kernelINS0_14default_configENS1_22reduce_config_selectorIN6thrust23THRUST_200600_302600_NS5tupleIblNS6_9null_typeES8_S8_S8_S8_S8_S8_S8_EEEEZNS1_11reduce_implILb1ES3_NS6_12zip_iteratorINS7_INS6_11hip_rocprim26transform_input_iterator_tIbNSD_35transform_pair_of_input_iterators_tIbNS6_6detail15normal_iteratorINS6_10device_ptrIKjEEEESL_NS6_8equal_toIjEEEENSG_9not_fun_tINSD_8identityEEEEENSD_19counting_iterator_tIlEES8_S8_S8_S8_S8_S8_S8_S8_EEEEPS9_S9_NSD_9__find_if7functorIS9_EEEE10hipError_tPvRmT1_T2_T3_mT4_P12ihipStream_tbEUlT_E0_NS1_11comp_targetILNS1_3genE9ELNS1_11target_archE1100ELNS1_3gpuE3ELNS1_3repE0EEENS1_30default_config_static_selectorELNS0_4arch9wavefront6targetE0EEEvS14_,"axG",@progbits,_ZN7rocprim17ROCPRIM_400000_NS6detail17trampoline_kernelINS0_14default_configENS1_22reduce_config_selectorIN6thrust23THRUST_200600_302600_NS5tupleIblNS6_9null_typeES8_S8_S8_S8_S8_S8_S8_EEEEZNS1_11reduce_implILb1ES3_NS6_12zip_iteratorINS7_INS6_11hip_rocprim26transform_input_iterator_tIbNSD_35transform_pair_of_input_iterators_tIbNS6_6detail15normal_iteratorINS6_10device_ptrIKjEEEESL_NS6_8equal_toIjEEEENSG_9not_fun_tINSD_8identityEEEEENSD_19counting_iterator_tIlEES8_S8_S8_S8_S8_S8_S8_S8_EEEEPS9_S9_NSD_9__find_if7functorIS9_EEEE10hipError_tPvRmT1_T2_T3_mT4_P12ihipStream_tbEUlT_E0_NS1_11comp_targetILNS1_3genE9ELNS1_11target_archE1100ELNS1_3gpuE3ELNS1_3repE0EEENS1_30default_config_static_selectorELNS0_4arch9wavefront6targetE0EEEvS14_,comdat
	.protected	_ZN7rocprim17ROCPRIM_400000_NS6detail17trampoline_kernelINS0_14default_configENS1_22reduce_config_selectorIN6thrust23THRUST_200600_302600_NS5tupleIblNS6_9null_typeES8_S8_S8_S8_S8_S8_S8_EEEEZNS1_11reduce_implILb1ES3_NS6_12zip_iteratorINS7_INS6_11hip_rocprim26transform_input_iterator_tIbNSD_35transform_pair_of_input_iterators_tIbNS6_6detail15normal_iteratorINS6_10device_ptrIKjEEEESL_NS6_8equal_toIjEEEENSG_9not_fun_tINSD_8identityEEEEENSD_19counting_iterator_tIlEES8_S8_S8_S8_S8_S8_S8_S8_EEEEPS9_S9_NSD_9__find_if7functorIS9_EEEE10hipError_tPvRmT1_T2_T3_mT4_P12ihipStream_tbEUlT_E0_NS1_11comp_targetILNS1_3genE9ELNS1_11target_archE1100ELNS1_3gpuE3ELNS1_3repE0EEENS1_30default_config_static_selectorELNS0_4arch9wavefront6targetE0EEEvS14_ ; -- Begin function _ZN7rocprim17ROCPRIM_400000_NS6detail17trampoline_kernelINS0_14default_configENS1_22reduce_config_selectorIN6thrust23THRUST_200600_302600_NS5tupleIblNS6_9null_typeES8_S8_S8_S8_S8_S8_S8_EEEEZNS1_11reduce_implILb1ES3_NS6_12zip_iteratorINS7_INS6_11hip_rocprim26transform_input_iterator_tIbNSD_35transform_pair_of_input_iterators_tIbNS6_6detail15normal_iteratorINS6_10device_ptrIKjEEEESL_NS6_8equal_toIjEEEENSG_9not_fun_tINSD_8identityEEEEENSD_19counting_iterator_tIlEES8_S8_S8_S8_S8_S8_S8_S8_EEEEPS9_S9_NSD_9__find_if7functorIS9_EEEE10hipError_tPvRmT1_T2_T3_mT4_P12ihipStream_tbEUlT_E0_NS1_11comp_targetILNS1_3genE9ELNS1_11target_archE1100ELNS1_3gpuE3ELNS1_3repE0EEENS1_30default_config_static_selectorELNS0_4arch9wavefront6targetE0EEEvS14_
	.globl	_ZN7rocprim17ROCPRIM_400000_NS6detail17trampoline_kernelINS0_14default_configENS1_22reduce_config_selectorIN6thrust23THRUST_200600_302600_NS5tupleIblNS6_9null_typeES8_S8_S8_S8_S8_S8_S8_EEEEZNS1_11reduce_implILb1ES3_NS6_12zip_iteratorINS7_INS6_11hip_rocprim26transform_input_iterator_tIbNSD_35transform_pair_of_input_iterators_tIbNS6_6detail15normal_iteratorINS6_10device_ptrIKjEEEESL_NS6_8equal_toIjEEEENSG_9not_fun_tINSD_8identityEEEEENSD_19counting_iterator_tIlEES8_S8_S8_S8_S8_S8_S8_S8_EEEEPS9_S9_NSD_9__find_if7functorIS9_EEEE10hipError_tPvRmT1_T2_T3_mT4_P12ihipStream_tbEUlT_E0_NS1_11comp_targetILNS1_3genE9ELNS1_11target_archE1100ELNS1_3gpuE3ELNS1_3repE0EEENS1_30default_config_static_selectorELNS0_4arch9wavefront6targetE0EEEvS14_
	.p2align	8
	.type	_ZN7rocprim17ROCPRIM_400000_NS6detail17trampoline_kernelINS0_14default_configENS1_22reduce_config_selectorIN6thrust23THRUST_200600_302600_NS5tupleIblNS6_9null_typeES8_S8_S8_S8_S8_S8_S8_EEEEZNS1_11reduce_implILb1ES3_NS6_12zip_iteratorINS7_INS6_11hip_rocprim26transform_input_iterator_tIbNSD_35transform_pair_of_input_iterators_tIbNS6_6detail15normal_iteratorINS6_10device_ptrIKjEEEESL_NS6_8equal_toIjEEEENSG_9not_fun_tINSD_8identityEEEEENSD_19counting_iterator_tIlEES8_S8_S8_S8_S8_S8_S8_S8_EEEEPS9_S9_NSD_9__find_if7functorIS9_EEEE10hipError_tPvRmT1_T2_T3_mT4_P12ihipStream_tbEUlT_E0_NS1_11comp_targetILNS1_3genE9ELNS1_11target_archE1100ELNS1_3gpuE3ELNS1_3repE0EEENS1_30default_config_static_selectorELNS0_4arch9wavefront6targetE0EEEvS14_,@function
_ZN7rocprim17ROCPRIM_400000_NS6detail17trampoline_kernelINS0_14default_configENS1_22reduce_config_selectorIN6thrust23THRUST_200600_302600_NS5tupleIblNS6_9null_typeES8_S8_S8_S8_S8_S8_S8_EEEEZNS1_11reduce_implILb1ES3_NS6_12zip_iteratorINS7_INS6_11hip_rocprim26transform_input_iterator_tIbNSD_35transform_pair_of_input_iterators_tIbNS6_6detail15normal_iteratorINS6_10device_ptrIKjEEEESL_NS6_8equal_toIjEEEENSG_9not_fun_tINSD_8identityEEEEENSD_19counting_iterator_tIlEES8_S8_S8_S8_S8_S8_S8_S8_EEEEPS9_S9_NSD_9__find_if7functorIS9_EEEE10hipError_tPvRmT1_T2_T3_mT4_P12ihipStream_tbEUlT_E0_NS1_11comp_targetILNS1_3genE9ELNS1_11target_archE1100ELNS1_3gpuE3ELNS1_3repE0EEENS1_30default_config_static_selectorELNS0_4arch9wavefront6targetE0EEEvS14_: ; @_ZN7rocprim17ROCPRIM_400000_NS6detail17trampoline_kernelINS0_14default_configENS1_22reduce_config_selectorIN6thrust23THRUST_200600_302600_NS5tupleIblNS6_9null_typeES8_S8_S8_S8_S8_S8_S8_EEEEZNS1_11reduce_implILb1ES3_NS6_12zip_iteratorINS7_INS6_11hip_rocprim26transform_input_iterator_tIbNSD_35transform_pair_of_input_iterators_tIbNS6_6detail15normal_iteratorINS6_10device_ptrIKjEEEESL_NS6_8equal_toIjEEEENSG_9not_fun_tINSD_8identityEEEEENSD_19counting_iterator_tIlEES8_S8_S8_S8_S8_S8_S8_S8_EEEEPS9_S9_NSD_9__find_if7functorIS9_EEEE10hipError_tPvRmT1_T2_T3_mT4_P12ihipStream_tbEUlT_E0_NS1_11comp_targetILNS1_3genE9ELNS1_11target_archE1100ELNS1_3gpuE3ELNS1_3repE0EEENS1_30default_config_static_selectorELNS0_4arch9wavefront6targetE0EEEvS14_
; %bb.0:
	s_clause 0x1
	s_load_b256 s[4:11], s[0:1], 0x20
	s_load_b128 s[24:27], s[0:1], 0x0
	s_mov_b32 s16, s15
	s_load_b128 s[12:15], s[0:1], 0x40
	s_mov_b32 s23, 0
	v_lshlrev_b32_e32 v9, 2, v0
	s_mov_b32 s17, s23
	s_waitcnt lgkmcnt(0)
	s_lshl_b64 s[2:3], s[6:7], 2
	s_delay_alu instid0(SALU_CYCLE_1)
	s_add_u32 s18, s24, s2
	s_addc_u32 s19, s25, s3
	s_add_u32 s20, s26, s2
	s_addc_u32 s21, s27, s3
	s_lshl_b32 s22, s16, 10
	s_lshr_b64 s[24:25], s[8:9], 10
	s_lshl_b64 s[2:3], s[22:23], 2
	s_delay_alu instid0(SALU_CYCLE_1)
	s_add_u32 s18, s18, s2
	s_addc_u32 s19, s19, s3
	s_add_u32 s20, s20, s2
	s_addc_u32 s21, s21, s3
	;; [unrolled: 2-line block ×4, first 2 shown]
	s_cmp_lg_u64 s[24:25], s[16:17]
	s_cbranch_scc0 .LBB490_16
; %bb.1:
	s_clause 0x7
	global_load_b32 v1, v9, s[20:21] offset:1024
	global_load_b32 v2, v9, s[18:19] offset:1024
	global_load_b32 v3, v9, s[18:19]
	global_load_b32 v4, v9, s[20:21]
	global_load_b32 v5, v9, s[18:19] offset:2048
	global_load_b32 v6, v9, s[20:21] offset:2048
	;; [unrolled: 1-line block ×4, first 2 shown]
	v_mov_b32_e32 v10, 0x100
	s_waitcnt vmcnt(6)
	v_cmp_ne_u32_e32 vcc_lo, v2, v1
	s_waitcnt vmcnt(4)
	v_cmp_ne_u32_e64 s2, v3, v4
	s_waitcnt vmcnt(2)
	v_cmp_ne_u32_e64 s3, v5, v6
	v_cndmask_b32_e32 v1, 0x200, v10, vcc_lo
	s_waitcnt vmcnt(0)
	v_cmp_ne_u32_e64 s4, v8, v7
	s_delay_alu instid0(VALU_DEP_2) | instskip(SKIP_1) | instid1(SALU_CYCLE_1)
	v_cndmask_b32_e64 v1, v1, 0, s2
	s_or_b32 s2, s2, vcc_lo
	s_or_b32 vcc_lo, s2, s3
	v_add_co_u32 v2, s2, s5, v0
	s_delay_alu instid0(VALU_DEP_2) | instskip(SKIP_3) | instid1(VALU_DEP_3)
	v_cndmask_b32_e32 v1, 0x300, v1, vcc_lo
	s_or_b32 s3, vcc_lo, s4
	v_add_co_ci_u32_e64 v3, null, s23, 0, s2
	v_cndmask_b32_e64 v5, 0, 1, s3
	v_add_co_u32 v1, vcc_lo, v2, v1
	s_delay_alu instid0(VALU_DEP_3) | instskip(NEXT) | instid1(VALU_DEP_3)
	v_add_co_ci_u32_e32 v2, vcc_lo, 0, v3, vcc_lo
	v_mov_b32_dpp v6, v5 quad_perm:[1,0,3,2] row_mask:0xf bank_mask:0xf
	s_delay_alu instid0(VALU_DEP_3) | instskip(SKIP_1) | instid1(VALU_DEP_3)
	v_mov_b32_dpp v3, v1 quad_perm:[1,0,3,2] row_mask:0xf bank_mask:0xf
	s_mov_b32 s4, exec_lo
	v_mov_b32_dpp v4, v2 quad_perm:[1,0,3,2] row_mask:0xf bank_mask:0xf
	s_delay_alu instid0(VALU_DEP_3) | instskip(NEXT) | instid1(VALU_DEP_1)
	v_and_b32_e32 v7, 1, v6
	v_cmpx_eq_u32_e32 1, v7
; %bb.2:
	v_cndmask_b32_e64 v5, v6, 1, s3
	s_delay_alu instid0(VALU_DEP_4) | instskip(NEXT) | instid1(VALU_DEP_2)
	v_cmp_lt_i64_e32 vcc_lo, v[1:2], v[3:4]
	v_and_b32_e32 v6, 1, v5
	v_and_b32_e32 v5, 0xff, v5
	s_and_b32 vcc_lo, s3, vcc_lo
	s_and_not1_b32 s3, s3, exec_lo
	v_dual_cndmask_b32 v2, v4, v2 :: v_dual_cndmask_b32 v1, v3, v1
	v_cmp_eq_u32_e64 s2, 1, v6
	s_delay_alu instid0(VALU_DEP_1) | instskip(NEXT) | instid1(SALU_CYCLE_1)
	s_and_b32 s2, s2, exec_lo
	s_or_b32 s3, s3, s2
; %bb.3:
	s_or_b32 exec_lo, exec_lo, s4
	v_mov_b32_dpp v6, v5 quad_perm:[2,3,0,1] row_mask:0xf bank_mask:0xf
	v_mov_b32_dpp v3, v1 quad_perm:[2,3,0,1] row_mask:0xf bank_mask:0xf
	;; [unrolled: 1-line block ×3, first 2 shown]
	s_mov_b32 s4, exec_lo
	s_delay_alu instid0(VALU_DEP_3) | instskip(NEXT) | instid1(VALU_DEP_1)
	v_and_b32_e32 v7, 1, v6
	v_cmpx_eq_u32_e32 1, v7
; %bb.4:
	v_cndmask_b32_e64 v5, v6, 1, s3
	v_cmp_lt_i64_e32 vcc_lo, v[1:2], v[3:4]
	s_delay_alu instid0(VALU_DEP_2)
	v_and_b32_e32 v6, 1, v5
	v_and_b32_e32 v5, 0xff, v5
	s_and_b32 vcc_lo, s3, vcc_lo
	s_and_not1_b32 s3, s3, exec_lo
	v_dual_cndmask_b32 v2, v4, v2 :: v_dual_cndmask_b32 v1, v3, v1
	v_cmp_eq_u32_e64 s2, 1, v6
	s_delay_alu instid0(VALU_DEP_1) | instskip(NEXT) | instid1(SALU_CYCLE_1)
	s_and_b32 s2, s2, exec_lo
	s_or_b32 s3, s3, s2
; %bb.5:
	s_or_b32 exec_lo, exec_lo, s4
	v_mov_b32_dpp v6, v5 row_ror:4 row_mask:0xf bank_mask:0xf
	v_mov_b32_dpp v3, v1 row_ror:4 row_mask:0xf bank_mask:0xf
	;; [unrolled: 1-line block ×3, first 2 shown]
	s_mov_b32 s4, exec_lo
	s_delay_alu instid0(VALU_DEP_3) | instskip(NEXT) | instid1(VALU_DEP_1)
	v_and_b32_e32 v7, 1, v6
	v_cmpx_eq_u32_e32 1, v7
; %bb.6:
	v_cndmask_b32_e64 v5, v6, 1, s3
	v_cmp_lt_i64_e32 vcc_lo, v[1:2], v[3:4]
	s_delay_alu instid0(VALU_DEP_2)
	v_and_b32_e32 v6, 1, v5
	v_and_b32_e32 v5, 0xff, v5
	s_and_b32 vcc_lo, s3, vcc_lo
	s_and_not1_b32 s3, s3, exec_lo
	v_dual_cndmask_b32 v2, v4, v2 :: v_dual_cndmask_b32 v1, v3, v1
	v_cmp_eq_u32_e64 s2, 1, v6
	s_delay_alu instid0(VALU_DEP_1) | instskip(NEXT) | instid1(SALU_CYCLE_1)
	s_and_b32 s2, s2, exec_lo
	s_or_b32 s3, s3, s2
; %bb.7:
	s_or_b32 exec_lo, exec_lo, s4
	v_mov_b32_dpp v6, v5 row_ror:8 row_mask:0xf bank_mask:0xf
	v_mov_b32_dpp v3, v1 row_ror:8 row_mask:0xf bank_mask:0xf
	;; [unrolled: 1-line block ×3, first 2 shown]
	s_mov_b32 s4, exec_lo
	s_delay_alu instid0(VALU_DEP_3) | instskip(NEXT) | instid1(VALU_DEP_1)
	v_and_b32_e32 v7, 1, v6
	v_cmpx_eq_u32_e32 1, v7
; %bb.8:
	v_cndmask_b32_e64 v5, v6, 1, s3
	v_cmp_lt_i64_e32 vcc_lo, v[1:2], v[3:4]
	s_delay_alu instid0(VALU_DEP_2)
	v_and_b32_e32 v6, 1, v5
	v_and_b32_e32 v5, 0xff, v5
	s_and_b32 vcc_lo, s3, vcc_lo
	s_and_not1_b32 s3, s3, exec_lo
	v_dual_cndmask_b32 v2, v4, v2 :: v_dual_cndmask_b32 v1, v3, v1
	v_cmp_eq_u32_e64 s2, 1, v6
	s_delay_alu instid0(VALU_DEP_1) | instskip(NEXT) | instid1(SALU_CYCLE_1)
	s_and_b32 s2, s2, exec_lo
	s_or_b32 s3, s3, s2
; %bb.9:
	s_or_b32 exec_lo, exec_lo, s4
	ds_swizzle_b32 v6, v5 offset:swizzle(BROADCAST,32,15)
	ds_swizzle_b32 v3, v1 offset:swizzle(BROADCAST,32,15)
	;; [unrolled: 1-line block ×3, first 2 shown]
	s_mov_b32 s2, exec_lo
	s_waitcnt lgkmcnt(2)
	v_and_b32_e32 v7, 1, v6
	s_delay_alu instid0(VALU_DEP_1)
	v_cmpx_eq_u32_e32 1, v7
	s_cbranch_execz .LBB490_11
; %bb.10:
	s_waitcnt lgkmcnt(0)
	v_cmp_lt_i64_e32 vcc_lo, v[1:2], v[3:4]
	v_and_b32_e32 v5, 0xff, v6
	s_delay_alu instid0(VALU_DEP_1)
	v_cndmask_b32_e64 v5, v5, 1, s3
	s_and_b32 vcc_lo, s3, vcc_lo
	v_dual_cndmask_b32 v1, v3, v1 :: v_dual_cndmask_b32 v2, v4, v2
.LBB490_11:
	s_or_b32 exec_lo, exec_lo, s2
	s_waitcnt lgkmcnt(1)
	v_mov_b32_e32 v3, 0
	s_mov_b32 s2, exec_lo
	ds_bpermute_b32 v6, v3, v5 offset:124
	ds_bpermute_b32 v1, v3, v1 offset:124
	;; [unrolled: 1-line block ×3, first 2 shown]
	v_mbcnt_lo_u32_b32 v3, -1, 0
	s_delay_alu instid0(VALU_DEP_1)
	v_cmpx_eq_u32_e32 0, v3
	s_cbranch_execz .LBB490_13
; %bb.12:
	s_waitcnt lgkmcnt(3)
	v_lshrrev_b32_e32 v4, 1, v0
	s_delay_alu instid0(VALU_DEP_1)
	v_and_b32_e32 v4, 0x70, v4
	s_waitcnt lgkmcnt(2)
	ds_store_b8 v4, v6
	s_waitcnt lgkmcnt(1)
	ds_store_b64 v4, v[1:2] offset:8
.LBB490_13:
	s_or_b32 exec_lo, exec_lo, s2
	s_delay_alu instid0(SALU_CYCLE_1)
	s_mov_b32 s4, exec_lo
	s_waitcnt lgkmcnt(0)
	s_barrier
	buffer_gl0_inv
	v_cmpx_gt_u32_e32 32, v0
	s_cbranch_execz .LBB490_15
; %bb.14:
	v_and_b32_e32 v6, 7, v3
	s_delay_alu instid0(VALU_DEP_1)
	v_lshlrev_b32_e32 v1, 4, v6
	v_cmp_ne_u32_e32 vcc_lo, 7, v6
	ds_load_u8 v7, v1
	ds_load_b64 v[1:2], v1 offset:8
	v_add_co_ci_u32_e32 v4, vcc_lo, 0, v3, vcc_lo
	v_cmp_gt_u32_e32 vcc_lo, 6, v6
	s_delay_alu instid0(VALU_DEP_2)
	v_lshlrev_b32_e32 v5, 2, v4
	v_cndmask_b32_e64 v11, 0, 1, vcc_lo
	s_waitcnt lgkmcnt(1)
	v_and_b32_e32 v4, 0xff, v7
	v_and_b32_e32 v12, 1, v7
	ds_bpermute_b32 v8, v5, v4
	s_waitcnt lgkmcnt(1)
	ds_bpermute_b32 v4, v5, v1
	ds_bpermute_b32 v5, v5, v2
	v_cmp_eq_u32_e64 s3, 1, v12
	s_waitcnt lgkmcnt(2)
	v_and_b32_e32 v10, 1, v8
	s_waitcnt lgkmcnt(0)
	v_cmp_lt_i64_e64 s2, v[4:5], v[1:2]
	s_delay_alu instid0(VALU_DEP_2) | instskip(SKIP_2) | instid1(VALU_DEP_4)
	v_cmp_eq_u32_e32 vcc_lo, 1, v10
	v_lshlrev_b32_e32 v10, 1, v11
	v_cndmask_b32_e64 v7, v7, 1, vcc_lo
	s_and_b32 vcc_lo, vcc_lo, s2
	v_dual_cndmask_b32 v1, v1, v4 :: v_dual_cndmask_b32 v2, v2, v5
	s_delay_alu instid0(VALU_DEP_2) | instskip(SKIP_2) | instid1(VALU_DEP_4)
	v_cndmask_b32_e64 v7, v8, v7, s3
	v_add_lshl_u32 v8, v10, v3, 2
	v_cmp_gt_u32_e32 vcc_lo, 4, v6
	v_cndmask_b32_e64 v1, v4, v1, s3
	v_cndmask_b32_e64 v2, v5, v2, s3
	v_and_b32_e32 v10, 0xff, v7
	v_cndmask_b32_e64 v6, 0, 1, vcc_lo
	ds_bpermute_b32 v4, v8, v1
	ds_bpermute_b32 v5, v8, v2
	ds_bpermute_b32 v10, v8, v10
	v_and_b32_e32 v11, 1, v7
	v_lshlrev_b32_e32 v6, 2, v6
	s_delay_alu instid0(VALU_DEP_1) | instskip(SKIP_4) | instid1(VALU_DEP_1)
	v_add_lshl_u32 v6, v6, v3, 2
	s_waitcnt lgkmcnt(1)
	v_cmp_lt_i64_e64 s2, v[4:5], v[1:2]
	s_waitcnt lgkmcnt(0)
	v_and_b32_e32 v8, 1, v10
	v_cmp_eq_u32_e32 vcc_lo, 1, v8
	v_cndmask_b32_e64 v7, v7, 1, vcc_lo
	s_delay_alu instid0(VALU_DEP_4) | instskip(SKIP_3) | instid1(VALU_DEP_2)
	s_and_b32 vcc_lo, vcc_lo, s2
	v_cndmask_b32_e32 v2, v2, v5, vcc_lo
	v_cmp_eq_u32_e64 s3, 1, v11
	v_cndmask_b32_e32 v1, v1, v4, vcc_lo
	v_cndmask_b32_e64 v7, v10, v7, s3
	s_delay_alu instid0(VALU_DEP_4) | instskip(NEXT) | instid1(VALU_DEP_3)
	v_cndmask_b32_e64 v2, v5, v2, s3
	v_cndmask_b32_e64 v1, v4, v1, s3
	ds_bpermute_b32 v4, v6, v2
	v_and_b32_e32 v3, 0xff, v7
	ds_bpermute_b32 v5, v6, v3
	ds_bpermute_b32 v3, v6, v1
	s_waitcnt lgkmcnt(1)
	v_and_b32_e32 v6, 1, v5
	s_waitcnt lgkmcnt(0)
	v_cmp_lt_i64_e32 vcc_lo, v[3:4], v[1:2]
	s_delay_alu instid0(VALU_DEP_2) | instskip(SKIP_1) | instid1(VALU_DEP_2)
	v_cmp_eq_u32_e64 s2, 1, v6
	v_and_b32_e32 v6, 1, v7
	v_cndmask_b32_e64 v7, v7, 1, s2
	s_and_b32 vcc_lo, s2, vcc_lo
	s_delay_alu instid0(VALU_DEP_2) | instskip(SKIP_1) | instid1(VALU_DEP_2)
	v_cmp_eq_u32_e64 s2, 1, v6
	v_dual_cndmask_b32 v2, v2, v4 :: v_dual_cndmask_b32 v1, v1, v3
	v_cndmask_b32_e64 v5, v5, v7, s2
	s_delay_alu instid0(VALU_DEP_2) | instskip(NEXT) | instid1(VALU_DEP_3)
	v_cndmask_b32_e64 v2, v4, v2, s2
	v_cndmask_b32_e64 v1, v3, v1, s2
	s_delay_alu instid0(VALU_DEP_3)
	v_and_b32_e32 v6, 0xff, v5
.LBB490_15:
	s_or_b32 exec_lo, exec_lo, s4
	s_load_b64 s[6:7], s[0:1], 0x58
	s_branch .LBB490_49
.LBB490_16:
                                        ; implicit-def: $vgpr1_vgpr2
                                        ; implicit-def: $vgpr6
	s_load_b64 s[6:7], s[0:1], 0x58
	s_cbranch_execz .LBB490_49
; %bb.17:
	v_dual_mov_b32 v5, 0 :: v_dual_mov_b32 v12, 0
	v_mov_b32_e32 v6, 0
	s_delay_alu instid0(VALU_DEP_2) | instskip(SKIP_2) | instid1(VALU_DEP_2)
	v_dual_mov_b32 v1, v5 :: v_dual_mov_b32 v10, 0
	s_sub_i32 s22, s8, s22
	s_mov_b32 s2, exec_lo
	v_mov_b32_e32 v2, v6
	v_cmpx_gt_u32_e64 s22, v0
	s_cbranch_execz .LBB490_19
; %bb.18:
	s_clause 0x1
	global_load_b32 v3, v9, s[18:19]
	global_load_b32 v4, v9, s[20:21]
	v_add_co_u32 v1, s3, s5, v0
	s_delay_alu instid0(VALU_DEP_1)
	v_add_co_ci_u32_e64 v2, null, s23, 0, s3
	s_waitcnt vmcnt(0)
	v_cmp_ne_u32_e32 vcc_lo, v3, v4
	v_cndmask_b32_e64 v10, 0, 1, vcc_lo
.LBB490_19:
	s_or_b32 exec_lo, exec_lo, s2
	v_or_b32_e32 v3, 0x100, v0
	s_delay_alu instid0(VALU_DEP_1) | instskip(NEXT) | instid1(VALU_DEP_1)
	v_cmp_gt_u32_e64 s3, s22, v3
	s_and_saveexec_b32 s2, s3
	s_cbranch_execz .LBB490_21
; %bb.20:
	s_clause 0x1
	global_load_b32 v4, v9, s[18:19] offset:1024
	global_load_b32 v7, v9, s[20:21] offset:1024
	v_add_co_u32 v5, s4, s5, v3
	s_delay_alu instid0(VALU_DEP_1)
	v_add_co_ci_u32_e64 v6, null, s23, 0, s4
	s_waitcnt vmcnt(0)
	v_cmp_ne_u32_e32 vcc_lo, v4, v7
	v_cndmask_b32_e64 v12, 0, 1, vcc_lo
.LBB490_21:
	s_or_b32 exec_lo, exec_lo, s2
	v_mov_b32_e32 v3, 0
	v_dual_mov_b32 v4, 0 :: v_dual_mov_b32 v11, 0
	v_or_b32_e32 v14, 0x200, v0
	s_delay_alu instid0(VALU_DEP_2) | instskip(NEXT) | instid1(VALU_DEP_4)
	v_dual_mov_b32 v13, 0 :: v_dual_mov_b32 v8, v4
	v_mov_b32_e32 v7, v3
	s_delay_alu instid0(VALU_DEP_3) | instskip(NEXT) | instid1(VALU_DEP_1)
	v_cmp_gt_u32_e64 s2, s22, v14
	s_and_saveexec_b32 s4, s2
	s_cbranch_execz .LBB490_23
; %bb.22:
	s_clause 0x1
	global_load_b32 v13, v9, s[18:19] offset:2048
	global_load_b32 v15, v9, s[20:21] offset:2048
	v_add_co_u32 v7, s24, s5, v14
	s_delay_alu instid0(VALU_DEP_1)
	v_add_co_ci_u32_e64 v8, null, s23, 0, s24
	s_waitcnt vmcnt(0)
	v_cmp_ne_u32_e32 vcc_lo, v13, v15
	v_cndmask_b32_e64 v13, 0, 1, vcc_lo
.LBB490_23:
	s_or_b32 exec_lo, exec_lo, s4
	v_or_b32_e32 v14, 0x300, v0
	s_delay_alu instid0(VALU_DEP_1)
	v_cmp_gt_u32_e32 vcc_lo, s22, v14
	s_and_saveexec_b32 s24, vcc_lo
	s_cbranch_execnz .LBB490_52
; %bb.24:
	s_or_b32 exec_lo, exec_lo, s24
	s_and_saveexec_b32 s5, s3
	s_cbranch_execnz .LBB490_53
.LBB490_25:
	s_or_b32 exec_lo, exec_lo, s5
	s_and_saveexec_b32 s4, s2
	s_cbranch_execnz .LBB490_54
.LBB490_26:
	s_or_b32 exec_lo, exec_lo, s4
	s_and_saveexec_b32 s3, vcc_lo
.LBB490_27:
	v_and_b32_e32 v5, 1, v11
	v_cmp_lt_i64_e32 vcc_lo, v[3:4], v[1:2]
	s_delay_alu instid0(VALU_DEP_2) | instskip(SKIP_1) | instid1(VALU_DEP_2)
	v_cmp_eq_u32_e64 s2, 1, v5
	v_and_b32_e32 v5, 1, v10
	s_and_b32 vcc_lo, s2, vcc_lo
	v_cndmask_b32_e64 v6, v10, 1, s2
	v_dual_cndmask_b32 v2, v2, v4 :: v_dual_cndmask_b32 v1, v1, v3
	s_delay_alu instid0(VALU_DEP_3) | instskip(NEXT) | instid1(VALU_DEP_3)
	v_cmp_eq_u32_e32 vcc_lo, 1, v5
	v_cndmask_b32_e32 v10, v11, v6, vcc_lo
	s_delay_alu instid0(VALU_DEP_3)
	v_dual_cndmask_b32 v2, v4, v2 :: v_dual_cndmask_b32 v1, v3, v1
.LBB490_28:
	s_or_b32 exec_lo, exec_lo, s3
	v_mbcnt_lo_u32_b32 v5, -1, 0
	v_and_b32_e32 v7, 0xe0, v0
	s_min_u32 s3, s22, 0x100
	v_and_b32_e32 v6, 0xffff, v10
	s_delay_alu instid0(VALU_DEP_3) | instskip(NEXT) | instid1(VALU_DEP_3)
	v_cmp_ne_u32_e32 vcc_lo, 31, v5
	v_sub_nc_u32_e64 v8, s3, v7 clamp
	v_add_nc_u32_e32 v7, 1, v5
	v_add_co_ci_u32_e32 v3, vcc_lo, 0, v5, vcc_lo
	s_delay_alu instid0(VALU_DEP_2) | instskip(NEXT) | instid1(VALU_DEP_2)
	v_cmp_lt_u32_e32 vcc_lo, v7, v8
	v_dual_mov_b32 v7, v6 :: v_dual_lshlrev_b32 v4, 2, v3
	ds_bpermute_b32 v9, v4, v6
	ds_bpermute_b32 v3, v4, v1
	;; [unrolled: 1-line block ×3, first 2 shown]
	s_and_saveexec_b32 s2, vcc_lo
	s_delay_alu instid0(SALU_CYCLE_1)
	s_xor_b32 s4, exec_lo, s2
	s_cbranch_execz .LBB490_30
; %bb.29:
	s_waitcnt lgkmcnt(0)
	v_and_b32_e32 v7, 1, v9
	v_cmp_lt_i64_e32 vcc_lo, v[3:4], v[1:2]
	s_delay_alu instid0(VALU_DEP_2) | instskip(SKIP_1) | instid1(VALU_DEP_2)
	v_cmp_eq_u32_e64 s2, 1, v7
	v_and_b32_e32 v7, 1, v10
	v_cndmask_b32_e64 v6, v6, 1, s2
	s_and_b32 vcc_lo, s2, vcc_lo
	s_delay_alu instid0(VALU_DEP_2) | instskip(SKIP_1) | instid1(VALU_DEP_2)
	v_cmp_eq_u32_e64 s2, 1, v7
	v_dual_cndmask_b32 v2, v2, v4 :: v_dual_cndmask_b32 v1, v1, v3
	v_cndmask_b32_e64 v7, v9, v6, s2
	s_delay_alu instid0(VALU_DEP_2) | instskip(NEXT) | instid1(VALU_DEP_3)
	v_cndmask_b32_e64 v2, v4, v2, s2
	v_cndmask_b32_e64 v1, v3, v1, s2
	s_delay_alu instid0(VALU_DEP_3)
	v_and_b32_e32 v6, 0xff, v7
.LBB490_30:
	s_or_b32 exec_lo, exec_lo, s4
	v_cmp_gt_u32_e32 vcc_lo, 30, v5
	v_add_nc_u32_e32 v10, 2, v5
	s_mov_b32 s4, exec_lo
	s_waitcnt lgkmcnt(0)
	v_cndmask_b32_e64 v3, 0, 1, vcc_lo
	s_delay_alu instid0(VALU_DEP_1) | instskip(NEXT) | instid1(VALU_DEP_1)
	v_lshlrev_b32_e32 v3, 1, v3
	v_add_lshl_u32 v4, v3, v5, 2
	ds_bpermute_b32 v9, v4, v6
	ds_bpermute_b32 v3, v4, v1
	ds_bpermute_b32 v4, v4, v2
	v_cmpx_lt_u32_e64 v10, v8
	s_cbranch_execz .LBB490_32
; %bb.31:
	s_waitcnt lgkmcnt(2)
	v_and_b32_e32 v6, 1, v9
	s_waitcnt lgkmcnt(0)
	v_cmp_lt_i64_e32 vcc_lo, v[3:4], v[1:2]
	s_delay_alu instid0(VALU_DEP_2) | instskip(SKIP_1) | instid1(VALU_DEP_2)
	v_cmp_eq_u32_e64 s2, 1, v6
	v_and_b32_e32 v6, 1, v7
	v_cndmask_b32_e64 v7, v7, 1, s2
	s_and_b32 vcc_lo, s2, vcc_lo
	s_delay_alu instid0(VALU_DEP_2) | instskip(SKIP_1) | instid1(VALU_DEP_2)
	v_cmp_eq_u32_e64 s2, 1, v6
	v_dual_cndmask_b32 v1, v1, v3 :: v_dual_cndmask_b32 v2, v2, v4
	v_cndmask_b32_e64 v7, v9, v7, s2
	s_delay_alu instid0(VALU_DEP_2) | instskip(NEXT) | instid1(VALU_DEP_3)
	v_cndmask_b32_e64 v1, v3, v1, s2
	v_cndmask_b32_e64 v2, v4, v2, s2
	s_delay_alu instid0(VALU_DEP_3)
	v_and_b32_e32 v6, 0xff, v7
.LBB490_32:
	s_or_b32 exec_lo, exec_lo, s4
	v_cmp_gt_u32_e32 vcc_lo, 28, v5
	v_add_nc_u32_e32 v10, 4, v5
	s_mov_b32 s4, exec_lo
	s_waitcnt lgkmcnt(1)
	v_cndmask_b32_e64 v3, 0, 1, vcc_lo
	s_delay_alu instid0(VALU_DEP_1) | instskip(SKIP_1) | instid1(VALU_DEP_1)
	v_lshlrev_b32_e32 v3, 2, v3
	s_waitcnt lgkmcnt(0)
	v_add_lshl_u32 v4, v3, v5, 2
	ds_bpermute_b32 v9, v4, v6
	ds_bpermute_b32 v3, v4, v1
	ds_bpermute_b32 v4, v4, v2
	v_cmpx_lt_u32_e64 v10, v8
	s_cbranch_execz .LBB490_34
; %bb.33:
	s_waitcnt lgkmcnt(2)
	v_and_b32_e32 v6, 1, v9
	s_waitcnt lgkmcnt(0)
	v_cmp_lt_i64_e32 vcc_lo, v[3:4], v[1:2]
	s_delay_alu instid0(VALU_DEP_2) | instskip(SKIP_1) | instid1(VALU_DEP_2)
	v_cmp_eq_u32_e64 s2, 1, v6
	v_and_b32_e32 v6, 1, v7
	v_cndmask_b32_e64 v7, v7, 1, s2
	s_and_b32 vcc_lo, s2, vcc_lo
	s_delay_alu instid0(VALU_DEP_2) | instskip(SKIP_1) | instid1(VALU_DEP_2)
	v_cmp_eq_u32_e64 s2, 1, v6
	v_dual_cndmask_b32 v1, v1, v3 :: v_dual_cndmask_b32 v2, v2, v4
	v_cndmask_b32_e64 v7, v9, v7, s2
	s_delay_alu instid0(VALU_DEP_2) | instskip(NEXT) | instid1(VALU_DEP_3)
	v_cndmask_b32_e64 v1, v3, v1, s2
	v_cndmask_b32_e64 v2, v4, v2, s2
	s_delay_alu instid0(VALU_DEP_3)
	v_and_b32_e32 v6, 0xff, v7
.LBB490_34:
	s_or_b32 exec_lo, exec_lo, s4
	v_cmp_gt_u32_e32 vcc_lo, 24, v5
	v_add_nc_u32_e32 v10, 8, v5
	s_mov_b32 s4, exec_lo
	s_waitcnt lgkmcnt(1)
	v_cndmask_b32_e64 v3, 0, 1, vcc_lo
	s_delay_alu instid0(VALU_DEP_1) | instskip(SKIP_1) | instid1(VALU_DEP_1)
	v_lshlrev_b32_e32 v3, 3, v3
	s_waitcnt lgkmcnt(0)
	;; [unrolled: 35-line block ×3, first 2 shown]
	v_add_lshl_u32 v4, v3, v5, 2
	ds_bpermute_b32 v9, v4, v6
	ds_bpermute_b32 v3, v4, v1
	;; [unrolled: 1-line block ×3, first 2 shown]
	v_cmpx_lt_u32_e64 v10, v8
	s_cbranch_execz .LBB490_38
; %bb.37:
	s_waitcnt lgkmcnt(2)
	v_and_b32_e32 v6, 1, v9
	s_waitcnt lgkmcnt(0)
	v_cmp_lt_i64_e32 vcc_lo, v[3:4], v[1:2]
	s_delay_alu instid0(VALU_DEP_2) | instskip(SKIP_1) | instid1(VALU_DEP_2)
	v_cmp_eq_u32_e64 s2, 1, v6
	v_and_b32_e32 v6, 1, v7
	v_cndmask_b32_e64 v7, v7, 1, s2
	s_and_b32 vcc_lo, s2, vcc_lo
	s_delay_alu instid0(VALU_DEP_2) | instskip(SKIP_1) | instid1(VALU_DEP_2)
	v_cmp_eq_u32_e64 s2, 1, v6
	v_dual_cndmask_b32 v1, v1, v3 :: v_dual_cndmask_b32 v2, v2, v4
	v_cndmask_b32_e64 v7, v9, v7, s2
	s_delay_alu instid0(VALU_DEP_2) | instskip(NEXT) | instid1(VALU_DEP_3)
	v_cndmask_b32_e64 v1, v3, v1, s2
	v_cndmask_b32_e64 v2, v4, v2, s2
	s_delay_alu instid0(VALU_DEP_3)
	v_and_b32_e32 v6, 0xff, v7
.LBB490_38:
	s_or_b32 exec_lo, exec_lo, s4
	s_delay_alu instid0(SALU_CYCLE_1)
	s_mov_b32 s2, exec_lo
	v_cmpx_eq_u32_e32 0, v5
	s_cbranch_execz .LBB490_40
; %bb.39:
	s_waitcnt lgkmcnt(1)
	v_lshrrev_b32_e32 v3, 1, v0
	s_delay_alu instid0(VALU_DEP_1)
	v_and_b32_e32 v3, 0x70, v3
	ds_store_b8 v3, v7 offset:128
	ds_store_b64 v3, v[1:2] offset:136
.LBB490_40:
	s_or_b32 exec_lo, exec_lo, s2
	s_delay_alu instid0(SALU_CYCLE_1)
	s_mov_b32 s4, exec_lo
	s_waitcnt lgkmcnt(0)
	s_barrier
	buffer_gl0_inv
	v_cmpx_gt_u32_e32 8, v0
	s_cbranch_execz .LBB490_48
; %bb.41:
	v_lshlrev_b32_e32 v1, 4, v5
	v_and_b32_e32 v8, 7, v5
	s_add_i32 s3, s3, 31
	s_mov_b32 s5, exec_lo
	s_lshr_b32 s3, s3, 5
	ds_load_u8 v7, v1 offset:128
	ds_load_b64 v[1:2], v1 offset:136
	v_cmp_ne_u32_e32 vcc_lo, 7, v8
	v_add_nc_u32_e32 v10, 1, v8
	v_add_co_ci_u32_e32 v3, vcc_lo, 0, v5, vcc_lo
	s_delay_alu instid0(VALU_DEP_1)
	v_lshlrev_b32_e32 v4, 2, v3
	s_waitcnt lgkmcnt(1)
	v_and_b32_e32 v6, 0xff, v7
	s_waitcnt lgkmcnt(0)
	ds_bpermute_b32 v3, v4, v1
	ds_bpermute_b32 v9, v4, v6
	;; [unrolled: 1-line block ×3, first 2 shown]
	v_cmpx_gt_u32_e64 s3, v10
	s_cbranch_execz .LBB490_43
; %bb.42:
	s_waitcnt lgkmcnt(1)
	v_and_b32_e32 v6, 1, v9
	s_waitcnt lgkmcnt(0)
	v_cmp_lt_i64_e32 vcc_lo, v[3:4], v[1:2]
	s_delay_alu instid0(VALU_DEP_2) | instskip(SKIP_1) | instid1(VALU_DEP_2)
	v_cmp_eq_u32_e64 s2, 1, v6
	v_and_b32_e32 v6, 1, v7
	v_cndmask_b32_e64 v7, v7, 1, s2
	s_and_b32 vcc_lo, s2, vcc_lo
	s_delay_alu instid0(VALU_DEP_2) | instskip(SKIP_1) | instid1(VALU_DEP_2)
	v_cmp_eq_u32_e64 s2, 1, v6
	v_dual_cndmask_b32 v1, v1, v3 :: v_dual_cndmask_b32 v2, v2, v4
	v_cndmask_b32_e64 v7, v9, v7, s2
	s_delay_alu instid0(VALU_DEP_2) | instskip(NEXT) | instid1(VALU_DEP_3)
	v_cndmask_b32_e64 v1, v3, v1, s2
	v_cndmask_b32_e64 v2, v4, v2, s2
	s_delay_alu instid0(VALU_DEP_3)
	v_and_b32_e32 v6, 0xff, v7
.LBB490_43:
	s_or_b32 exec_lo, exec_lo, s5
	v_cmp_gt_u32_e32 vcc_lo, 6, v8
	v_add_nc_u32_e32 v10, 2, v8
	s_mov_b32 s5, exec_lo
	s_waitcnt lgkmcnt(2)
	v_cndmask_b32_e64 v3, 0, 1, vcc_lo
	s_delay_alu instid0(VALU_DEP_1) | instskip(SKIP_1) | instid1(VALU_DEP_1)
	v_lshlrev_b32_e32 v3, 1, v3
	s_waitcnt lgkmcnt(0)
	v_add_lshl_u32 v4, v3, v5, 2
	ds_bpermute_b32 v9, v4, v6
	ds_bpermute_b32 v3, v4, v1
	;; [unrolled: 1-line block ×3, first 2 shown]
	v_cmpx_gt_u32_e64 s3, v10
	s_cbranch_execz .LBB490_45
; %bb.44:
	s_waitcnt lgkmcnt(2)
	v_and_b32_e32 v6, 1, v9
	s_waitcnt lgkmcnt(0)
	v_cmp_lt_i64_e32 vcc_lo, v[3:4], v[1:2]
	s_delay_alu instid0(VALU_DEP_2) | instskip(SKIP_1) | instid1(VALU_DEP_2)
	v_cmp_eq_u32_e64 s2, 1, v6
	v_and_b32_e32 v6, 1, v7
	v_cndmask_b32_e64 v7, v7, 1, s2
	s_and_b32 vcc_lo, s2, vcc_lo
	s_delay_alu instid0(VALU_DEP_2) | instskip(SKIP_1) | instid1(VALU_DEP_2)
	v_cmp_eq_u32_e64 s2, 1, v6
	v_dual_cndmask_b32 v1, v1, v3 :: v_dual_cndmask_b32 v2, v2, v4
	v_cndmask_b32_e64 v7, v9, v7, s2
	s_delay_alu instid0(VALU_DEP_2) | instskip(NEXT) | instid1(VALU_DEP_3)
	v_cndmask_b32_e64 v1, v3, v1, s2
	v_cndmask_b32_e64 v2, v4, v2, s2
	s_delay_alu instid0(VALU_DEP_3)
	v_and_b32_e32 v6, 0xff, v7
.LBB490_45:
	s_or_b32 exec_lo, exec_lo, s5
	v_cmp_gt_u32_e32 vcc_lo, 4, v8
	v_add_nc_u32_e32 v8, 4, v8
	s_waitcnt lgkmcnt(1)
	v_cndmask_b32_e64 v3, 0, 1, vcc_lo
	s_delay_alu instid0(VALU_DEP_2) | instskip(NEXT) | instid1(VALU_DEP_2)
	v_cmp_gt_u32_e32 vcc_lo, s3, v8
	v_lshlrev_b32_e32 v3, 2, v3
	s_waitcnt lgkmcnt(0)
	s_delay_alu instid0(VALU_DEP_1)
	v_add_lshl_u32 v4, v3, v5, 2
	ds_bpermute_b32 v5, v4, v6
	ds_bpermute_b32 v3, v4, v1
	;; [unrolled: 1-line block ×3, first 2 shown]
	s_and_saveexec_b32 s3, vcc_lo
	s_cbranch_execz .LBB490_47
; %bb.46:
	s_waitcnt lgkmcnt(2)
	v_and_b32_e32 v6, 1, v5
	s_waitcnt lgkmcnt(0)
	v_cmp_lt_i64_e32 vcc_lo, v[3:4], v[1:2]
	s_delay_alu instid0(VALU_DEP_2) | instskip(SKIP_1) | instid1(VALU_DEP_2)
	v_cmp_eq_u32_e64 s2, 1, v6
	v_and_b32_e32 v6, 1, v7
	v_cndmask_b32_e64 v7, v7, 1, s2
	s_and_b32 vcc_lo, s2, vcc_lo
	s_delay_alu instid0(VALU_DEP_2) | instskip(SKIP_1) | instid1(VALU_DEP_2)
	v_cmp_eq_u32_e64 s2, 1, v6
	v_dual_cndmask_b32 v1, v1, v3 :: v_dual_cndmask_b32 v2, v2, v4
	v_cndmask_b32_e64 v5, v5, v7, s2
	s_delay_alu instid0(VALU_DEP_2) | instskip(NEXT) | instid1(VALU_DEP_3)
	v_cndmask_b32_e64 v1, v3, v1, s2
	v_cndmask_b32_e64 v2, v4, v2, s2
	s_delay_alu instid0(VALU_DEP_3)
	v_and_b32_e32 v6, 0xff, v5
.LBB490_47:
	s_or_b32 exec_lo, exec_lo, s3
.LBB490_48:
	s_delay_alu instid0(SALU_CYCLE_1)
	s_or_b32 exec_lo, exec_lo, s4
.LBB490_49:
	s_load_b32 s0, s[0:1], 0x50
	s_mov_b32 s1, exec_lo
	v_cmpx_eq_u32_e32 0, v0
	s_cbranch_execz .LBB490_51
; %bb.50:
	s_mul_i32 s1, s14, s13
	s_mul_hi_u32 s2, s14, s12
	s_mul_i32 s3, s15, s12
	s_add_i32 s1, s2, s1
	s_mul_i32 s2, s14, s12
	s_add_i32 s3, s1, s3
	v_mov_b32_e32 v0, 0
	s_lshl_b64 s[2:3], s[2:3], 4
	s_delay_alu instid0(SALU_CYCLE_1)
	s_add_u32 s1, s10, s2
	s_addc_u32 s4, s11, s3
	s_cmp_eq_u64 s[8:9], 0
	s_cselect_b32 s5, -1, 0
	s_lshl_b64 s[2:3], s[16:17], 4
	s_waitcnt lgkmcnt(0)
	v_cndmask_b32_e64 v3, v6, s0, s5
	v_cndmask_b32_e64 v2, v2, s7, s5
	;; [unrolled: 1-line block ×3, first 2 shown]
	s_add_u32 s0, s1, s2
	s_addc_u32 s1, s4, s3
	s_clause 0x1
	global_store_b8 v0, v3, s[0:1]
	global_store_b64 v0, v[1:2], s[0:1] offset:8
.LBB490_51:
	s_nop 0
	s_sendmsg sendmsg(MSG_DEALLOC_VGPRS)
	s_endpgm
.LBB490_52:
	s_clause 0x1
	global_load_b32 v11, v9, s[18:19] offset:3072
	global_load_b32 v9, v9, s[20:21] offset:3072
	v_add_co_u32 v3, s4, s5, v14
	s_delay_alu instid0(VALU_DEP_1) | instskip(SKIP_2) | instid1(VALU_DEP_1)
	v_add_co_ci_u32_e64 v4, null, s23, 0, s4
	s_waitcnt vmcnt(0)
	v_cmp_ne_u32_e64 s4, v11, v9
	v_cndmask_b32_e64 v11, 0, 1, s4
	s_or_b32 exec_lo, exec_lo, s24
	s_and_saveexec_b32 s5, s3
	s_cbranch_execz .LBB490_25
.LBB490_53:
	v_and_b32_e32 v9, 1, v12
	v_cmp_lt_i64_e64 s3, v[5:6], v[1:2]
	s_delay_alu instid0(VALU_DEP_2) | instskip(SKIP_1) | instid1(VALU_DEP_2)
	v_cmp_eq_u32_e64 s4, 1, v9
	v_and_b32_e32 v9, 1, v10
	s_and_b32 s3, s4, s3
	v_cndmask_b32_e64 v10, v10, 1, s4
	v_cndmask_b32_e64 v1, v1, v5, s3
	;; [unrolled: 1-line block ×3, first 2 shown]
	v_cmp_eq_u32_e64 s3, 1, v9
	s_delay_alu instid0(VALU_DEP_1) | instskip(NEXT) | instid1(VALU_DEP_3)
	v_cndmask_b32_e64 v10, v12, v10, s3
	v_cndmask_b32_e64 v2, v6, v2, s3
	;; [unrolled: 1-line block ×3, first 2 shown]
	s_or_b32 exec_lo, exec_lo, s5
	s_and_saveexec_b32 s4, s2
	s_cbranch_execz .LBB490_26
.LBB490_54:
	v_and_b32_e32 v5, 1, v13
	v_cmp_lt_i64_e64 s2, v[7:8], v[1:2]
	s_delay_alu instid0(VALU_DEP_2) | instskip(SKIP_1) | instid1(VALU_DEP_2)
	v_cmp_eq_u32_e64 s3, 1, v5
	v_and_b32_e32 v5, 1, v10
	s_and_b32 s2, s3, s2
	v_cndmask_b32_e64 v6, v10, 1, s3
	v_cndmask_b32_e64 v1, v1, v7, s2
	;; [unrolled: 1-line block ×3, first 2 shown]
	v_cmp_eq_u32_e64 s2, 1, v5
	s_delay_alu instid0(VALU_DEP_1) | instskip(NEXT) | instid1(VALU_DEP_3)
	v_cndmask_b32_e64 v10, v13, v6, s2
	v_cndmask_b32_e64 v2, v8, v2, s2
	;; [unrolled: 1-line block ×3, first 2 shown]
	s_or_b32 exec_lo, exec_lo, s4
	s_and_saveexec_b32 s3, vcc_lo
	s_cbranch_execnz .LBB490_27
	s_branch .LBB490_28
	.section	.rodata,"a",@progbits
	.p2align	6, 0x0
	.amdhsa_kernel _ZN7rocprim17ROCPRIM_400000_NS6detail17trampoline_kernelINS0_14default_configENS1_22reduce_config_selectorIN6thrust23THRUST_200600_302600_NS5tupleIblNS6_9null_typeES8_S8_S8_S8_S8_S8_S8_EEEEZNS1_11reduce_implILb1ES3_NS6_12zip_iteratorINS7_INS6_11hip_rocprim26transform_input_iterator_tIbNSD_35transform_pair_of_input_iterators_tIbNS6_6detail15normal_iteratorINS6_10device_ptrIKjEEEESL_NS6_8equal_toIjEEEENSG_9not_fun_tINSD_8identityEEEEENSD_19counting_iterator_tIlEES8_S8_S8_S8_S8_S8_S8_S8_EEEEPS9_S9_NSD_9__find_if7functorIS9_EEEE10hipError_tPvRmT1_T2_T3_mT4_P12ihipStream_tbEUlT_E0_NS1_11comp_targetILNS1_3genE9ELNS1_11target_archE1100ELNS1_3gpuE3ELNS1_3repE0EEENS1_30default_config_static_selectorELNS0_4arch9wavefront6targetE0EEEvS14_
		.amdhsa_group_segment_fixed_size 256
		.amdhsa_private_segment_fixed_size 0
		.amdhsa_kernarg_size 104
		.amdhsa_user_sgpr_count 15
		.amdhsa_user_sgpr_dispatch_ptr 0
		.amdhsa_user_sgpr_queue_ptr 0
		.amdhsa_user_sgpr_kernarg_segment_ptr 1
		.amdhsa_user_sgpr_dispatch_id 0
		.amdhsa_user_sgpr_private_segment_size 0
		.amdhsa_wavefront_size32 1
		.amdhsa_uses_dynamic_stack 0
		.amdhsa_enable_private_segment 0
		.amdhsa_system_sgpr_workgroup_id_x 1
		.amdhsa_system_sgpr_workgroup_id_y 0
		.amdhsa_system_sgpr_workgroup_id_z 0
		.amdhsa_system_sgpr_workgroup_info 0
		.amdhsa_system_vgpr_workitem_id 0
		.amdhsa_next_free_vgpr 16
		.amdhsa_next_free_sgpr 28
		.amdhsa_reserve_vcc 1
		.amdhsa_float_round_mode_32 0
		.amdhsa_float_round_mode_16_64 0
		.amdhsa_float_denorm_mode_32 3
		.amdhsa_float_denorm_mode_16_64 3
		.amdhsa_dx10_clamp 1
		.amdhsa_ieee_mode 1
		.amdhsa_fp16_overflow 0
		.amdhsa_workgroup_processor_mode 1
		.amdhsa_memory_ordered 1
		.amdhsa_forward_progress 0
		.amdhsa_shared_vgpr_count 0
		.amdhsa_exception_fp_ieee_invalid_op 0
		.amdhsa_exception_fp_denorm_src 0
		.amdhsa_exception_fp_ieee_div_zero 0
		.amdhsa_exception_fp_ieee_overflow 0
		.amdhsa_exception_fp_ieee_underflow 0
		.amdhsa_exception_fp_ieee_inexact 0
		.amdhsa_exception_int_div_zero 0
	.end_amdhsa_kernel
	.section	.text._ZN7rocprim17ROCPRIM_400000_NS6detail17trampoline_kernelINS0_14default_configENS1_22reduce_config_selectorIN6thrust23THRUST_200600_302600_NS5tupleIblNS6_9null_typeES8_S8_S8_S8_S8_S8_S8_EEEEZNS1_11reduce_implILb1ES3_NS6_12zip_iteratorINS7_INS6_11hip_rocprim26transform_input_iterator_tIbNSD_35transform_pair_of_input_iterators_tIbNS6_6detail15normal_iteratorINS6_10device_ptrIKjEEEESL_NS6_8equal_toIjEEEENSG_9not_fun_tINSD_8identityEEEEENSD_19counting_iterator_tIlEES8_S8_S8_S8_S8_S8_S8_S8_EEEEPS9_S9_NSD_9__find_if7functorIS9_EEEE10hipError_tPvRmT1_T2_T3_mT4_P12ihipStream_tbEUlT_E0_NS1_11comp_targetILNS1_3genE9ELNS1_11target_archE1100ELNS1_3gpuE3ELNS1_3repE0EEENS1_30default_config_static_selectorELNS0_4arch9wavefront6targetE0EEEvS14_,"axG",@progbits,_ZN7rocprim17ROCPRIM_400000_NS6detail17trampoline_kernelINS0_14default_configENS1_22reduce_config_selectorIN6thrust23THRUST_200600_302600_NS5tupleIblNS6_9null_typeES8_S8_S8_S8_S8_S8_S8_EEEEZNS1_11reduce_implILb1ES3_NS6_12zip_iteratorINS7_INS6_11hip_rocprim26transform_input_iterator_tIbNSD_35transform_pair_of_input_iterators_tIbNS6_6detail15normal_iteratorINS6_10device_ptrIKjEEEESL_NS6_8equal_toIjEEEENSG_9not_fun_tINSD_8identityEEEEENSD_19counting_iterator_tIlEES8_S8_S8_S8_S8_S8_S8_S8_EEEEPS9_S9_NSD_9__find_if7functorIS9_EEEE10hipError_tPvRmT1_T2_T3_mT4_P12ihipStream_tbEUlT_E0_NS1_11comp_targetILNS1_3genE9ELNS1_11target_archE1100ELNS1_3gpuE3ELNS1_3repE0EEENS1_30default_config_static_selectorELNS0_4arch9wavefront6targetE0EEEvS14_,comdat
.Lfunc_end490:
	.size	_ZN7rocprim17ROCPRIM_400000_NS6detail17trampoline_kernelINS0_14default_configENS1_22reduce_config_selectorIN6thrust23THRUST_200600_302600_NS5tupleIblNS6_9null_typeES8_S8_S8_S8_S8_S8_S8_EEEEZNS1_11reduce_implILb1ES3_NS6_12zip_iteratorINS7_INS6_11hip_rocprim26transform_input_iterator_tIbNSD_35transform_pair_of_input_iterators_tIbNS6_6detail15normal_iteratorINS6_10device_ptrIKjEEEESL_NS6_8equal_toIjEEEENSG_9not_fun_tINSD_8identityEEEEENSD_19counting_iterator_tIlEES8_S8_S8_S8_S8_S8_S8_S8_EEEEPS9_S9_NSD_9__find_if7functorIS9_EEEE10hipError_tPvRmT1_T2_T3_mT4_P12ihipStream_tbEUlT_E0_NS1_11comp_targetILNS1_3genE9ELNS1_11target_archE1100ELNS1_3gpuE3ELNS1_3repE0EEENS1_30default_config_static_selectorELNS0_4arch9wavefront6targetE0EEEvS14_, .Lfunc_end490-_ZN7rocprim17ROCPRIM_400000_NS6detail17trampoline_kernelINS0_14default_configENS1_22reduce_config_selectorIN6thrust23THRUST_200600_302600_NS5tupleIblNS6_9null_typeES8_S8_S8_S8_S8_S8_S8_EEEEZNS1_11reduce_implILb1ES3_NS6_12zip_iteratorINS7_INS6_11hip_rocprim26transform_input_iterator_tIbNSD_35transform_pair_of_input_iterators_tIbNS6_6detail15normal_iteratorINS6_10device_ptrIKjEEEESL_NS6_8equal_toIjEEEENSG_9not_fun_tINSD_8identityEEEEENSD_19counting_iterator_tIlEES8_S8_S8_S8_S8_S8_S8_S8_EEEEPS9_S9_NSD_9__find_if7functorIS9_EEEE10hipError_tPvRmT1_T2_T3_mT4_P12ihipStream_tbEUlT_E0_NS1_11comp_targetILNS1_3genE9ELNS1_11target_archE1100ELNS1_3gpuE3ELNS1_3repE0EEENS1_30default_config_static_selectorELNS0_4arch9wavefront6targetE0EEEvS14_
                                        ; -- End function
	.section	.AMDGPU.csdata,"",@progbits
; Kernel info:
; codeLenInByte = 4024
; NumSgprs: 30
; NumVgprs: 16
; ScratchSize: 0
; MemoryBound: 0
; FloatMode: 240
; IeeeMode: 1
; LDSByteSize: 256 bytes/workgroup (compile time only)
; SGPRBlocks: 3
; VGPRBlocks: 1
; NumSGPRsForWavesPerEU: 30
; NumVGPRsForWavesPerEU: 16
; Occupancy: 16
; WaveLimiterHint : 0
; COMPUTE_PGM_RSRC2:SCRATCH_EN: 0
; COMPUTE_PGM_RSRC2:USER_SGPR: 15
; COMPUTE_PGM_RSRC2:TRAP_HANDLER: 0
; COMPUTE_PGM_RSRC2:TGID_X_EN: 1
; COMPUTE_PGM_RSRC2:TGID_Y_EN: 0
; COMPUTE_PGM_RSRC2:TGID_Z_EN: 0
; COMPUTE_PGM_RSRC2:TIDIG_COMP_CNT: 0
	.section	.text._ZN7rocprim17ROCPRIM_400000_NS6detail17trampoline_kernelINS0_14default_configENS1_22reduce_config_selectorIN6thrust23THRUST_200600_302600_NS5tupleIblNS6_9null_typeES8_S8_S8_S8_S8_S8_S8_EEEEZNS1_11reduce_implILb1ES3_NS6_12zip_iteratorINS7_INS6_11hip_rocprim26transform_input_iterator_tIbNSD_35transform_pair_of_input_iterators_tIbNS6_6detail15normal_iteratorINS6_10device_ptrIKjEEEESL_NS6_8equal_toIjEEEENSG_9not_fun_tINSD_8identityEEEEENSD_19counting_iterator_tIlEES8_S8_S8_S8_S8_S8_S8_S8_EEEEPS9_S9_NSD_9__find_if7functorIS9_EEEE10hipError_tPvRmT1_T2_T3_mT4_P12ihipStream_tbEUlT_E0_NS1_11comp_targetILNS1_3genE8ELNS1_11target_archE1030ELNS1_3gpuE2ELNS1_3repE0EEENS1_30default_config_static_selectorELNS0_4arch9wavefront6targetE0EEEvS14_,"axG",@progbits,_ZN7rocprim17ROCPRIM_400000_NS6detail17trampoline_kernelINS0_14default_configENS1_22reduce_config_selectorIN6thrust23THRUST_200600_302600_NS5tupleIblNS6_9null_typeES8_S8_S8_S8_S8_S8_S8_EEEEZNS1_11reduce_implILb1ES3_NS6_12zip_iteratorINS7_INS6_11hip_rocprim26transform_input_iterator_tIbNSD_35transform_pair_of_input_iterators_tIbNS6_6detail15normal_iteratorINS6_10device_ptrIKjEEEESL_NS6_8equal_toIjEEEENSG_9not_fun_tINSD_8identityEEEEENSD_19counting_iterator_tIlEES8_S8_S8_S8_S8_S8_S8_S8_EEEEPS9_S9_NSD_9__find_if7functorIS9_EEEE10hipError_tPvRmT1_T2_T3_mT4_P12ihipStream_tbEUlT_E0_NS1_11comp_targetILNS1_3genE8ELNS1_11target_archE1030ELNS1_3gpuE2ELNS1_3repE0EEENS1_30default_config_static_selectorELNS0_4arch9wavefront6targetE0EEEvS14_,comdat
	.protected	_ZN7rocprim17ROCPRIM_400000_NS6detail17trampoline_kernelINS0_14default_configENS1_22reduce_config_selectorIN6thrust23THRUST_200600_302600_NS5tupleIblNS6_9null_typeES8_S8_S8_S8_S8_S8_S8_EEEEZNS1_11reduce_implILb1ES3_NS6_12zip_iteratorINS7_INS6_11hip_rocprim26transform_input_iterator_tIbNSD_35transform_pair_of_input_iterators_tIbNS6_6detail15normal_iteratorINS6_10device_ptrIKjEEEESL_NS6_8equal_toIjEEEENSG_9not_fun_tINSD_8identityEEEEENSD_19counting_iterator_tIlEES8_S8_S8_S8_S8_S8_S8_S8_EEEEPS9_S9_NSD_9__find_if7functorIS9_EEEE10hipError_tPvRmT1_T2_T3_mT4_P12ihipStream_tbEUlT_E0_NS1_11comp_targetILNS1_3genE8ELNS1_11target_archE1030ELNS1_3gpuE2ELNS1_3repE0EEENS1_30default_config_static_selectorELNS0_4arch9wavefront6targetE0EEEvS14_ ; -- Begin function _ZN7rocprim17ROCPRIM_400000_NS6detail17trampoline_kernelINS0_14default_configENS1_22reduce_config_selectorIN6thrust23THRUST_200600_302600_NS5tupleIblNS6_9null_typeES8_S8_S8_S8_S8_S8_S8_EEEEZNS1_11reduce_implILb1ES3_NS6_12zip_iteratorINS7_INS6_11hip_rocprim26transform_input_iterator_tIbNSD_35transform_pair_of_input_iterators_tIbNS6_6detail15normal_iteratorINS6_10device_ptrIKjEEEESL_NS6_8equal_toIjEEEENSG_9not_fun_tINSD_8identityEEEEENSD_19counting_iterator_tIlEES8_S8_S8_S8_S8_S8_S8_S8_EEEEPS9_S9_NSD_9__find_if7functorIS9_EEEE10hipError_tPvRmT1_T2_T3_mT4_P12ihipStream_tbEUlT_E0_NS1_11comp_targetILNS1_3genE8ELNS1_11target_archE1030ELNS1_3gpuE2ELNS1_3repE0EEENS1_30default_config_static_selectorELNS0_4arch9wavefront6targetE0EEEvS14_
	.globl	_ZN7rocprim17ROCPRIM_400000_NS6detail17trampoline_kernelINS0_14default_configENS1_22reduce_config_selectorIN6thrust23THRUST_200600_302600_NS5tupleIblNS6_9null_typeES8_S8_S8_S8_S8_S8_S8_EEEEZNS1_11reduce_implILb1ES3_NS6_12zip_iteratorINS7_INS6_11hip_rocprim26transform_input_iterator_tIbNSD_35transform_pair_of_input_iterators_tIbNS6_6detail15normal_iteratorINS6_10device_ptrIKjEEEESL_NS6_8equal_toIjEEEENSG_9not_fun_tINSD_8identityEEEEENSD_19counting_iterator_tIlEES8_S8_S8_S8_S8_S8_S8_S8_EEEEPS9_S9_NSD_9__find_if7functorIS9_EEEE10hipError_tPvRmT1_T2_T3_mT4_P12ihipStream_tbEUlT_E0_NS1_11comp_targetILNS1_3genE8ELNS1_11target_archE1030ELNS1_3gpuE2ELNS1_3repE0EEENS1_30default_config_static_selectorELNS0_4arch9wavefront6targetE0EEEvS14_
	.p2align	8
	.type	_ZN7rocprim17ROCPRIM_400000_NS6detail17trampoline_kernelINS0_14default_configENS1_22reduce_config_selectorIN6thrust23THRUST_200600_302600_NS5tupleIblNS6_9null_typeES8_S8_S8_S8_S8_S8_S8_EEEEZNS1_11reduce_implILb1ES3_NS6_12zip_iteratorINS7_INS6_11hip_rocprim26transform_input_iterator_tIbNSD_35transform_pair_of_input_iterators_tIbNS6_6detail15normal_iteratorINS6_10device_ptrIKjEEEESL_NS6_8equal_toIjEEEENSG_9not_fun_tINSD_8identityEEEEENSD_19counting_iterator_tIlEES8_S8_S8_S8_S8_S8_S8_S8_EEEEPS9_S9_NSD_9__find_if7functorIS9_EEEE10hipError_tPvRmT1_T2_T3_mT4_P12ihipStream_tbEUlT_E0_NS1_11comp_targetILNS1_3genE8ELNS1_11target_archE1030ELNS1_3gpuE2ELNS1_3repE0EEENS1_30default_config_static_selectorELNS0_4arch9wavefront6targetE0EEEvS14_,@function
_ZN7rocprim17ROCPRIM_400000_NS6detail17trampoline_kernelINS0_14default_configENS1_22reduce_config_selectorIN6thrust23THRUST_200600_302600_NS5tupleIblNS6_9null_typeES8_S8_S8_S8_S8_S8_S8_EEEEZNS1_11reduce_implILb1ES3_NS6_12zip_iteratorINS7_INS6_11hip_rocprim26transform_input_iterator_tIbNSD_35transform_pair_of_input_iterators_tIbNS6_6detail15normal_iteratorINS6_10device_ptrIKjEEEESL_NS6_8equal_toIjEEEENSG_9not_fun_tINSD_8identityEEEEENSD_19counting_iterator_tIlEES8_S8_S8_S8_S8_S8_S8_S8_EEEEPS9_S9_NSD_9__find_if7functorIS9_EEEE10hipError_tPvRmT1_T2_T3_mT4_P12ihipStream_tbEUlT_E0_NS1_11comp_targetILNS1_3genE8ELNS1_11target_archE1030ELNS1_3gpuE2ELNS1_3repE0EEENS1_30default_config_static_selectorELNS0_4arch9wavefront6targetE0EEEvS14_: ; @_ZN7rocprim17ROCPRIM_400000_NS6detail17trampoline_kernelINS0_14default_configENS1_22reduce_config_selectorIN6thrust23THRUST_200600_302600_NS5tupleIblNS6_9null_typeES8_S8_S8_S8_S8_S8_S8_EEEEZNS1_11reduce_implILb1ES3_NS6_12zip_iteratorINS7_INS6_11hip_rocprim26transform_input_iterator_tIbNSD_35transform_pair_of_input_iterators_tIbNS6_6detail15normal_iteratorINS6_10device_ptrIKjEEEESL_NS6_8equal_toIjEEEENSG_9not_fun_tINSD_8identityEEEEENSD_19counting_iterator_tIlEES8_S8_S8_S8_S8_S8_S8_S8_EEEEPS9_S9_NSD_9__find_if7functorIS9_EEEE10hipError_tPvRmT1_T2_T3_mT4_P12ihipStream_tbEUlT_E0_NS1_11comp_targetILNS1_3genE8ELNS1_11target_archE1030ELNS1_3gpuE2ELNS1_3repE0EEENS1_30default_config_static_selectorELNS0_4arch9wavefront6targetE0EEEvS14_
; %bb.0:
	.section	.rodata,"a",@progbits
	.p2align	6, 0x0
	.amdhsa_kernel _ZN7rocprim17ROCPRIM_400000_NS6detail17trampoline_kernelINS0_14default_configENS1_22reduce_config_selectorIN6thrust23THRUST_200600_302600_NS5tupleIblNS6_9null_typeES8_S8_S8_S8_S8_S8_S8_EEEEZNS1_11reduce_implILb1ES3_NS6_12zip_iteratorINS7_INS6_11hip_rocprim26transform_input_iterator_tIbNSD_35transform_pair_of_input_iterators_tIbNS6_6detail15normal_iteratorINS6_10device_ptrIKjEEEESL_NS6_8equal_toIjEEEENSG_9not_fun_tINSD_8identityEEEEENSD_19counting_iterator_tIlEES8_S8_S8_S8_S8_S8_S8_S8_EEEEPS9_S9_NSD_9__find_if7functorIS9_EEEE10hipError_tPvRmT1_T2_T3_mT4_P12ihipStream_tbEUlT_E0_NS1_11comp_targetILNS1_3genE8ELNS1_11target_archE1030ELNS1_3gpuE2ELNS1_3repE0EEENS1_30default_config_static_selectorELNS0_4arch9wavefront6targetE0EEEvS14_
		.amdhsa_group_segment_fixed_size 0
		.amdhsa_private_segment_fixed_size 0
		.amdhsa_kernarg_size 104
		.amdhsa_user_sgpr_count 15
		.amdhsa_user_sgpr_dispatch_ptr 0
		.amdhsa_user_sgpr_queue_ptr 0
		.amdhsa_user_sgpr_kernarg_segment_ptr 1
		.amdhsa_user_sgpr_dispatch_id 0
		.amdhsa_user_sgpr_private_segment_size 0
		.amdhsa_wavefront_size32 1
		.amdhsa_uses_dynamic_stack 0
		.amdhsa_enable_private_segment 0
		.amdhsa_system_sgpr_workgroup_id_x 1
		.amdhsa_system_sgpr_workgroup_id_y 0
		.amdhsa_system_sgpr_workgroup_id_z 0
		.amdhsa_system_sgpr_workgroup_info 0
		.amdhsa_system_vgpr_workitem_id 0
		.amdhsa_next_free_vgpr 1
		.amdhsa_next_free_sgpr 1
		.amdhsa_reserve_vcc 0
		.amdhsa_float_round_mode_32 0
		.amdhsa_float_round_mode_16_64 0
		.amdhsa_float_denorm_mode_32 3
		.amdhsa_float_denorm_mode_16_64 3
		.amdhsa_dx10_clamp 1
		.amdhsa_ieee_mode 1
		.amdhsa_fp16_overflow 0
		.amdhsa_workgroup_processor_mode 1
		.amdhsa_memory_ordered 1
		.amdhsa_forward_progress 0
		.amdhsa_shared_vgpr_count 0
		.amdhsa_exception_fp_ieee_invalid_op 0
		.amdhsa_exception_fp_denorm_src 0
		.amdhsa_exception_fp_ieee_div_zero 0
		.amdhsa_exception_fp_ieee_overflow 0
		.amdhsa_exception_fp_ieee_underflow 0
		.amdhsa_exception_fp_ieee_inexact 0
		.amdhsa_exception_int_div_zero 0
	.end_amdhsa_kernel
	.section	.text._ZN7rocprim17ROCPRIM_400000_NS6detail17trampoline_kernelINS0_14default_configENS1_22reduce_config_selectorIN6thrust23THRUST_200600_302600_NS5tupleIblNS6_9null_typeES8_S8_S8_S8_S8_S8_S8_EEEEZNS1_11reduce_implILb1ES3_NS6_12zip_iteratorINS7_INS6_11hip_rocprim26transform_input_iterator_tIbNSD_35transform_pair_of_input_iterators_tIbNS6_6detail15normal_iteratorINS6_10device_ptrIKjEEEESL_NS6_8equal_toIjEEEENSG_9not_fun_tINSD_8identityEEEEENSD_19counting_iterator_tIlEES8_S8_S8_S8_S8_S8_S8_S8_EEEEPS9_S9_NSD_9__find_if7functorIS9_EEEE10hipError_tPvRmT1_T2_T3_mT4_P12ihipStream_tbEUlT_E0_NS1_11comp_targetILNS1_3genE8ELNS1_11target_archE1030ELNS1_3gpuE2ELNS1_3repE0EEENS1_30default_config_static_selectorELNS0_4arch9wavefront6targetE0EEEvS14_,"axG",@progbits,_ZN7rocprim17ROCPRIM_400000_NS6detail17trampoline_kernelINS0_14default_configENS1_22reduce_config_selectorIN6thrust23THRUST_200600_302600_NS5tupleIblNS6_9null_typeES8_S8_S8_S8_S8_S8_S8_EEEEZNS1_11reduce_implILb1ES3_NS6_12zip_iteratorINS7_INS6_11hip_rocprim26transform_input_iterator_tIbNSD_35transform_pair_of_input_iterators_tIbNS6_6detail15normal_iteratorINS6_10device_ptrIKjEEEESL_NS6_8equal_toIjEEEENSG_9not_fun_tINSD_8identityEEEEENSD_19counting_iterator_tIlEES8_S8_S8_S8_S8_S8_S8_S8_EEEEPS9_S9_NSD_9__find_if7functorIS9_EEEE10hipError_tPvRmT1_T2_T3_mT4_P12ihipStream_tbEUlT_E0_NS1_11comp_targetILNS1_3genE8ELNS1_11target_archE1030ELNS1_3gpuE2ELNS1_3repE0EEENS1_30default_config_static_selectorELNS0_4arch9wavefront6targetE0EEEvS14_,comdat
.Lfunc_end491:
	.size	_ZN7rocprim17ROCPRIM_400000_NS6detail17trampoline_kernelINS0_14default_configENS1_22reduce_config_selectorIN6thrust23THRUST_200600_302600_NS5tupleIblNS6_9null_typeES8_S8_S8_S8_S8_S8_S8_EEEEZNS1_11reduce_implILb1ES3_NS6_12zip_iteratorINS7_INS6_11hip_rocprim26transform_input_iterator_tIbNSD_35transform_pair_of_input_iterators_tIbNS6_6detail15normal_iteratorINS6_10device_ptrIKjEEEESL_NS6_8equal_toIjEEEENSG_9not_fun_tINSD_8identityEEEEENSD_19counting_iterator_tIlEES8_S8_S8_S8_S8_S8_S8_S8_EEEEPS9_S9_NSD_9__find_if7functorIS9_EEEE10hipError_tPvRmT1_T2_T3_mT4_P12ihipStream_tbEUlT_E0_NS1_11comp_targetILNS1_3genE8ELNS1_11target_archE1030ELNS1_3gpuE2ELNS1_3repE0EEENS1_30default_config_static_selectorELNS0_4arch9wavefront6targetE0EEEvS14_, .Lfunc_end491-_ZN7rocprim17ROCPRIM_400000_NS6detail17trampoline_kernelINS0_14default_configENS1_22reduce_config_selectorIN6thrust23THRUST_200600_302600_NS5tupleIblNS6_9null_typeES8_S8_S8_S8_S8_S8_S8_EEEEZNS1_11reduce_implILb1ES3_NS6_12zip_iteratorINS7_INS6_11hip_rocprim26transform_input_iterator_tIbNSD_35transform_pair_of_input_iterators_tIbNS6_6detail15normal_iteratorINS6_10device_ptrIKjEEEESL_NS6_8equal_toIjEEEENSG_9not_fun_tINSD_8identityEEEEENSD_19counting_iterator_tIlEES8_S8_S8_S8_S8_S8_S8_S8_EEEEPS9_S9_NSD_9__find_if7functorIS9_EEEE10hipError_tPvRmT1_T2_T3_mT4_P12ihipStream_tbEUlT_E0_NS1_11comp_targetILNS1_3genE8ELNS1_11target_archE1030ELNS1_3gpuE2ELNS1_3repE0EEENS1_30default_config_static_selectorELNS0_4arch9wavefront6targetE0EEEvS14_
                                        ; -- End function
	.section	.AMDGPU.csdata,"",@progbits
; Kernel info:
; codeLenInByte = 0
; NumSgprs: 0
; NumVgprs: 0
; ScratchSize: 0
; MemoryBound: 0
; FloatMode: 240
; IeeeMode: 1
; LDSByteSize: 0 bytes/workgroup (compile time only)
; SGPRBlocks: 0
; VGPRBlocks: 0
; NumSGPRsForWavesPerEU: 1
; NumVGPRsForWavesPerEU: 1
; Occupancy: 16
; WaveLimiterHint : 0
; COMPUTE_PGM_RSRC2:SCRATCH_EN: 0
; COMPUTE_PGM_RSRC2:USER_SGPR: 15
; COMPUTE_PGM_RSRC2:TRAP_HANDLER: 0
; COMPUTE_PGM_RSRC2:TGID_X_EN: 1
; COMPUTE_PGM_RSRC2:TGID_Y_EN: 0
; COMPUTE_PGM_RSRC2:TGID_Z_EN: 0
; COMPUTE_PGM_RSRC2:TIDIG_COMP_CNT: 0
	.section	.text._ZN7rocprim17ROCPRIM_400000_NS6detail17trampoline_kernelINS0_14default_configENS1_22reduce_config_selectorIN6thrust23THRUST_200600_302600_NS5tupleIblNS6_9null_typeES8_S8_S8_S8_S8_S8_S8_EEEEZNS1_11reduce_implILb1ES3_NS6_12zip_iteratorINS7_INS6_11hip_rocprim26transform_input_iterator_tIbNSD_35transform_pair_of_input_iterators_tIbNS6_6detail15normal_iteratorINS6_10device_ptrIKjEEEESL_NS6_8equal_toIjEEEENSG_9not_fun_tINSD_8identityEEEEENSD_19counting_iterator_tIlEES8_S8_S8_S8_S8_S8_S8_S8_EEEEPS9_S9_NSD_9__find_if7functorIS9_EEEE10hipError_tPvRmT1_T2_T3_mT4_P12ihipStream_tbEUlT_E1_NS1_11comp_targetILNS1_3genE0ELNS1_11target_archE4294967295ELNS1_3gpuE0ELNS1_3repE0EEENS1_30default_config_static_selectorELNS0_4arch9wavefront6targetE0EEEvS14_,"axG",@progbits,_ZN7rocprim17ROCPRIM_400000_NS6detail17trampoline_kernelINS0_14default_configENS1_22reduce_config_selectorIN6thrust23THRUST_200600_302600_NS5tupleIblNS6_9null_typeES8_S8_S8_S8_S8_S8_S8_EEEEZNS1_11reduce_implILb1ES3_NS6_12zip_iteratorINS7_INS6_11hip_rocprim26transform_input_iterator_tIbNSD_35transform_pair_of_input_iterators_tIbNS6_6detail15normal_iteratorINS6_10device_ptrIKjEEEESL_NS6_8equal_toIjEEEENSG_9not_fun_tINSD_8identityEEEEENSD_19counting_iterator_tIlEES8_S8_S8_S8_S8_S8_S8_S8_EEEEPS9_S9_NSD_9__find_if7functorIS9_EEEE10hipError_tPvRmT1_T2_T3_mT4_P12ihipStream_tbEUlT_E1_NS1_11comp_targetILNS1_3genE0ELNS1_11target_archE4294967295ELNS1_3gpuE0ELNS1_3repE0EEENS1_30default_config_static_selectorELNS0_4arch9wavefront6targetE0EEEvS14_,comdat
	.protected	_ZN7rocprim17ROCPRIM_400000_NS6detail17trampoline_kernelINS0_14default_configENS1_22reduce_config_selectorIN6thrust23THRUST_200600_302600_NS5tupleIblNS6_9null_typeES8_S8_S8_S8_S8_S8_S8_EEEEZNS1_11reduce_implILb1ES3_NS6_12zip_iteratorINS7_INS6_11hip_rocprim26transform_input_iterator_tIbNSD_35transform_pair_of_input_iterators_tIbNS6_6detail15normal_iteratorINS6_10device_ptrIKjEEEESL_NS6_8equal_toIjEEEENSG_9not_fun_tINSD_8identityEEEEENSD_19counting_iterator_tIlEES8_S8_S8_S8_S8_S8_S8_S8_EEEEPS9_S9_NSD_9__find_if7functorIS9_EEEE10hipError_tPvRmT1_T2_T3_mT4_P12ihipStream_tbEUlT_E1_NS1_11comp_targetILNS1_3genE0ELNS1_11target_archE4294967295ELNS1_3gpuE0ELNS1_3repE0EEENS1_30default_config_static_selectorELNS0_4arch9wavefront6targetE0EEEvS14_ ; -- Begin function _ZN7rocprim17ROCPRIM_400000_NS6detail17trampoline_kernelINS0_14default_configENS1_22reduce_config_selectorIN6thrust23THRUST_200600_302600_NS5tupleIblNS6_9null_typeES8_S8_S8_S8_S8_S8_S8_EEEEZNS1_11reduce_implILb1ES3_NS6_12zip_iteratorINS7_INS6_11hip_rocprim26transform_input_iterator_tIbNSD_35transform_pair_of_input_iterators_tIbNS6_6detail15normal_iteratorINS6_10device_ptrIKjEEEESL_NS6_8equal_toIjEEEENSG_9not_fun_tINSD_8identityEEEEENSD_19counting_iterator_tIlEES8_S8_S8_S8_S8_S8_S8_S8_EEEEPS9_S9_NSD_9__find_if7functorIS9_EEEE10hipError_tPvRmT1_T2_T3_mT4_P12ihipStream_tbEUlT_E1_NS1_11comp_targetILNS1_3genE0ELNS1_11target_archE4294967295ELNS1_3gpuE0ELNS1_3repE0EEENS1_30default_config_static_selectorELNS0_4arch9wavefront6targetE0EEEvS14_
	.globl	_ZN7rocprim17ROCPRIM_400000_NS6detail17trampoline_kernelINS0_14default_configENS1_22reduce_config_selectorIN6thrust23THRUST_200600_302600_NS5tupleIblNS6_9null_typeES8_S8_S8_S8_S8_S8_S8_EEEEZNS1_11reduce_implILb1ES3_NS6_12zip_iteratorINS7_INS6_11hip_rocprim26transform_input_iterator_tIbNSD_35transform_pair_of_input_iterators_tIbNS6_6detail15normal_iteratorINS6_10device_ptrIKjEEEESL_NS6_8equal_toIjEEEENSG_9not_fun_tINSD_8identityEEEEENSD_19counting_iterator_tIlEES8_S8_S8_S8_S8_S8_S8_S8_EEEEPS9_S9_NSD_9__find_if7functorIS9_EEEE10hipError_tPvRmT1_T2_T3_mT4_P12ihipStream_tbEUlT_E1_NS1_11comp_targetILNS1_3genE0ELNS1_11target_archE4294967295ELNS1_3gpuE0ELNS1_3repE0EEENS1_30default_config_static_selectorELNS0_4arch9wavefront6targetE0EEEvS14_
	.p2align	8
	.type	_ZN7rocprim17ROCPRIM_400000_NS6detail17trampoline_kernelINS0_14default_configENS1_22reduce_config_selectorIN6thrust23THRUST_200600_302600_NS5tupleIblNS6_9null_typeES8_S8_S8_S8_S8_S8_S8_EEEEZNS1_11reduce_implILb1ES3_NS6_12zip_iteratorINS7_INS6_11hip_rocprim26transform_input_iterator_tIbNSD_35transform_pair_of_input_iterators_tIbNS6_6detail15normal_iteratorINS6_10device_ptrIKjEEEESL_NS6_8equal_toIjEEEENSG_9not_fun_tINSD_8identityEEEEENSD_19counting_iterator_tIlEES8_S8_S8_S8_S8_S8_S8_S8_EEEEPS9_S9_NSD_9__find_if7functorIS9_EEEE10hipError_tPvRmT1_T2_T3_mT4_P12ihipStream_tbEUlT_E1_NS1_11comp_targetILNS1_3genE0ELNS1_11target_archE4294967295ELNS1_3gpuE0ELNS1_3repE0EEENS1_30default_config_static_selectorELNS0_4arch9wavefront6targetE0EEEvS14_,@function
_ZN7rocprim17ROCPRIM_400000_NS6detail17trampoline_kernelINS0_14default_configENS1_22reduce_config_selectorIN6thrust23THRUST_200600_302600_NS5tupleIblNS6_9null_typeES8_S8_S8_S8_S8_S8_S8_EEEEZNS1_11reduce_implILb1ES3_NS6_12zip_iteratorINS7_INS6_11hip_rocprim26transform_input_iterator_tIbNSD_35transform_pair_of_input_iterators_tIbNS6_6detail15normal_iteratorINS6_10device_ptrIKjEEEESL_NS6_8equal_toIjEEEENSG_9not_fun_tINSD_8identityEEEEENSD_19counting_iterator_tIlEES8_S8_S8_S8_S8_S8_S8_S8_EEEEPS9_S9_NSD_9__find_if7functorIS9_EEEE10hipError_tPvRmT1_T2_T3_mT4_P12ihipStream_tbEUlT_E1_NS1_11comp_targetILNS1_3genE0ELNS1_11target_archE4294967295ELNS1_3gpuE0ELNS1_3repE0EEENS1_30default_config_static_selectorELNS0_4arch9wavefront6targetE0EEEvS14_: ; @_ZN7rocprim17ROCPRIM_400000_NS6detail17trampoline_kernelINS0_14default_configENS1_22reduce_config_selectorIN6thrust23THRUST_200600_302600_NS5tupleIblNS6_9null_typeES8_S8_S8_S8_S8_S8_S8_EEEEZNS1_11reduce_implILb1ES3_NS6_12zip_iteratorINS7_INS6_11hip_rocprim26transform_input_iterator_tIbNSD_35transform_pair_of_input_iterators_tIbNS6_6detail15normal_iteratorINS6_10device_ptrIKjEEEESL_NS6_8equal_toIjEEEENSG_9not_fun_tINSD_8identityEEEEENSD_19counting_iterator_tIlEES8_S8_S8_S8_S8_S8_S8_S8_EEEEPS9_S9_NSD_9__find_if7functorIS9_EEEE10hipError_tPvRmT1_T2_T3_mT4_P12ihipStream_tbEUlT_E1_NS1_11comp_targetILNS1_3genE0ELNS1_11target_archE4294967295ELNS1_3gpuE0ELNS1_3repE0EEENS1_30default_config_static_selectorELNS0_4arch9wavefront6targetE0EEEvS14_
; %bb.0:
	.section	.rodata,"a",@progbits
	.p2align	6, 0x0
	.amdhsa_kernel _ZN7rocprim17ROCPRIM_400000_NS6detail17trampoline_kernelINS0_14default_configENS1_22reduce_config_selectorIN6thrust23THRUST_200600_302600_NS5tupleIblNS6_9null_typeES8_S8_S8_S8_S8_S8_S8_EEEEZNS1_11reduce_implILb1ES3_NS6_12zip_iteratorINS7_INS6_11hip_rocprim26transform_input_iterator_tIbNSD_35transform_pair_of_input_iterators_tIbNS6_6detail15normal_iteratorINS6_10device_ptrIKjEEEESL_NS6_8equal_toIjEEEENSG_9not_fun_tINSD_8identityEEEEENSD_19counting_iterator_tIlEES8_S8_S8_S8_S8_S8_S8_S8_EEEEPS9_S9_NSD_9__find_if7functorIS9_EEEE10hipError_tPvRmT1_T2_T3_mT4_P12ihipStream_tbEUlT_E1_NS1_11comp_targetILNS1_3genE0ELNS1_11target_archE4294967295ELNS1_3gpuE0ELNS1_3repE0EEENS1_30default_config_static_selectorELNS0_4arch9wavefront6targetE0EEEvS14_
		.amdhsa_group_segment_fixed_size 0
		.amdhsa_private_segment_fixed_size 0
		.amdhsa_kernarg_size 88
		.amdhsa_user_sgpr_count 15
		.amdhsa_user_sgpr_dispatch_ptr 0
		.amdhsa_user_sgpr_queue_ptr 0
		.amdhsa_user_sgpr_kernarg_segment_ptr 1
		.amdhsa_user_sgpr_dispatch_id 0
		.amdhsa_user_sgpr_private_segment_size 0
		.amdhsa_wavefront_size32 1
		.amdhsa_uses_dynamic_stack 0
		.amdhsa_enable_private_segment 0
		.amdhsa_system_sgpr_workgroup_id_x 1
		.amdhsa_system_sgpr_workgroup_id_y 0
		.amdhsa_system_sgpr_workgroup_id_z 0
		.amdhsa_system_sgpr_workgroup_info 0
		.amdhsa_system_vgpr_workitem_id 0
		.amdhsa_next_free_vgpr 1
		.amdhsa_next_free_sgpr 1
		.amdhsa_reserve_vcc 0
		.amdhsa_float_round_mode_32 0
		.amdhsa_float_round_mode_16_64 0
		.amdhsa_float_denorm_mode_32 3
		.amdhsa_float_denorm_mode_16_64 3
		.amdhsa_dx10_clamp 1
		.amdhsa_ieee_mode 1
		.amdhsa_fp16_overflow 0
		.amdhsa_workgroup_processor_mode 1
		.amdhsa_memory_ordered 1
		.amdhsa_forward_progress 0
		.amdhsa_shared_vgpr_count 0
		.amdhsa_exception_fp_ieee_invalid_op 0
		.amdhsa_exception_fp_denorm_src 0
		.amdhsa_exception_fp_ieee_div_zero 0
		.amdhsa_exception_fp_ieee_overflow 0
		.amdhsa_exception_fp_ieee_underflow 0
		.amdhsa_exception_fp_ieee_inexact 0
		.amdhsa_exception_int_div_zero 0
	.end_amdhsa_kernel
	.section	.text._ZN7rocprim17ROCPRIM_400000_NS6detail17trampoline_kernelINS0_14default_configENS1_22reduce_config_selectorIN6thrust23THRUST_200600_302600_NS5tupleIblNS6_9null_typeES8_S8_S8_S8_S8_S8_S8_EEEEZNS1_11reduce_implILb1ES3_NS6_12zip_iteratorINS7_INS6_11hip_rocprim26transform_input_iterator_tIbNSD_35transform_pair_of_input_iterators_tIbNS6_6detail15normal_iteratorINS6_10device_ptrIKjEEEESL_NS6_8equal_toIjEEEENSG_9not_fun_tINSD_8identityEEEEENSD_19counting_iterator_tIlEES8_S8_S8_S8_S8_S8_S8_S8_EEEEPS9_S9_NSD_9__find_if7functorIS9_EEEE10hipError_tPvRmT1_T2_T3_mT4_P12ihipStream_tbEUlT_E1_NS1_11comp_targetILNS1_3genE0ELNS1_11target_archE4294967295ELNS1_3gpuE0ELNS1_3repE0EEENS1_30default_config_static_selectorELNS0_4arch9wavefront6targetE0EEEvS14_,"axG",@progbits,_ZN7rocprim17ROCPRIM_400000_NS6detail17trampoline_kernelINS0_14default_configENS1_22reduce_config_selectorIN6thrust23THRUST_200600_302600_NS5tupleIblNS6_9null_typeES8_S8_S8_S8_S8_S8_S8_EEEEZNS1_11reduce_implILb1ES3_NS6_12zip_iteratorINS7_INS6_11hip_rocprim26transform_input_iterator_tIbNSD_35transform_pair_of_input_iterators_tIbNS6_6detail15normal_iteratorINS6_10device_ptrIKjEEEESL_NS6_8equal_toIjEEEENSG_9not_fun_tINSD_8identityEEEEENSD_19counting_iterator_tIlEES8_S8_S8_S8_S8_S8_S8_S8_EEEEPS9_S9_NSD_9__find_if7functorIS9_EEEE10hipError_tPvRmT1_T2_T3_mT4_P12ihipStream_tbEUlT_E1_NS1_11comp_targetILNS1_3genE0ELNS1_11target_archE4294967295ELNS1_3gpuE0ELNS1_3repE0EEENS1_30default_config_static_selectorELNS0_4arch9wavefront6targetE0EEEvS14_,comdat
.Lfunc_end492:
	.size	_ZN7rocprim17ROCPRIM_400000_NS6detail17trampoline_kernelINS0_14default_configENS1_22reduce_config_selectorIN6thrust23THRUST_200600_302600_NS5tupleIblNS6_9null_typeES8_S8_S8_S8_S8_S8_S8_EEEEZNS1_11reduce_implILb1ES3_NS6_12zip_iteratorINS7_INS6_11hip_rocprim26transform_input_iterator_tIbNSD_35transform_pair_of_input_iterators_tIbNS6_6detail15normal_iteratorINS6_10device_ptrIKjEEEESL_NS6_8equal_toIjEEEENSG_9not_fun_tINSD_8identityEEEEENSD_19counting_iterator_tIlEES8_S8_S8_S8_S8_S8_S8_S8_EEEEPS9_S9_NSD_9__find_if7functorIS9_EEEE10hipError_tPvRmT1_T2_T3_mT4_P12ihipStream_tbEUlT_E1_NS1_11comp_targetILNS1_3genE0ELNS1_11target_archE4294967295ELNS1_3gpuE0ELNS1_3repE0EEENS1_30default_config_static_selectorELNS0_4arch9wavefront6targetE0EEEvS14_, .Lfunc_end492-_ZN7rocprim17ROCPRIM_400000_NS6detail17trampoline_kernelINS0_14default_configENS1_22reduce_config_selectorIN6thrust23THRUST_200600_302600_NS5tupleIblNS6_9null_typeES8_S8_S8_S8_S8_S8_S8_EEEEZNS1_11reduce_implILb1ES3_NS6_12zip_iteratorINS7_INS6_11hip_rocprim26transform_input_iterator_tIbNSD_35transform_pair_of_input_iterators_tIbNS6_6detail15normal_iteratorINS6_10device_ptrIKjEEEESL_NS6_8equal_toIjEEEENSG_9not_fun_tINSD_8identityEEEEENSD_19counting_iterator_tIlEES8_S8_S8_S8_S8_S8_S8_S8_EEEEPS9_S9_NSD_9__find_if7functorIS9_EEEE10hipError_tPvRmT1_T2_T3_mT4_P12ihipStream_tbEUlT_E1_NS1_11comp_targetILNS1_3genE0ELNS1_11target_archE4294967295ELNS1_3gpuE0ELNS1_3repE0EEENS1_30default_config_static_selectorELNS0_4arch9wavefront6targetE0EEEvS14_
                                        ; -- End function
	.section	.AMDGPU.csdata,"",@progbits
; Kernel info:
; codeLenInByte = 0
; NumSgprs: 0
; NumVgprs: 0
; ScratchSize: 0
; MemoryBound: 0
; FloatMode: 240
; IeeeMode: 1
; LDSByteSize: 0 bytes/workgroup (compile time only)
; SGPRBlocks: 0
; VGPRBlocks: 0
; NumSGPRsForWavesPerEU: 1
; NumVGPRsForWavesPerEU: 1
; Occupancy: 16
; WaveLimiterHint : 0
; COMPUTE_PGM_RSRC2:SCRATCH_EN: 0
; COMPUTE_PGM_RSRC2:USER_SGPR: 15
; COMPUTE_PGM_RSRC2:TRAP_HANDLER: 0
; COMPUTE_PGM_RSRC2:TGID_X_EN: 1
; COMPUTE_PGM_RSRC2:TGID_Y_EN: 0
; COMPUTE_PGM_RSRC2:TGID_Z_EN: 0
; COMPUTE_PGM_RSRC2:TIDIG_COMP_CNT: 0
	.section	.text._ZN7rocprim17ROCPRIM_400000_NS6detail17trampoline_kernelINS0_14default_configENS1_22reduce_config_selectorIN6thrust23THRUST_200600_302600_NS5tupleIblNS6_9null_typeES8_S8_S8_S8_S8_S8_S8_EEEEZNS1_11reduce_implILb1ES3_NS6_12zip_iteratorINS7_INS6_11hip_rocprim26transform_input_iterator_tIbNSD_35transform_pair_of_input_iterators_tIbNS6_6detail15normal_iteratorINS6_10device_ptrIKjEEEESL_NS6_8equal_toIjEEEENSG_9not_fun_tINSD_8identityEEEEENSD_19counting_iterator_tIlEES8_S8_S8_S8_S8_S8_S8_S8_EEEEPS9_S9_NSD_9__find_if7functorIS9_EEEE10hipError_tPvRmT1_T2_T3_mT4_P12ihipStream_tbEUlT_E1_NS1_11comp_targetILNS1_3genE5ELNS1_11target_archE942ELNS1_3gpuE9ELNS1_3repE0EEENS1_30default_config_static_selectorELNS0_4arch9wavefront6targetE0EEEvS14_,"axG",@progbits,_ZN7rocprim17ROCPRIM_400000_NS6detail17trampoline_kernelINS0_14default_configENS1_22reduce_config_selectorIN6thrust23THRUST_200600_302600_NS5tupleIblNS6_9null_typeES8_S8_S8_S8_S8_S8_S8_EEEEZNS1_11reduce_implILb1ES3_NS6_12zip_iteratorINS7_INS6_11hip_rocprim26transform_input_iterator_tIbNSD_35transform_pair_of_input_iterators_tIbNS6_6detail15normal_iteratorINS6_10device_ptrIKjEEEESL_NS6_8equal_toIjEEEENSG_9not_fun_tINSD_8identityEEEEENSD_19counting_iterator_tIlEES8_S8_S8_S8_S8_S8_S8_S8_EEEEPS9_S9_NSD_9__find_if7functorIS9_EEEE10hipError_tPvRmT1_T2_T3_mT4_P12ihipStream_tbEUlT_E1_NS1_11comp_targetILNS1_3genE5ELNS1_11target_archE942ELNS1_3gpuE9ELNS1_3repE0EEENS1_30default_config_static_selectorELNS0_4arch9wavefront6targetE0EEEvS14_,comdat
	.protected	_ZN7rocprim17ROCPRIM_400000_NS6detail17trampoline_kernelINS0_14default_configENS1_22reduce_config_selectorIN6thrust23THRUST_200600_302600_NS5tupleIblNS6_9null_typeES8_S8_S8_S8_S8_S8_S8_EEEEZNS1_11reduce_implILb1ES3_NS6_12zip_iteratorINS7_INS6_11hip_rocprim26transform_input_iterator_tIbNSD_35transform_pair_of_input_iterators_tIbNS6_6detail15normal_iteratorINS6_10device_ptrIKjEEEESL_NS6_8equal_toIjEEEENSG_9not_fun_tINSD_8identityEEEEENSD_19counting_iterator_tIlEES8_S8_S8_S8_S8_S8_S8_S8_EEEEPS9_S9_NSD_9__find_if7functorIS9_EEEE10hipError_tPvRmT1_T2_T3_mT4_P12ihipStream_tbEUlT_E1_NS1_11comp_targetILNS1_3genE5ELNS1_11target_archE942ELNS1_3gpuE9ELNS1_3repE0EEENS1_30default_config_static_selectorELNS0_4arch9wavefront6targetE0EEEvS14_ ; -- Begin function _ZN7rocprim17ROCPRIM_400000_NS6detail17trampoline_kernelINS0_14default_configENS1_22reduce_config_selectorIN6thrust23THRUST_200600_302600_NS5tupleIblNS6_9null_typeES8_S8_S8_S8_S8_S8_S8_EEEEZNS1_11reduce_implILb1ES3_NS6_12zip_iteratorINS7_INS6_11hip_rocprim26transform_input_iterator_tIbNSD_35transform_pair_of_input_iterators_tIbNS6_6detail15normal_iteratorINS6_10device_ptrIKjEEEESL_NS6_8equal_toIjEEEENSG_9not_fun_tINSD_8identityEEEEENSD_19counting_iterator_tIlEES8_S8_S8_S8_S8_S8_S8_S8_EEEEPS9_S9_NSD_9__find_if7functorIS9_EEEE10hipError_tPvRmT1_T2_T3_mT4_P12ihipStream_tbEUlT_E1_NS1_11comp_targetILNS1_3genE5ELNS1_11target_archE942ELNS1_3gpuE9ELNS1_3repE0EEENS1_30default_config_static_selectorELNS0_4arch9wavefront6targetE0EEEvS14_
	.globl	_ZN7rocprim17ROCPRIM_400000_NS6detail17trampoline_kernelINS0_14default_configENS1_22reduce_config_selectorIN6thrust23THRUST_200600_302600_NS5tupleIblNS6_9null_typeES8_S8_S8_S8_S8_S8_S8_EEEEZNS1_11reduce_implILb1ES3_NS6_12zip_iteratorINS7_INS6_11hip_rocprim26transform_input_iterator_tIbNSD_35transform_pair_of_input_iterators_tIbNS6_6detail15normal_iteratorINS6_10device_ptrIKjEEEESL_NS6_8equal_toIjEEEENSG_9not_fun_tINSD_8identityEEEEENSD_19counting_iterator_tIlEES8_S8_S8_S8_S8_S8_S8_S8_EEEEPS9_S9_NSD_9__find_if7functorIS9_EEEE10hipError_tPvRmT1_T2_T3_mT4_P12ihipStream_tbEUlT_E1_NS1_11comp_targetILNS1_3genE5ELNS1_11target_archE942ELNS1_3gpuE9ELNS1_3repE0EEENS1_30default_config_static_selectorELNS0_4arch9wavefront6targetE0EEEvS14_
	.p2align	8
	.type	_ZN7rocprim17ROCPRIM_400000_NS6detail17trampoline_kernelINS0_14default_configENS1_22reduce_config_selectorIN6thrust23THRUST_200600_302600_NS5tupleIblNS6_9null_typeES8_S8_S8_S8_S8_S8_S8_EEEEZNS1_11reduce_implILb1ES3_NS6_12zip_iteratorINS7_INS6_11hip_rocprim26transform_input_iterator_tIbNSD_35transform_pair_of_input_iterators_tIbNS6_6detail15normal_iteratorINS6_10device_ptrIKjEEEESL_NS6_8equal_toIjEEEENSG_9not_fun_tINSD_8identityEEEEENSD_19counting_iterator_tIlEES8_S8_S8_S8_S8_S8_S8_S8_EEEEPS9_S9_NSD_9__find_if7functorIS9_EEEE10hipError_tPvRmT1_T2_T3_mT4_P12ihipStream_tbEUlT_E1_NS1_11comp_targetILNS1_3genE5ELNS1_11target_archE942ELNS1_3gpuE9ELNS1_3repE0EEENS1_30default_config_static_selectorELNS0_4arch9wavefront6targetE0EEEvS14_,@function
_ZN7rocprim17ROCPRIM_400000_NS6detail17trampoline_kernelINS0_14default_configENS1_22reduce_config_selectorIN6thrust23THRUST_200600_302600_NS5tupleIblNS6_9null_typeES8_S8_S8_S8_S8_S8_S8_EEEEZNS1_11reduce_implILb1ES3_NS6_12zip_iteratorINS7_INS6_11hip_rocprim26transform_input_iterator_tIbNSD_35transform_pair_of_input_iterators_tIbNS6_6detail15normal_iteratorINS6_10device_ptrIKjEEEESL_NS6_8equal_toIjEEEENSG_9not_fun_tINSD_8identityEEEEENSD_19counting_iterator_tIlEES8_S8_S8_S8_S8_S8_S8_S8_EEEEPS9_S9_NSD_9__find_if7functorIS9_EEEE10hipError_tPvRmT1_T2_T3_mT4_P12ihipStream_tbEUlT_E1_NS1_11comp_targetILNS1_3genE5ELNS1_11target_archE942ELNS1_3gpuE9ELNS1_3repE0EEENS1_30default_config_static_selectorELNS0_4arch9wavefront6targetE0EEEvS14_: ; @_ZN7rocprim17ROCPRIM_400000_NS6detail17trampoline_kernelINS0_14default_configENS1_22reduce_config_selectorIN6thrust23THRUST_200600_302600_NS5tupleIblNS6_9null_typeES8_S8_S8_S8_S8_S8_S8_EEEEZNS1_11reduce_implILb1ES3_NS6_12zip_iteratorINS7_INS6_11hip_rocprim26transform_input_iterator_tIbNSD_35transform_pair_of_input_iterators_tIbNS6_6detail15normal_iteratorINS6_10device_ptrIKjEEEESL_NS6_8equal_toIjEEEENSG_9not_fun_tINSD_8identityEEEEENSD_19counting_iterator_tIlEES8_S8_S8_S8_S8_S8_S8_S8_EEEEPS9_S9_NSD_9__find_if7functorIS9_EEEE10hipError_tPvRmT1_T2_T3_mT4_P12ihipStream_tbEUlT_E1_NS1_11comp_targetILNS1_3genE5ELNS1_11target_archE942ELNS1_3gpuE9ELNS1_3repE0EEENS1_30default_config_static_selectorELNS0_4arch9wavefront6targetE0EEEvS14_
; %bb.0:
	.section	.rodata,"a",@progbits
	.p2align	6, 0x0
	.amdhsa_kernel _ZN7rocprim17ROCPRIM_400000_NS6detail17trampoline_kernelINS0_14default_configENS1_22reduce_config_selectorIN6thrust23THRUST_200600_302600_NS5tupleIblNS6_9null_typeES8_S8_S8_S8_S8_S8_S8_EEEEZNS1_11reduce_implILb1ES3_NS6_12zip_iteratorINS7_INS6_11hip_rocprim26transform_input_iterator_tIbNSD_35transform_pair_of_input_iterators_tIbNS6_6detail15normal_iteratorINS6_10device_ptrIKjEEEESL_NS6_8equal_toIjEEEENSG_9not_fun_tINSD_8identityEEEEENSD_19counting_iterator_tIlEES8_S8_S8_S8_S8_S8_S8_S8_EEEEPS9_S9_NSD_9__find_if7functorIS9_EEEE10hipError_tPvRmT1_T2_T3_mT4_P12ihipStream_tbEUlT_E1_NS1_11comp_targetILNS1_3genE5ELNS1_11target_archE942ELNS1_3gpuE9ELNS1_3repE0EEENS1_30default_config_static_selectorELNS0_4arch9wavefront6targetE0EEEvS14_
		.amdhsa_group_segment_fixed_size 0
		.amdhsa_private_segment_fixed_size 0
		.amdhsa_kernarg_size 88
		.amdhsa_user_sgpr_count 15
		.amdhsa_user_sgpr_dispatch_ptr 0
		.amdhsa_user_sgpr_queue_ptr 0
		.amdhsa_user_sgpr_kernarg_segment_ptr 1
		.amdhsa_user_sgpr_dispatch_id 0
		.amdhsa_user_sgpr_private_segment_size 0
		.amdhsa_wavefront_size32 1
		.amdhsa_uses_dynamic_stack 0
		.amdhsa_enable_private_segment 0
		.amdhsa_system_sgpr_workgroup_id_x 1
		.amdhsa_system_sgpr_workgroup_id_y 0
		.amdhsa_system_sgpr_workgroup_id_z 0
		.amdhsa_system_sgpr_workgroup_info 0
		.amdhsa_system_vgpr_workitem_id 0
		.amdhsa_next_free_vgpr 1
		.amdhsa_next_free_sgpr 1
		.amdhsa_reserve_vcc 0
		.amdhsa_float_round_mode_32 0
		.amdhsa_float_round_mode_16_64 0
		.amdhsa_float_denorm_mode_32 3
		.amdhsa_float_denorm_mode_16_64 3
		.amdhsa_dx10_clamp 1
		.amdhsa_ieee_mode 1
		.amdhsa_fp16_overflow 0
		.amdhsa_workgroup_processor_mode 1
		.amdhsa_memory_ordered 1
		.amdhsa_forward_progress 0
		.amdhsa_shared_vgpr_count 0
		.amdhsa_exception_fp_ieee_invalid_op 0
		.amdhsa_exception_fp_denorm_src 0
		.amdhsa_exception_fp_ieee_div_zero 0
		.amdhsa_exception_fp_ieee_overflow 0
		.amdhsa_exception_fp_ieee_underflow 0
		.amdhsa_exception_fp_ieee_inexact 0
		.amdhsa_exception_int_div_zero 0
	.end_amdhsa_kernel
	.section	.text._ZN7rocprim17ROCPRIM_400000_NS6detail17trampoline_kernelINS0_14default_configENS1_22reduce_config_selectorIN6thrust23THRUST_200600_302600_NS5tupleIblNS6_9null_typeES8_S8_S8_S8_S8_S8_S8_EEEEZNS1_11reduce_implILb1ES3_NS6_12zip_iteratorINS7_INS6_11hip_rocprim26transform_input_iterator_tIbNSD_35transform_pair_of_input_iterators_tIbNS6_6detail15normal_iteratorINS6_10device_ptrIKjEEEESL_NS6_8equal_toIjEEEENSG_9not_fun_tINSD_8identityEEEEENSD_19counting_iterator_tIlEES8_S8_S8_S8_S8_S8_S8_S8_EEEEPS9_S9_NSD_9__find_if7functorIS9_EEEE10hipError_tPvRmT1_T2_T3_mT4_P12ihipStream_tbEUlT_E1_NS1_11comp_targetILNS1_3genE5ELNS1_11target_archE942ELNS1_3gpuE9ELNS1_3repE0EEENS1_30default_config_static_selectorELNS0_4arch9wavefront6targetE0EEEvS14_,"axG",@progbits,_ZN7rocprim17ROCPRIM_400000_NS6detail17trampoline_kernelINS0_14default_configENS1_22reduce_config_selectorIN6thrust23THRUST_200600_302600_NS5tupleIblNS6_9null_typeES8_S8_S8_S8_S8_S8_S8_EEEEZNS1_11reduce_implILb1ES3_NS6_12zip_iteratorINS7_INS6_11hip_rocprim26transform_input_iterator_tIbNSD_35transform_pair_of_input_iterators_tIbNS6_6detail15normal_iteratorINS6_10device_ptrIKjEEEESL_NS6_8equal_toIjEEEENSG_9not_fun_tINSD_8identityEEEEENSD_19counting_iterator_tIlEES8_S8_S8_S8_S8_S8_S8_S8_EEEEPS9_S9_NSD_9__find_if7functorIS9_EEEE10hipError_tPvRmT1_T2_T3_mT4_P12ihipStream_tbEUlT_E1_NS1_11comp_targetILNS1_3genE5ELNS1_11target_archE942ELNS1_3gpuE9ELNS1_3repE0EEENS1_30default_config_static_selectorELNS0_4arch9wavefront6targetE0EEEvS14_,comdat
.Lfunc_end493:
	.size	_ZN7rocprim17ROCPRIM_400000_NS6detail17trampoline_kernelINS0_14default_configENS1_22reduce_config_selectorIN6thrust23THRUST_200600_302600_NS5tupleIblNS6_9null_typeES8_S8_S8_S8_S8_S8_S8_EEEEZNS1_11reduce_implILb1ES3_NS6_12zip_iteratorINS7_INS6_11hip_rocprim26transform_input_iterator_tIbNSD_35transform_pair_of_input_iterators_tIbNS6_6detail15normal_iteratorINS6_10device_ptrIKjEEEESL_NS6_8equal_toIjEEEENSG_9not_fun_tINSD_8identityEEEEENSD_19counting_iterator_tIlEES8_S8_S8_S8_S8_S8_S8_S8_EEEEPS9_S9_NSD_9__find_if7functorIS9_EEEE10hipError_tPvRmT1_T2_T3_mT4_P12ihipStream_tbEUlT_E1_NS1_11comp_targetILNS1_3genE5ELNS1_11target_archE942ELNS1_3gpuE9ELNS1_3repE0EEENS1_30default_config_static_selectorELNS0_4arch9wavefront6targetE0EEEvS14_, .Lfunc_end493-_ZN7rocprim17ROCPRIM_400000_NS6detail17trampoline_kernelINS0_14default_configENS1_22reduce_config_selectorIN6thrust23THRUST_200600_302600_NS5tupleIblNS6_9null_typeES8_S8_S8_S8_S8_S8_S8_EEEEZNS1_11reduce_implILb1ES3_NS6_12zip_iteratorINS7_INS6_11hip_rocprim26transform_input_iterator_tIbNSD_35transform_pair_of_input_iterators_tIbNS6_6detail15normal_iteratorINS6_10device_ptrIKjEEEESL_NS6_8equal_toIjEEEENSG_9not_fun_tINSD_8identityEEEEENSD_19counting_iterator_tIlEES8_S8_S8_S8_S8_S8_S8_S8_EEEEPS9_S9_NSD_9__find_if7functorIS9_EEEE10hipError_tPvRmT1_T2_T3_mT4_P12ihipStream_tbEUlT_E1_NS1_11comp_targetILNS1_3genE5ELNS1_11target_archE942ELNS1_3gpuE9ELNS1_3repE0EEENS1_30default_config_static_selectorELNS0_4arch9wavefront6targetE0EEEvS14_
                                        ; -- End function
	.section	.AMDGPU.csdata,"",@progbits
; Kernel info:
; codeLenInByte = 0
; NumSgprs: 0
; NumVgprs: 0
; ScratchSize: 0
; MemoryBound: 0
; FloatMode: 240
; IeeeMode: 1
; LDSByteSize: 0 bytes/workgroup (compile time only)
; SGPRBlocks: 0
; VGPRBlocks: 0
; NumSGPRsForWavesPerEU: 1
; NumVGPRsForWavesPerEU: 1
; Occupancy: 16
; WaveLimiterHint : 0
; COMPUTE_PGM_RSRC2:SCRATCH_EN: 0
; COMPUTE_PGM_RSRC2:USER_SGPR: 15
; COMPUTE_PGM_RSRC2:TRAP_HANDLER: 0
; COMPUTE_PGM_RSRC2:TGID_X_EN: 1
; COMPUTE_PGM_RSRC2:TGID_Y_EN: 0
; COMPUTE_PGM_RSRC2:TGID_Z_EN: 0
; COMPUTE_PGM_RSRC2:TIDIG_COMP_CNT: 0
	.section	.text._ZN7rocprim17ROCPRIM_400000_NS6detail17trampoline_kernelINS0_14default_configENS1_22reduce_config_selectorIN6thrust23THRUST_200600_302600_NS5tupleIblNS6_9null_typeES8_S8_S8_S8_S8_S8_S8_EEEEZNS1_11reduce_implILb1ES3_NS6_12zip_iteratorINS7_INS6_11hip_rocprim26transform_input_iterator_tIbNSD_35transform_pair_of_input_iterators_tIbNS6_6detail15normal_iteratorINS6_10device_ptrIKjEEEESL_NS6_8equal_toIjEEEENSG_9not_fun_tINSD_8identityEEEEENSD_19counting_iterator_tIlEES8_S8_S8_S8_S8_S8_S8_S8_EEEEPS9_S9_NSD_9__find_if7functorIS9_EEEE10hipError_tPvRmT1_T2_T3_mT4_P12ihipStream_tbEUlT_E1_NS1_11comp_targetILNS1_3genE4ELNS1_11target_archE910ELNS1_3gpuE8ELNS1_3repE0EEENS1_30default_config_static_selectorELNS0_4arch9wavefront6targetE0EEEvS14_,"axG",@progbits,_ZN7rocprim17ROCPRIM_400000_NS6detail17trampoline_kernelINS0_14default_configENS1_22reduce_config_selectorIN6thrust23THRUST_200600_302600_NS5tupleIblNS6_9null_typeES8_S8_S8_S8_S8_S8_S8_EEEEZNS1_11reduce_implILb1ES3_NS6_12zip_iteratorINS7_INS6_11hip_rocprim26transform_input_iterator_tIbNSD_35transform_pair_of_input_iterators_tIbNS6_6detail15normal_iteratorINS6_10device_ptrIKjEEEESL_NS6_8equal_toIjEEEENSG_9not_fun_tINSD_8identityEEEEENSD_19counting_iterator_tIlEES8_S8_S8_S8_S8_S8_S8_S8_EEEEPS9_S9_NSD_9__find_if7functorIS9_EEEE10hipError_tPvRmT1_T2_T3_mT4_P12ihipStream_tbEUlT_E1_NS1_11comp_targetILNS1_3genE4ELNS1_11target_archE910ELNS1_3gpuE8ELNS1_3repE0EEENS1_30default_config_static_selectorELNS0_4arch9wavefront6targetE0EEEvS14_,comdat
	.protected	_ZN7rocprim17ROCPRIM_400000_NS6detail17trampoline_kernelINS0_14default_configENS1_22reduce_config_selectorIN6thrust23THRUST_200600_302600_NS5tupleIblNS6_9null_typeES8_S8_S8_S8_S8_S8_S8_EEEEZNS1_11reduce_implILb1ES3_NS6_12zip_iteratorINS7_INS6_11hip_rocprim26transform_input_iterator_tIbNSD_35transform_pair_of_input_iterators_tIbNS6_6detail15normal_iteratorINS6_10device_ptrIKjEEEESL_NS6_8equal_toIjEEEENSG_9not_fun_tINSD_8identityEEEEENSD_19counting_iterator_tIlEES8_S8_S8_S8_S8_S8_S8_S8_EEEEPS9_S9_NSD_9__find_if7functorIS9_EEEE10hipError_tPvRmT1_T2_T3_mT4_P12ihipStream_tbEUlT_E1_NS1_11comp_targetILNS1_3genE4ELNS1_11target_archE910ELNS1_3gpuE8ELNS1_3repE0EEENS1_30default_config_static_selectorELNS0_4arch9wavefront6targetE0EEEvS14_ ; -- Begin function _ZN7rocprim17ROCPRIM_400000_NS6detail17trampoline_kernelINS0_14default_configENS1_22reduce_config_selectorIN6thrust23THRUST_200600_302600_NS5tupleIblNS6_9null_typeES8_S8_S8_S8_S8_S8_S8_EEEEZNS1_11reduce_implILb1ES3_NS6_12zip_iteratorINS7_INS6_11hip_rocprim26transform_input_iterator_tIbNSD_35transform_pair_of_input_iterators_tIbNS6_6detail15normal_iteratorINS6_10device_ptrIKjEEEESL_NS6_8equal_toIjEEEENSG_9not_fun_tINSD_8identityEEEEENSD_19counting_iterator_tIlEES8_S8_S8_S8_S8_S8_S8_S8_EEEEPS9_S9_NSD_9__find_if7functorIS9_EEEE10hipError_tPvRmT1_T2_T3_mT4_P12ihipStream_tbEUlT_E1_NS1_11comp_targetILNS1_3genE4ELNS1_11target_archE910ELNS1_3gpuE8ELNS1_3repE0EEENS1_30default_config_static_selectorELNS0_4arch9wavefront6targetE0EEEvS14_
	.globl	_ZN7rocprim17ROCPRIM_400000_NS6detail17trampoline_kernelINS0_14default_configENS1_22reduce_config_selectorIN6thrust23THRUST_200600_302600_NS5tupleIblNS6_9null_typeES8_S8_S8_S8_S8_S8_S8_EEEEZNS1_11reduce_implILb1ES3_NS6_12zip_iteratorINS7_INS6_11hip_rocprim26transform_input_iterator_tIbNSD_35transform_pair_of_input_iterators_tIbNS6_6detail15normal_iteratorINS6_10device_ptrIKjEEEESL_NS6_8equal_toIjEEEENSG_9not_fun_tINSD_8identityEEEEENSD_19counting_iterator_tIlEES8_S8_S8_S8_S8_S8_S8_S8_EEEEPS9_S9_NSD_9__find_if7functorIS9_EEEE10hipError_tPvRmT1_T2_T3_mT4_P12ihipStream_tbEUlT_E1_NS1_11comp_targetILNS1_3genE4ELNS1_11target_archE910ELNS1_3gpuE8ELNS1_3repE0EEENS1_30default_config_static_selectorELNS0_4arch9wavefront6targetE0EEEvS14_
	.p2align	8
	.type	_ZN7rocprim17ROCPRIM_400000_NS6detail17trampoline_kernelINS0_14default_configENS1_22reduce_config_selectorIN6thrust23THRUST_200600_302600_NS5tupleIblNS6_9null_typeES8_S8_S8_S8_S8_S8_S8_EEEEZNS1_11reduce_implILb1ES3_NS6_12zip_iteratorINS7_INS6_11hip_rocprim26transform_input_iterator_tIbNSD_35transform_pair_of_input_iterators_tIbNS6_6detail15normal_iteratorINS6_10device_ptrIKjEEEESL_NS6_8equal_toIjEEEENSG_9not_fun_tINSD_8identityEEEEENSD_19counting_iterator_tIlEES8_S8_S8_S8_S8_S8_S8_S8_EEEEPS9_S9_NSD_9__find_if7functorIS9_EEEE10hipError_tPvRmT1_T2_T3_mT4_P12ihipStream_tbEUlT_E1_NS1_11comp_targetILNS1_3genE4ELNS1_11target_archE910ELNS1_3gpuE8ELNS1_3repE0EEENS1_30default_config_static_selectorELNS0_4arch9wavefront6targetE0EEEvS14_,@function
_ZN7rocprim17ROCPRIM_400000_NS6detail17trampoline_kernelINS0_14default_configENS1_22reduce_config_selectorIN6thrust23THRUST_200600_302600_NS5tupleIblNS6_9null_typeES8_S8_S8_S8_S8_S8_S8_EEEEZNS1_11reduce_implILb1ES3_NS6_12zip_iteratorINS7_INS6_11hip_rocprim26transform_input_iterator_tIbNSD_35transform_pair_of_input_iterators_tIbNS6_6detail15normal_iteratorINS6_10device_ptrIKjEEEESL_NS6_8equal_toIjEEEENSG_9not_fun_tINSD_8identityEEEEENSD_19counting_iterator_tIlEES8_S8_S8_S8_S8_S8_S8_S8_EEEEPS9_S9_NSD_9__find_if7functorIS9_EEEE10hipError_tPvRmT1_T2_T3_mT4_P12ihipStream_tbEUlT_E1_NS1_11comp_targetILNS1_3genE4ELNS1_11target_archE910ELNS1_3gpuE8ELNS1_3repE0EEENS1_30default_config_static_selectorELNS0_4arch9wavefront6targetE0EEEvS14_: ; @_ZN7rocprim17ROCPRIM_400000_NS6detail17trampoline_kernelINS0_14default_configENS1_22reduce_config_selectorIN6thrust23THRUST_200600_302600_NS5tupleIblNS6_9null_typeES8_S8_S8_S8_S8_S8_S8_EEEEZNS1_11reduce_implILb1ES3_NS6_12zip_iteratorINS7_INS6_11hip_rocprim26transform_input_iterator_tIbNSD_35transform_pair_of_input_iterators_tIbNS6_6detail15normal_iteratorINS6_10device_ptrIKjEEEESL_NS6_8equal_toIjEEEENSG_9not_fun_tINSD_8identityEEEEENSD_19counting_iterator_tIlEES8_S8_S8_S8_S8_S8_S8_S8_EEEEPS9_S9_NSD_9__find_if7functorIS9_EEEE10hipError_tPvRmT1_T2_T3_mT4_P12ihipStream_tbEUlT_E1_NS1_11comp_targetILNS1_3genE4ELNS1_11target_archE910ELNS1_3gpuE8ELNS1_3repE0EEENS1_30default_config_static_selectorELNS0_4arch9wavefront6targetE0EEEvS14_
; %bb.0:
	.section	.rodata,"a",@progbits
	.p2align	6, 0x0
	.amdhsa_kernel _ZN7rocprim17ROCPRIM_400000_NS6detail17trampoline_kernelINS0_14default_configENS1_22reduce_config_selectorIN6thrust23THRUST_200600_302600_NS5tupleIblNS6_9null_typeES8_S8_S8_S8_S8_S8_S8_EEEEZNS1_11reduce_implILb1ES3_NS6_12zip_iteratorINS7_INS6_11hip_rocprim26transform_input_iterator_tIbNSD_35transform_pair_of_input_iterators_tIbNS6_6detail15normal_iteratorINS6_10device_ptrIKjEEEESL_NS6_8equal_toIjEEEENSG_9not_fun_tINSD_8identityEEEEENSD_19counting_iterator_tIlEES8_S8_S8_S8_S8_S8_S8_S8_EEEEPS9_S9_NSD_9__find_if7functorIS9_EEEE10hipError_tPvRmT1_T2_T3_mT4_P12ihipStream_tbEUlT_E1_NS1_11comp_targetILNS1_3genE4ELNS1_11target_archE910ELNS1_3gpuE8ELNS1_3repE0EEENS1_30default_config_static_selectorELNS0_4arch9wavefront6targetE0EEEvS14_
		.amdhsa_group_segment_fixed_size 0
		.amdhsa_private_segment_fixed_size 0
		.amdhsa_kernarg_size 88
		.amdhsa_user_sgpr_count 15
		.amdhsa_user_sgpr_dispatch_ptr 0
		.amdhsa_user_sgpr_queue_ptr 0
		.amdhsa_user_sgpr_kernarg_segment_ptr 1
		.amdhsa_user_sgpr_dispatch_id 0
		.amdhsa_user_sgpr_private_segment_size 0
		.amdhsa_wavefront_size32 1
		.amdhsa_uses_dynamic_stack 0
		.amdhsa_enable_private_segment 0
		.amdhsa_system_sgpr_workgroup_id_x 1
		.amdhsa_system_sgpr_workgroup_id_y 0
		.amdhsa_system_sgpr_workgroup_id_z 0
		.amdhsa_system_sgpr_workgroup_info 0
		.amdhsa_system_vgpr_workitem_id 0
		.amdhsa_next_free_vgpr 1
		.amdhsa_next_free_sgpr 1
		.amdhsa_reserve_vcc 0
		.amdhsa_float_round_mode_32 0
		.amdhsa_float_round_mode_16_64 0
		.amdhsa_float_denorm_mode_32 3
		.amdhsa_float_denorm_mode_16_64 3
		.amdhsa_dx10_clamp 1
		.amdhsa_ieee_mode 1
		.amdhsa_fp16_overflow 0
		.amdhsa_workgroup_processor_mode 1
		.amdhsa_memory_ordered 1
		.amdhsa_forward_progress 0
		.amdhsa_shared_vgpr_count 0
		.amdhsa_exception_fp_ieee_invalid_op 0
		.amdhsa_exception_fp_denorm_src 0
		.amdhsa_exception_fp_ieee_div_zero 0
		.amdhsa_exception_fp_ieee_overflow 0
		.amdhsa_exception_fp_ieee_underflow 0
		.amdhsa_exception_fp_ieee_inexact 0
		.amdhsa_exception_int_div_zero 0
	.end_amdhsa_kernel
	.section	.text._ZN7rocprim17ROCPRIM_400000_NS6detail17trampoline_kernelINS0_14default_configENS1_22reduce_config_selectorIN6thrust23THRUST_200600_302600_NS5tupleIblNS6_9null_typeES8_S8_S8_S8_S8_S8_S8_EEEEZNS1_11reduce_implILb1ES3_NS6_12zip_iteratorINS7_INS6_11hip_rocprim26transform_input_iterator_tIbNSD_35transform_pair_of_input_iterators_tIbNS6_6detail15normal_iteratorINS6_10device_ptrIKjEEEESL_NS6_8equal_toIjEEEENSG_9not_fun_tINSD_8identityEEEEENSD_19counting_iterator_tIlEES8_S8_S8_S8_S8_S8_S8_S8_EEEEPS9_S9_NSD_9__find_if7functorIS9_EEEE10hipError_tPvRmT1_T2_T3_mT4_P12ihipStream_tbEUlT_E1_NS1_11comp_targetILNS1_3genE4ELNS1_11target_archE910ELNS1_3gpuE8ELNS1_3repE0EEENS1_30default_config_static_selectorELNS0_4arch9wavefront6targetE0EEEvS14_,"axG",@progbits,_ZN7rocprim17ROCPRIM_400000_NS6detail17trampoline_kernelINS0_14default_configENS1_22reduce_config_selectorIN6thrust23THRUST_200600_302600_NS5tupleIblNS6_9null_typeES8_S8_S8_S8_S8_S8_S8_EEEEZNS1_11reduce_implILb1ES3_NS6_12zip_iteratorINS7_INS6_11hip_rocprim26transform_input_iterator_tIbNSD_35transform_pair_of_input_iterators_tIbNS6_6detail15normal_iteratorINS6_10device_ptrIKjEEEESL_NS6_8equal_toIjEEEENSG_9not_fun_tINSD_8identityEEEEENSD_19counting_iterator_tIlEES8_S8_S8_S8_S8_S8_S8_S8_EEEEPS9_S9_NSD_9__find_if7functorIS9_EEEE10hipError_tPvRmT1_T2_T3_mT4_P12ihipStream_tbEUlT_E1_NS1_11comp_targetILNS1_3genE4ELNS1_11target_archE910ELNS1_3gpuE8ELNS1_3repE0EEENS1_30default_config_static_selectorELNS0_4arch9wavefront6targetE0EEEvS14_,comdat
.Lfunc_end494:
	.size	_ZN7rocprim17ROCPRIM_400000_NS6detail17trampoline_kernelINS0_14default_configENS1_22reduce_config_selectorIN6thrust23THRUST_200600_302600_NS5tupleIblNS6_9null_typeES8_S8_S8_S8_S8_S8_S8_EEEEZNS1_11reduce_implILb1ES3_NS6_12zip_iteratorINS7_INS6_11hip_rocprim26transform_input_iterator_tIbNSD_35transform_pair_of_input_iterators_tIbNS6_6detail15normal_iteratorINS6_10device_ptrIKjEEEESL_NS6_8equal_toIjEEEENSG_9not_fun_tINSD_8identityEEEEENSD_19counting_iterator_tIlEES8_S8_S8_S8_S8_S8_S8_S8_EEEEPS9_S9_NSD_9__find_if7functorIS9_EEEE10hipError_tPvRmT1_T2_T3_mT4_P12ihipStream_tbEUlT_E1_NS1_11comp_targetILNS1_3genE4ELNS1_11target_archE910ELNS1_3gpuE8ELNS1_3repE0EEENS1_30default_config_static_selectorELNS0_4arch9wavefront6targetE0EEEvS14_, .Lfunc_end494-_ZN7rocprim17ROCPRIM_400000_NS6detail17trampoline_kernelINS0_14default_configENS1_22reduce_config_selectorIN6thrust23THRUST_200600_302600_NS5tupleIblNS6_9null_typeES8_S8_S8_S8_S8_S8_S8_EEEEZNS1_11reduce_implILb1ES3_NS6_12zip_iteratorINS7_INS6_11hip_rocprim26transform_input_iterator_tIbNSD_35transform_pair_of_input_iterators_tIbNS6_6detail15normal_iteratorINS6_10device_ptrIKjEEEESL_NS6_8equal_toIjEEEENSG_9not_fun_tINSD_8identityEEEEENSD_19counting_iterator_tIlEES8_S8_S8_S8_S8_S8_S8_S8_EEEEPS9_S9_NSD_9__find_if7functorIS9_EEEE10hipError_tPvRmT1_T2_T3_mT4_P12ihipStream_tbEUlT_E1_NS1_11comp_targetILNS1_3genE4ELNS1_11target_archE910ELNS1_3gpuE8ELNS1_3repE0EEENS1_30default_config_static_selectorELNS0_4arch9wavefront6targetE0EEEvS14_
                                        ; -- End function
	.section	.AMDGPU.csdata,"",@progbits
; Kernel info:
; codeLenInByte = 0
; NumSgprs: 0
; NumVgprs: 0
; ScratchSize: 0
; MemoryBound: 0
; FloatMode: 240
; IeeeMode: 1
; LDSByteSize: 0 bytes/workgroup (compile time only)
; SGPRBlocks: 0
; VGPRBlocks: 0
; NumSGPRsForWavesPerEU: 1
; NumVGPRsForWavesPerEU: 1
; Occupancy: 16
; WaveLimiterHint : 0
; COMPUTE_PGM_RSRC2:SCRATCH_EN: 0
; COMPUTE_PGM_RSRC2:USER_SGPR: 15
; COMPUTE_PGM_RSRC2:TRAP_HANDLER: 0
; COMPUTE_PGM_RSRC2:TGID_X_EN: 1
; COMPUTE_PGM_RSRC2:TGID_Y_EN: 0
; COMPUTE_PGM_RSRC2:TGID_Z_EN: 0
; COMPUTE_PGM_RSRC2:TIDIG_COMP_CNT: 0
	.section	.text._ZN7rocprim17ROCPRIM_400000_NS6detail17trampoline_kernelINS0_14default_configENS1_22reduce_config_selectorIN6thrust23THRUST_200600_302600_NS5tupleIblNS6_9null_typeES8_S8_S8_S8_S8_S8_S8_EEEEZNS1_11reduce_implILb1ES3_NS6_12zip_iteratorINS7_INS6_11hip_rocprim26transform_input_iterator_tIbNSD_35transform_pair_of_input_iterators_tIbNS6_6detail15normal_iteratorINS6_10device_ptrIKjEEEESL_NS6_8equal_toIjEEEENSG_9not_fun_tINSD_8identityEEEEENSD_19counting_iterator_tIlEES8_S8_S8_S8_S8_S8_S8_S8_EEEEPS9_S9_NSD_9__find_if7functorIS9_EEEE10hipError_tPvRmT1_T2_T3_mT4_P12ihipStream_tbEUlT_E1_NS1_11comp_targetILNS1_3genE3ELNS1_11target_archE908ELNS1_3gpuE7ELNS1_3repE0EEENS1_30default_config_static_selectorELNS0_4arch9wavefront6targetE0EEEvS14_,"axG",@progbits,_ZN7rocprim17ROCPRIM_400000_NS6detail17trampoline_kernelINS0_14default_configENS1_22reduce_config_selectorIN6thrust23THRUST_200600_302600_NS5tupleIblNS6_9null_typeES8_S8_S8_S8_S8_S8_S8_EEEEZNS1_11reduce_implILb1ES3_NS6_12zip_iteratorINS7_INS6_11hip_rocprim26transform_input_iterator_tIbNSD_35transform_pair_of_input_iterators_tIbNS6_6detail15normal_iteratorINS6_10device_ptrIKjEEEESL_NS6_8equal_toIjEEEENSG_9not_fun_tINSD_8identityEEEEENSD_19counting_iterator_tIlEES8_S8_S8_S8_S8_S8_S8_S8_EEEEPS9_S9_NSD_9__find_if7functorIS9_EEEE10hipError_tPvRmT1_T2_T3_mT4_P12ihipStream_tbEUlT_E1_NS1_11comp_targetILNS1_3genE3ELNS1_11target_archE908ELNS1_3gpuE7ELNS1_3repE0EEENS1_30default_config_static_selectorELNS0_4arch9wavefront6targetE0EEEvS14_,comdat
	.protected	_ZN7rocprim17ROCPRIM_400000_NS6detail17trampoline_kernelINS0_14default_configENS1_22reduce_config_selectorIN6thrust23THRUST_200600_302600_NS5tupleIblNS6_9null_typeES8_S8_S8_S8_S8_S8_S8_EEEEZNS1_11reduce_implILb1ES3_NS6_12zip_iteratorINS7_INS6_11hip_rocprim26transform_input_iterator_tIbNSD_35transform_pair_of_input_iterators_tIbNS6_6detail15normal_iteratorINS6_10device_ptrIKjEEEESL_NS6_8equal_toIjEEEENSG_9not_fun_tINSD_8identityEEEEENSD_19counting_iterator_tIlEES8_S8_S8_S8_S8_S8_S8_S8_EEEEPS9_S9_NSD_9__find_if7functorIS9_EEEE10hipError_tPvRmT1_T2_T3_mT4_P12ihipStream_tbEUlT_E1_NS1_11comp_targetILNS1_3genE3ELNS1_11target_archE908ELNS1_3gpuE7ELNS1_3repE0EEENS1_30default_config_static_selectorELNS0_4arch9wavefront6targetE0EEEvS14_ ; -- Begin function _ZN7rocprim17ROCPRIM_400000_NS6detail17trampoline_kernelINS0_14default_configENS1_22reduce_config_selectorIN6thrust23THRUST_200600_302600_NS5tupleIblNS6_9null_typeES8_S8_S8_S8_S8_S8_S8_EEEEZNS1_11reduce_implILb1ES3_NS6_12zip_iteratorINS7_INS6_11hip_rocprim26transform_input_iterator_tIbNSD_35transform_pair_of_input_iterators_tIbNS6_6detail15normal_iteratorINS6_10device_ptrIKjEEEESL_NS6_8equal_toIjEEEENSG_9not_fun_tINSD_8identityEEEEENSD_19counting_iterator_tIlEES8_S8_S8_S8_S8_S8_S8_S8_EEEEPS9_S9_NSD_9__find_if7functorIS9_EEEE10hipError_tPvRmT1_T2_T3_mT4_P12ihipStream_tbEUlT_E1_NS1_11comp_targetILNS1_3genE3ELNS1_11target_archE908ELNS1_3gpuE7ELNS1_3repE0EEENS1_30default_config_static_selectorELNS0_4arch9wavefront6targetE0EEEvS14_
	.globl	_ZN7rocprim17ROCPRIM_400000_NS6detail17trampoline_kernelINS0_14default_configENS1_22reduce_config_selectorIN6thrust23THRUST_200600_302600_NS5tupleIblNS6_9null_typeES8_S8_S8_S8_S8_S8_S8_EEEEZNS1_11reduce_implILb1ES3_NS6_12zip_iteratorINS7_INS6_11hip_rocprim26transform_input_iterator_tIbNSD_35transform_pair_of_input_iterators_tIbNS6_6detail15normal_iteratorINS6_10device_ptrIKjEEEESL_NS6_8equal_toIjEEEENSG_9not_fun_tINSD_8identityEEEEENSD_19counting_iterator_tIlEES8_S8_S8_S8_S8_S8_S8_S8_EEEEPS9_S9_NSD_9__find_if7functorIS9_EEEE10hipError_tPvRmT1_T2_T3_mT4_P12ihipStream_tbEUlT_E1_NS1_11comp_targetILNS1_3genE3ELNS1_11target_archE908ELNS1_3gpuE7ELNS1_3repE0EEENS1_30default_config_static_selectorELNS0_4arch9wavefront6targetE0EEEvS14_
	.p2align	8
	.type	_ZN7rocprim17ROCPRIM_400000_NS6detail17trampoline_kernelINS0_14default_configENS1_22reduce_config_selectorIN6thrust23THRUST_200600_302600_NS5tupleIblNS6_9null_typeES8_S8_S8_S8_S8_S8_S8_EEEEZNS1_11reduce_implILb1ES3_NS6_12zip_iteratorINS7_INS6_11hip_rocprim26transform_input_iterator_tIbNSD_35transform_pair_of_input_iterators_tIbNS6_6detail15normal_iteratorINS6_10device_ptrIKjEEEESL_NS6_8equal_toIjEEEENSG_9not_fun_tINSD_8identityEEEEENSD_19counting_iterator_tIlEES8_S8_S8_S8_S8_S8_S8_S8_EEEEPS9_S9_NSD_9__find_if7functorIS9_EEEE10hipError_tPvRmT1_T2_T3_mT4_P12ihipStream_tbEUlT_E1_NS1_11comp_targetILNS1_3genE3ELNS1_11target_archE908ELNS1_3gpuE7ELNS1_3repE0EEENS1_30default_config_static_selectorELNS0_4arch9wavefront6targetE0EEEvS14_,@function
_ZN7rocprim17ROCPRIM_400000_NS6detail17trampoline_kernelINS0_14default_configENS1_22reduce_config_selectorIN6thrust23THRUST_200600_302600_NS5tupleIblNS6_9null_typeES8_S8_S8_S8_S8_S8_S8_EEEEZNS1_11reduce_implILb1ES3_NS6_12zip_iteratorINS7_INS6_11hip_rocprim26transform_input_iterator_tIbNSD_35transform_pair_of_input_iterators_tIbNS6_6detail15normal_iteratorINS6_10device_ptrIKjEEEESL_NS6_8equal_toIjEEEENSG_9not_fun_tINSD_8identityEEEEENSD_19counting_iterator_tIlEES8_S8_S8_S8_S8_S8_S8_S8_EEEEPS9_S9_NSD_9__find_if7functorIS9_EEEE10hipError_tPvRmT1_T2_T3_mT4_P12ihipStream_tbEUlT_E1_NS1_11comp_targetILNS1_3genE3ELNS1_11target_archE908ELNS1_3gpuE7ELNS1_3repE0EEENS1_30default_config_static_selectorELNS0_4arch9wavefront6targetE0EEEvS14_: ; @_ZN7rocprim17ROCPRIM_400000_NS6detail17trampoline_kernelINS0_14default_configENS1_22reduce_config_selectorIN6thrust23THRUST_200600_302600_NS5tupleIblNS6_9null_typeES8_S8_S8_S8_S8_S8_S8_EEEEZNS1_11reduce_implILb1ES3_NS6_12zip_iteratorINS7_INS6_11hip_rocprim26transform_input_iterator_tIbNSD_35transform_pair_of_input_iterators_tIbNS6_6detail15normal_iteratorINS6_10device_ptrIKjEEEESL_NS6_8equal_toIjEEEENSG_9not_fun_tINSD_8identityEEEEENSD_19counting_iterator_tIlEES8_S8_S8_S8_S8_S8_S8_S8_EEEEPS9_S9_NSD_9__find_if7functorIS9_EEEE10hipError_tPvRmT1_T2_T3_mT4_P12ihipStream_tbEUlT_E1_NS1_11comp_targetILNS1_3genE3ELNS1_11target_archE908ELNS1_3gpuE7ELNS1_3repE0EEENS1_30default_config_static_selectorELNS0_4arch9wavefront6targetE0EEEvS14_
; %bb.0:
	.section	.rodata,"a",@progbits
	.p2align	6, 0x0
	.amdhsa_kernel _ZN7rocprim17ROCPRIM_400000_NS6detail17trampoline_kernelINS0_14default_configENS1_22reduce_config_selectorIN6thrust23THRUST_200600_302600_NS5tupleIblNS6_9null_typeES8_S8_S8_S8_S8_S8_S8_EEEEZNS1_11reduce_implILb1ES3_NS6_12zip_iteratorINS7_INS6_11hip_rocprim26transform_input_iterator_tIbNSD_35transform_pair_of_input_iterators_tIbNS6_6detail15normal_iteratorINS6_10device_ptrIKjEEEESL_NS6_8equal_toIjEEEENSG_9not_fun_tINSD_8identityEEEEENSD_19counting_iterator_tIlEES8_S8_S8_S8_S8_S8_S8_S8_EEEEPS9_S9_NSD_9__find_if7functorIS9_EEEE10hipError_tPvRmT1_T2_T3_mT4_P12ihipStream_tbEUlT_E1_NS1_11comp_targetILNS1_3genE3ELNS1_11target_archE908ELNS1_3gpuE7ELNS1_3repE0EEENS1_30default_config_static_selectorELNS0_4arch9wavefront6targetE0EEEvS14_
		.amdhsa_group_segment_fixed_size 0
		.amdhsa_private_segment_fixed_size 0
		.amdhsa_kernarg_size 88
		.amdhsa_user_sgpr_count 15
		.amdhsa_user_sgpr_dispatch_ptr 0
		.amdhsa_user_sgpr_queue_ptr 0
		.amdhsa_user_sgpr_kernarg_segment_ptr 1
		.amdhsa_user_sgpr_dispatch_id 0
		.amdhsa_user_sgpr_private_segment_size 0
		.amdhsa_wavefront_size32 1
		.amdhsa_uses_dynamic_stack 0
		.amdhsa_enable_private_segment 0
		.amdhsa_system_sgpr_workgroup_id_x 1
		.amdhsa_system_sgpr_workgroup_id_y 0
		.amdhsa_system_sgpr_workgroup_id_z 0
		.amdhsa_system_sgpr_workgroup_info 0
		.amdhsa_system_vgpr_workitem_id 0
		.amdhsa_next_free_vgpr 1
		.amdhsa_next_free_sgpr 1
		.amdhsa_reserve_vcc 0
		.amdhsa_float_round_mode_32 0
		.amdhsa_float_round_mode_16_64 0
		.amdhsa_float_denorm_mode_32 3
		.amdhsa_float_denorm_mode_16_64 3
		.amdhsa_dx10_clamp 1
		.amdhsa_ieee_mode 1
		.amdhsa_fp16_overflow 0
		.amdhsa_workgroup_processor_mode 1
		.amdhsa_memory_ordered 1
		.amdhsa_forward_progress 0
		.amdhsa_shared_vgpr_count 0
		.amdhsa_exception_fp_ieee_invalid_op 0
		.amdhsa_exception_fp_denorm_src 0
		.amdhsa_exception_fp_ieee_div_zero 0
		.amdhsa_exception_fp_ieee_overflow 0
		.amdhsa_exception_fp_ieee_underflow 0
		.amdhsa_exception_fp_ieee_inexact 0
		.amdhsa_exception_int_div_zero 0
	.end_amdhsa_kernel
	.section	.text._ZN7rocprim17ROCPRIM_400000_NS6detail17trampoline_kernelINS0_14default_configENS1_22reduce_config_selectorIN6thrust23THRUST_200600_302600_NS5tupleIblNS6_9null_typeES8_S8_S8_S8_S8_S8_S8_EEEEZNS1_11reduce_implILb1ES3_NS6_12zip_iteratorINS7_INS6_11hip_rocprim26transform_input_iterator_tIbNSD_35transform_pair_of_input_iterators_tIbNS6_6detail15normal_iteratorINS6_10device_ptrIKjEEEESL_NS6_8equal_toIjEEEENSG_9not_fun_tINSD_8identityEEEEENSD_19counting_iterator_tIlEES8_S8_S8_S8_S8_S8_S8_S8_EEEEPS9_S9_NSD_9__find_if7functorIS9_EEEE10hipError_tPvRmT1_T2_T3_mT4_P12ihipStream_tbEUlT_E1_NS1_11comp_targetILNS1_3genE3ELNS1_11target_archE908ELNS1_3gpuE7ELNS1_3repE0EEENS1_30default_config_static_selectorELNS0_4arch9wavefront6targetE0EEEvS14_,"axG",@progbits,_ZN7rocprim17ROCPRIM_400000_NS6detail17trampoline_kernelINS0_14default_configENS1_22reduce_config_selectorIN6thrust23THRUST_200600_302600_NS5tupleIblNS6_9null_typeES8_S8_S8_S8_S8_S8_S8_EEEEZNS1_11reduce_implILb1ES3_NS6_12zip_iteratorINS7_INS6_11hip_rocprim26transform_input_iterator_tIbNSD_35transform_pair_of_input_iterators_tIbNS6_6detail15normal_iteratorINS6_10device_ptrIKjEEEESL_NS6_8equal_toIjEEEENSG_9not_fun_tINSD_8identityEEEEENSD_19counting_iterator_tIlEES8_S8_S8_S8_S8_S8_S8_S8_EEEEPS9_S9_NSD_9__find_if7functorIS9_EEEE10hipError_tPvRmT1_T2_T3_mT4_P12ihipStream_tbEUlT_E1_NS1_11comp_targetILNS1_3genE3ELNS1_11target_archE908ELNS1_3gpuE7ELNS1_3repE0EEENS1_30default_config_static_selectorELNS0_4arch9wavefront6targetE0EEEvS14_,comdat
.Lfunc_end495:
	.size	_ZN7rocprim17ROCPRIM_400000_NS6detail17trampoline_kernelINS0_14default_configENS1_22reduce_config_selectorIN6thrust23THRUST_200600_302600_NS5tupleIblNS6_9null_typeES8_S8_S8_S8_S8_S8_S8_EEEEZNS1_11reduce_implILb1ES3_NS6_12zip_iteratorINS7_INS6_11hip_rocprim26transform_input_iterator_tIbNSD_35transform_pair_of_input_iterators_tIbNS6_6detail15normal_iteratorINS6_10device_ptrIKjEEEESL_NS6_8equal_toIjEEEENSG_9not_fun_tINSD_8identityEEEEENSD_19counting_iterator_tIlEES8_S8_S8_S8_S8_S8_S8_S8_EEEEPS9_S9_NSD_9__find_if7functorIS9_EEEE10hipError_tPvRmT1_T2_T3_mT4_P12ihipStream_tbEUlT_E1_NS1_11comp_targetILNS1_3genE3ELNS1_11target_archE908ELNS1_3gpuE7ELNS1_3repE0EEENS1_30default_config_static_selectorELNS0_4arch9wavefront6targetE0EEEvS14_, .Lfunc_end495-_ZN7rocprim17ROCPRIM_400000_NS6detail17trampoline_kernelINS0_14default_configENS1_22reduce_config_selectorIN6thrust23THRUST_200600_302600_NS5tupleIblNS6_9null_typeES8_S8_S8_S8_S8_S8_S8_EEEEZNS1_11reduce_implILb1ES3_NS6_12zip_iteratorINS7_INS6_11hip_rocprim26transform_input_iterator_tIbNSD_35transform_pair_of_input_iterators_tIbNS6_6detail15normal_iteratorINS6_10device_ptrIKjEEEESL_NS6_8equal_toIjEEEENSG_9not_fun_tINSD_8identityEEEEENSD_19counting_iterator_tIlEES8_S8_S8_S8_S8_S8_S8_S8_EEEEPS9_S9_NSD_9__find_if7functorIS9_EEEE10hipError_tPvRmT1_T2_T3_mT4_P12ihipStream_tbEUlT_E1_NS1_11comp_targetILNS1_3genE3ELNS1_11target_archE908ELNS1_3gpuE7ELNS1_3repE0EEENS1_30default_config_static_selectorELNS0_4arch9wavefront6targetE0EEEvS14_
                                        ; -- End function
	.section	.AMDGPU.csdata,"",@progbits
; Kernel info:
; codeLenInByte = 0
; NumSgprs: 0
; NumVgprs: 0
; ScratchSize: 0
; MemoryBound: 0
; FloatMode: 240
; IeeeMode: 1
; LDSByteSize: 0 bytes/workgroup (compile time only)
; SGPRBlocks: 0
; VGPRBlocks: 0
; NumSGPRsForWavesPerEU: 1
; NumVGPRsForWavesPerEU: 1
; Occupancy: 16
; WaveLimiterHint : 0
; COMPUTE_PGM_RSRC2:SCRATCH_EN: 0
; COMPUTE_PGM_RSRC2:USER_SGPR: 15
; COMPUTE_PGM_RSRC2:TRAP_HANDLER: 0
; COMPUTE_PGM_RSRC2:TGID_X_EN: 1
; COMPUTE_PGM_RSRC2:TGID_Y_EN: 0
; COMPUTE_PGM_RSRC2:TGID_Z_EN: 0
; COMPUTE_PGM_RSRC2:TIDIG_COMP_CNT: 0
	.section	.text._ZN7rocprim17ROCPRIM_400000_NS6detail17trampoline_kernelINS0_14default_configENS1_22reduce_config_selectorIN6thrust23THRUST_200600_302600_NS5tupleIblNS6_9null_typeES8_S8_S8_S8_S8_S8_S8_EEEEZNS1_11reduce_implILb1ES3_NS6_12zip_iteratorINS7_INS6_11hip_rocprim26transform_input_iterator_tIbNSD_35transform_pair_of_input_iterators_tIbNS6_6detail15normal_iteratorINS6_10device_ptrIKjEEEESL_NS6_8equal_toIjEEEENSG_9not_fun_tINSD_8identityEEEEENSD_19counting_iterator_tIlEES8_S8_S8_S8_S8_S8_S8_S8_EEEEPS9_S9_NSD_9__find_if7functorIS9_EEEE10hipError_tPvRmT1_T2_T3_mT4_P12ihipStream_tbEUlT_E1_NS1_11comp_targetILNS1_3genE2ELNS1_11target_archE906ELNS1_3gpuE6ELNS1_3repE0EEENS1_30default_config_static_selectorELNS0_4arch9wavefront6targetE0EEEvS14_,"axG",@progbits,_ZN7rocprim17ROCPRIM_400000_NS6detail17trampoline_kernelINS0_14default_configENS1_22reduce_config_selectorIN6thrust23THRUST_200600_302600_NS5tupleIblNS6_9null_typeES8_S8_S8_S8_S8_S8_S8_EEEEZNS1_11reduce_implILb1ES3_NS6_12zip_iteratorINS7_INS6_11hip_rocprim26transform_input_iterator_tIbNSD_35transform_pair_of_input_iterators_tIbNS6_6detail15normal_iteratorINS6_10device_ptrIKjEEEESL_NS6_8equal_toIjEEEENSG_9not_fun_tINSD_8identityEEEEENSD_19counting_iterator_tIlEES8_S8_S8_S8_S8_S8_S8_S8_EEEEPS9_S9_NSD_9__find_if7functorIS9_EEEE10hipError_tPvRmT1_T2_T3_mT4_P12ihipStream_tbEUlT_E1_NS1_11comp_targetILNS1_3genE2ELNS1_11target_archE906ELNS1_3gpuE6ELNS1_3repE0EEENS1_30default_config_static_selectorELNS0_4arch9wavefront6targetE0EEEvS14_,comdat
	.protected	_ZN7rocprim17ROCPRIM_400000_NS6detail17trampoline_kernelINS0_14default_configENS1_22reduce_config_selectorIN6thrust23THRUST_200600_302600_NS5tupleIblNS6_9null_typeES8_S8_S8_S8_S8_S8_S8_EEEEZNS1_11reduce_implILb1ES3_NS6_12zip_iteratorINS7_INS6_11hip_rocprim26transform_input_iterator_tIbNSD_35transform_pair_of_input_iterators_tIbNS6_6detail15normal_iteratorINS6_10device_ptrIKjEEEESL_NS6_8equal_toIjEEEENSG_9not_fun_tINSD_8identityEEEEENSD_19counting_iterator_tIlEES8_S8_S8_S8_S8_S8_S8_S8_EEEEPS9_S9_NSD_9__find_if7functorIS9_EEEE10hipError_tPvRmT1_T2_T3_mT4_P12ihipStream_tbEUlT_E1_NS1_11comp_targetILNS1_3genE2ELNS1_11target_archE906ELNS1_3gpuE6ELNS1_3repE0EEENS1_30default_config_static_selectorELNS0_4arch9wavefront6targetE0EEEvS14_ ; -- Begin function _ZN7rocprim17ROCPRIM_400000_NS6detail17trampoline_kernelINS0_14default_configENS1_22reduce_config_selectorIN6thrust23THRUST_200600_302600_NS5tupleIblNS6_9null_typeES8_S8_S8_S8_S8_S8_S8_EEEEZNS1_11reduce_implILb1ES3_NS6_12zip_iteratorINS7_INS6_11hip_rocprim26transform_input_iterator_tIbNSD_35transform_pair_of_input_iterators_tIbNS6_6detail15normal_iteratorINS6_10device_ptrIKjEEEESL_NS6_8equal_toIjEEEENSG_9not_fun_tINSD_8identityEEEEENSD_19counting_iterator_tIlEES8_S8_S8_S8_S8_S8_S8_S8_EEEEPS9_S9_NSD_9__find_if7functorIS9_EEEE10hipError_tPvRmT1_T2_T3_mT4_P12ihipStream_tbEUlT_E1_NS1_11comp_targetILNS1_3genE2ELNS1_11target_archE906ELNS1_3gpuE6ELNS1_3repE0EEENS1_30default_config_static_selectorELNS0_4arch9wavefront6targetE0EEEvS14_
	.globl	_ZN7rocprim17ROCPRIM_400000_NS6detail17trampoline_kernelINS0_14default_configENS1_22reduce_config_selectorIN6thrust23THRUST_200600_302600_NS5tupleIblNS6_9null_typeES8_S8_S8_S8_S8_S8_S8_EEEEZNS1_11reduce_implILb1ES3_NS6_12zip_iteratorINS7_INS6_11hip_rocprim26transform_input_iterator_tIbNSD_35transform_pair_of_input_iterators_tIbNS6_6detail15normal_iteratorINS6_10device_ptrIKjEEEESL_NS6_8equal_toIjEEEENSG_9not_fun_tINSD_8identityEEEEENSD_19counting_iterator_tIlEES8_S8_S8_S8_S8_S8_S8_S8_EEEEPS9_S9_NSD_9__find_if7functorIS9_EEEE10hipError_tPvRmT1_T2_T3_mT4_P12ihipStream_tbEUlT_E1_NS1_11comp_targetILNS1_3genE2ELNS1_11target_archE906ELNS1_3gpuE6ELNS1_3repE0EEENS1_30default_config_static_selectorELNS0_4arch9wavefront6targetE0EEEvS14_
	.p2align	8
	.type	_ZN7rocprim17ROCPRIM_400000_NS6detail17trampoline_kernelINS0_14default_configENS1_22reduce_config_selectorIN6thrust23THRUST_200600_302600_NS5tupleIblNS6_9null_typeES8_S8_S8_S8_S8_S8_S8_EEEEZNS1_11reduce_implILb1ES3_NS6_12zip_iteratorINS7_INS6_11hip_rocprim26transform_input_iterator_tIbNSD_35transform_pair_of_input_iterators_tIbNS6_6detail15normal_iteratorINS6_10device_ptrIKjEEEESL_NS6_8equal_toIjEEEENSG_9not_fun_tINSD_8identityEEEEENSD_19counting_iterator_tIlEES8_S8_S8_S8_S8_S8_S8_S8_EEEEPS9_S9_NSD_9__find_if7functorIS9_EEEE10hipError_tPvRmT1_T2_T3_mT4_P12ihipStream_tbEUlT_E1_NS1_11comp_targetILNS1_3genE2ELNS1_11target_archE906ELNS1_3gpuE6ELNS1_3repE0EEENS1_30default_config_static_selectorELNS0_4arch9wavefront6targetE0EEEvS14_,@function
_ZN7rocprim17ROCPRIM_400000_NS6detail17trampoline_kernelINS0_14default_configENS1_22reduce_config_selectorIN6thrust23THRUST_200600_302600_NS5tupleIblNS6_9null_typeES8_S8_S8_S8_S8_S8_S8_EEEEZNS1_11reduce_implILb1ES3_NS6_12zip_iteratorINS7_INS6_11hip_rocprim26transform_input_iterator_tIbNSD_35transform_pair_of_input_iterators_tIbNS6_6detail15normal_iteratorINS6_10device_ptrIKjEEEESL_NS6_8equal_toIjEEEENSG_9not_fun_tINSD_8identityEEEEENSD_19counting_iterator_tIlEES8_S8_S8_S8_S8_S8_S8_S8_EEEEPS9_S9_NSD_9__find_if7functorIS9_EEEE10hipError_tPvRmT1_T2_T3_mT4_P12ihipStream_tbEUlT_E1_NS1_11comp_targetILNS1_3genE2ELNS1_11target_archE906ELNS1_3gpuE6ELNS1_3repE0EEENS1_30default_config_static_selectorELNS0_4arch9wavefront6targetE0EEEvS14_: ; @_ZN7rocprim17ROCPRIM_400000_NS6detail17trampoline_kernelINS0_14default_configENS1_22reduce_config_selectorIN6thrust23THRUST_200600_302600_NS5tupleIblNS6_9null_typeES8_S8_S8_S8_S8_S8_S8_EEEEZNS1_11reduce_implILb1ES3_NS6_12zip_iteratorINS7_INS6_11hip_rocprim26transform_input_iterator_tIbNSD_35transform_pair_of_input_iterators_tIbNS6_6detail15normal_iteratorINS6_10device_ptrIKjEEEESL_NS6_8equal_toIjEEEENSG_9not_fun_tINSD_8identityEEEEENSD_19counting_iterator_tIlEES8_S8_S8_S8_S8_S8_S8_S8_EEEEPS9_S9_NSD_9__find_if7functorIS9_EEEE10hipError_tPvRmT1_T2_T3_mT4_P12ihipStream_tbEUlT_E1_NS1_11comp_targetILNS1_3genE2ELNS1_11target_archE906ELNS1_3gpuE6ELNS1_3repE0EEENS1_30default_config_static_selectorELNS0_4arch9wavefront6targetE0EEEvS14_
; %bb.0:
	.section	.rodata,"a",@progbits
	.p2align	6, 0x0
	.amdhsa_kernel _ZN7rocprim17ROCPRIM_400000_NS6detail17trampoline_kernelINS0_14default_configENS1_22reduce_config_selectorIN6thrust23THRUST_200600_302600_NS5tupleIblNS6_9null_typeES8_S8_S8_S8_S8_S8_S8_EEEEZNS1_11reduce_implILb1ES3_NS6_12zip_iteratorINS7_INS6_11hip_rocprim26transform_input_iterator_tIbNSD_35transform_pair_of_input_iterators_tIbNS6_6detail15normal_iteratorINS6_10device_ptrIKjEEEESL_NS6_8equal_toIjEEEENSG_9not_fun_tINSD_8identityEEEEENSD_19counting_iterator_tIlEES8_S8_S8_S8_S8_S8_S8_S8_EEEEPS9_S9_NSD_9__find_if7functorIS9_EEEE10hipError_tPvRmT1_T2_T3_mT4_P12ihipStream_tbEUlT_E1_NS1_11comp_targetILNS1_3genE2ELNS1_11target_archE906ELNS1_3gpuE6ELNS1_3repE0EEENS1_30default_config_static_selectorELNS0_4arch9wavefront6targetE0EEEvS14_
		.amdhsa_group_segment_fixed_size 0
		.amdhsa_private_segment_fixed_size 0
		.amdhsa_kernarg_size 88
		.amdhsa_user_sgpr_count 15
		.amdhsa_user_sgpr_dispatch_ptr 0
		.amdhsa_user_sgpr_queue_ptr 0
		.amdhsa_user_sgpr_kernarg_segment_ptr 1
		.amdhsa_user_sgpr_dispatch_id 0
		.amdhsa_user_sgpr_private_segment_size 0
		.amdhsa_wavefront_size32 1
		.amdhsa_uses_dynamic_stack 0
		.amdhsa_enable_private_segment 0
		.amdhsa_system_sgpr_workgroup_id_x 1
		.amdhsa_system_sgpr_workgroup_id_y 0
		.amdhsa_system_sgpr_workgroup_id_z 0
		.amdhsa_system_sgpr_workgroup_info 0
		.amdhsa_system_vgpr_workitem_id 0
		.amdhsa_next_free_vgpr 1
		.amdhsa_next_free_sgpr 1
		.amdhsa_reserve_vcc 0
		.amdhsa_float_round_mode_32 0
		.amdhsa_float_round_mode_16_64 0
		.amdhsa_float_denorm_mode_32 3
		.amdhsa_float_denorm_mode_16_64 3
		.amdhsa_dx10_clamp 1
		.amdhsa_ieee_mode 1
		.amdhsa_fp16_overflow 0
		.amdhsa_workgroup_processor_mode 1
		.amdhsa_memory_ordered 1
		.amdhsa_forward_progress 0
		.amdhsa_shared_vgpr_count 0
		.amdhsa_exception_fp_ieee_invalid_op 0
		.amdhsa_exception_fp_denorm_src 0
		.amdhsa_exception_fp_ieee_div_zero 0
		.amdhsa_exception_fp_ieee_overflow 0
		.amdhsa_exception_fp_ieee_underflow 0
		.amdhsa_exception_fp_ieee_inexact 0
		.amdhsa_exception_int_div_zero 0
	.end_amdhsa_kernel
	.section	.text._ZN7rocprim17ROCPRIM_400000_NS6detail17trampoline_kernelINS0_14default_configENS1_22reduce_config_selectorIN6thrust23THRUST_200600_302600_NS5tupleIblNS6_9null_typeES8_S8_S8_S8_S8_S8_S8_EEEEZNS1_11reduce_implILb1ES3_NS6_12zip_iteratorINS7_INS6_11hip_rocprim26transform_input_iterator_tIbNSD_35transform_pair_of_input_iterators_tIbNS6_6detail15normal_iteratorINS6_10device_ptrIKjEEEESL_NS6_8equal_toIjEEEENSG_9not_fun_tINSD_8identityEEEEENSD_19counting_iterator_tIlEES8_S8_S8_S8_S8_S8_S8_S8_EEEEPS9_S9_NSD_9__find_if7functorIS9_EEEE10hipError_tPvRmT1_T2_T3_mT4_P12ihipStream_tbEUlT_E1_NS1_11comp_targetILNS1_3genE2ELNS1_11target_archE906ELNS1_3gpuE6ELNS1_3repE0EEENS1_30default_config_static_selectorELNS0_4arch9wavefront6targetE0EEEvS14_,"axG",@progbits,_ZN7rocprim17ROCPRIM_400000_NS6detail17trampoline_kernelINS0_14default_configENS1_22reduce_config_selectorIN6thrust23THRUST_200600_302600_NS5tupleIblNS6_9null_typeES8_S8_S8_S8_S8_S8_S8_EEEEZNS1_11reduce_implILb1ES3_NS6_12zip_iteratorINS7_INS6_11hip_rocprim26transform_input_iterator_tIbNSD_35transform_pair_of_input_iterators_tIbNS6_6detail15normal_iteratorINS6_10device_ptrIKjEEEESL_NS6_8equal_toIjEEEENSG_9not_fun_tINSD_8identityEEEEENSD_19counting_iterator_tIlEES8_S8_S8_S8_S8_S8_S8_S8_EEEEPS9_S9_NSD_9__find_if7functorIS9_EEEE10hipError_tPvRmT1_T2_T3_mT4_P12ihipStream_tbEUlT_E1_NS1_11comp_targetILNS1_3genE2ELNS1_11target_archE906ELNS1_3gpuE6ELNS1_3repE0EEENS1_30default_config_static_selectorELNS0_4arch9wavefront6targetE0EEEvS14_,comdat
.Lfunc_end496:
	.size	_ZN7rocprim17ROCPRIM_400000_NS6detail17trampoline_kernelINS0_14default_configENS1_22reduce_config_selectorIN6thrust23THRUST_200600_302600_NS5tupleIblNS6_9null_typeES8_S8_S8_S8_S8_S8_S8_EEEEZNS1_11reduce_implILb1ES3_NS6_12zip_iteratorINS7_INS6_11hip_rocprim26transform_input_iterator_tIbNSD_35transform_pair_of_input_iterators_tIbNS6_6detail15normal_iteratorINS6_10device_ptrIKjEEEESL_NS6_8equal_toIjEEEENSG_9not_fun_tINSD_8identityEEEEENSD_19counting_iterator_tIlEES8_S8_S8_S8_S8_S8_S8_S8_EEEEPS9_S9_NSD_9__find_if7functorIS9_EEEE10hipError_tPvRmT1_T2_T3_mT4_P12ihipStream_tbEUlT_E1_NS1_11comp_targetILNS1_3genE2ELNS1_11target_archE906ELNS1_3gpuE6ELNS1_3repE0EEENS1_30default_config_static_selectorELNS0_4arch9wavefront6targetE0EEEvS14_, .Lfunc_end496-_ZN7rocprim17ROCPRIM_400000_NS6detail17trampoline_kernelINS0_14default_configENS1_22reduce_config_selectorIN6thrust23THRUST_200600_302600_NS5tupleIblNS6_9null_typeES8_S8_S8_S8_S8_S8_S8_EEEEZNS1_11reduce_implILb1ES3_NS6_12zip_iteratorINS7_INS6_11hip_rocprim26transform_input_iterator_tIbNSD_35transform_pair_of_input_iterators_tIbNS6_6detail15normal_iteratorINS6_10device_ptrIKjEEEESL_NS6_8equal_toIjEEEENSG_9not_fun_tINSD_8identityEEEEENSD_19counting_iterator_tIlEES8_S8_S8_S8_S8_S8_S8_S8_EEEEPS9_S9_NSD_9__find_if7functorIS9_EEEE10hipError_tPvRmT1_T2_T3_mT4_P12ihipStream_tbEUlT_E1_NS1_11comp_targetILNS1_3genE2ELNS1_11target_archE906ELNS1_3gpuE6ELNS1_3repE0EEENS1_30default_config_static_selectorELNS0_4arch9wavefront6targetE0EEEvS14_
                                        ; -- End function
	.section	.AMDGPU.csdata,"",@progbits
; Kernel info:
; codeLenInByte = 0
; NumSgprs: 0
; NumVgprs: 0
; ScratchSize: 0
; MemoryBound: 0
; FloatMode: 240
; IeeeMode: 1
; LDSByteSize: 0 bytes/workgroup (compile time only)
; SGPRBlocks: 0
; VGPRBlocks: 0
; NumSGPRsForWavesPerEU: 1
; NumVGPRsForWavesPerEU: 1
; Occupancy: 16
; WaveLimiterHint : 0
; COMPUTE_PGM_RSRC2:SCRATCH_EN: 0
; COMPUTE_PGM_RSRC2:USER_SGPR: 15
; COMPUTE_PGM_RSRC2:TRAP_HANDLER: 0
; COMPUTE_PGM_RSRC2:TGID_X_EN: 1
; COMPUTE_PGM_RSRC2:TGID_Y_EN: 0
; COMPUTE_PGM_RSRC2:TGID_Z_EN: 0
; COMPUTE_PGM_RSRC2:TIDIG_COMP_CNT: 0
	.section	.text._ZN7rocprim17ROCPRIM_400000_NS6detail17trampoline_kernelINS0_14default_configENS1_22reduce_config_selectorIN6thrust23THRUST_200600_302600_NS5tupleIblNS6_9null_typeES8_S8_S8_S8_S8_S8_S8_EEEEZNS1_11reduce_implILb1ES3_NS6_12zip_iteratorINS7_INS6_11hip_rocprim26transform_input_iterator_tIbNSD_35transform_pair_of_input_iterators_tIbNS6_6detail15normal_iteratorINS6_10device_ptrIKjEEEESL_NS6_8equal_toIjEEEENSG_9not_fun_tINSD_8identityEEEEENSD_19counting_iterator_tIlEES8_S8_S8_S8_S8_S8_S8_S8_EEEEPS9_S9_NSD_9__find_if7functorIS9_EEEE10hipError_tPvRmT1_T2_T3_mT4_P12ihipStream_tbEUlT_E1_NS1_11comp_targetILNS1_3genE10ELNS1_11target_archE1201ELNS1_3gpuE5ELNS1_3repE0EEENS1_30default_config_static_selectorELNS0_4arch9wavefront6targetE0EEEvS14_,"axG",@progbits,_ZN7rocprim17ROCPRIM_400000_NS6detail17trampoline_kernelINS0_14default_configENS1_22reduce_config_selectorIN6thrust23THRUST_200600_302600_NS5tupleIblNS6_9null_typeES8_S8_S8_S8_S8_S8_S8_EEEEZNS1_11reduce_implILb1ES3_NS6_12zip_iteratorINS7_INS6_11hip_rocprim26transform_input_iterator_tIbNSD_35transform_pair_of_input_iterators_tIbNS6_6detail15normal_iteratorINS6_10device_ptrIKjEEEESL_NS6_8equal_toIjEEEENSG_9not_fun_tINSD_8identityEEEEENSD_19counting_iterator_tIlEES8_S8_S8_S8_S8_S8_S8_S8_EEEEPS9_S9_NSD_9__find_if7functorIS9_EEEE10hipError_tPvRmT1_T2_T3_mT4_P12ihipStream_tbEUlT_E1_NS1_11comp_targetILNS1_3genE10ELNS1_11target_archE1201ELNS1_3gpuE5ELNS1_3repE0EEENS1_30default_config_static_selectorELNS0_4arch9wavefront6targetE0EEEvS14_,comdat
	.protected	_ZN7rocprim17ROCPRIM_400000_NS6detail17trampoline_kernelINS0_14default_configENS1_22reduce_config_selectorIN6thrust23THRUST_200600_302600_NS5tupleIblNS6_9null_typeES8_S8_S8_S8_S8_S8_S8_EEEEZNS1_11reduce_implILb1ES3_NS6_12zip_iteratorINS7_INS6_11hip_rocprim26transform_input_iterator_tIbNSD_35transform_pair_of_input_iterators_tIbNS6_6detail15normal_iteratorINS6_10device_ptrIKjEEEESL_NS6_8equal_toIjEEEENSG_9not_fun_tINSD_8identityEEEEENSD_19counting_iterator_tIlEES8_S8_S8_S8_S8_S8_S8_S8_EEEEPS9_S9_NSD_9__find_if7functorIS9_EEEE10hipError_tPvRmT1_T2_T3_mT4_P12ihipStream_tbEUlT_E1_NS1_11comp_targetILNS1_3genE10ELNS1_11target_archE1201ELNS1_3gpuE5ELNS1_3repE0EEENS1_30default_config_static_selectorELNS0_4arch9wavefront6targetE0EEEvS14_ ; -- Begin function _ZN7rocprim17ROCPRIM_400000_NS6detail17trampoline_kernelINS0_14default_configENS1_22reduce_config_selectorIN6thrust23THRUST_200600_302600_NS5tupleIblNS6_9null_typeES8_S8_S8_S8_S8_S8_S8_EEEEZNS1_11reduce_implILb1ES3_NS6_12zip_iteratorINS7_INS6_11hip_rocprim26transform_input_iterator_tIbNSD_35transform_pair_of_input_iterators_tIbNS6_6detail15normal_iteratorINS6_10device_ptrIKjEEEESL_NS6_8equal_toIjEEEENSG_9not_fun_tINSD_8identityEEEEENSD_19counting_iterator_tIlEES8_S8_S8_S8_S8_S8_S8_S8_EEEEPS9_S9_NSD_9__find_if7functorIS9_EEEE10hipError_tPvRmT1_T2_T3_mT4_P12ihipStream_tbEUlT_E1_NS1_11comp_targetILNS1_3genE10ELNS1_11target_archE1201ELNS1_3gpuE5ELNS1_3repE0EEENS1_30default_config_static_selectorELNS0_4arch9wavefront6targetE0EEEvS14_
	.globl	_ZN7rocprim17ROCPRIM_400000_NS6detail17trampoline_kernelINS0_14default_configENS1_22reduce_config_selectorIN6thrust23THRUST_200600_302600_NS5tupleIblNS6_9null_typeES8_S8_S8_S8_S8_S8_S8_EEEEZNS1_11reduce_implILb1ES3_NS6_12zip_iteratorINS7_INS6_11hip_rocprim26transform_input_iterator_tIbNSD_35transform_pair_of_input_iterators_tIbNS6_6detail15normal_iteratorINS6_10device_ptrIKjEEEESL_NS6_8equal_toIjEEEENSG_9not_fun_tINSD_8identityEEEEENSD_19counting_iterator_tIlEES8_S8_S8_S8_S8_S8_S8_S8_EEEEPS9_S9_NSD_9__find_if7functorIS9_EEEE10hipError_tPvRmT1_T2_T3_mT4_P12ihipStream_tbEUlT_E1_NS1_11comp_targetILNS1_3genE10ELNS1_11target_archE1201ELNS1_3gpuE5ELNS1_3repE0EEENS1_30default_config_static_selectorELNS0_4arch9wavefront6targetE0EEEvS14_
	.p2align	8
	.type	_ZN7rocprim17ROCPRIM_400000_NS6detail17trampoline_kernelINS0_14default_configENS1_22reduce_config_selectorIN6thrust23THRUST_200600_302600_NS5tupleIblNS6_9null_typeES8_S8_S8_S8_S8_S8_S8_EEEEZNS1_11reduce_implILb1ES3_NS6_12zip_iteratorINS7_INS6_11hip_rocprim26transform_input_iterator_tIbNSD_35transform_pair_of_input_iterators_tIbNS6_6detail15normal_iteratorINS6_10device_ptrIKjEEEESL_NS6_8equal_toIjEEEENSG_9not_fun_tINSD_8identityEEEEENSD_19counting_iterator_tIlEES8_S8_S8_S8_S8_S8_S8_S8_EEEEPS9_S9_NSD_9__find_if7functorIS9_EEEE10hipError_tPvRmT1_T2_T3_mT4_P12ihipStream_tbEUlT_E1_NS1_11comp_targetILNS1_3genE10ELNS1_11target_archE1201ELNS1_3gpuE5ELNS1_3repE0EEENS1_30default_config_static_selectorELNS0_4arch9wavefront6targetE0EEEvS14_,@function
_ZN7rocprim17ROCPRIM_400000_NS6detail17trampoline_kernelINS0_14default_configENS1_22reduce_config_selectorIN6thrust23THRUST_200600_302600_NS5tupleIblNS6_9null_typeES8_S8_S8_S8_S8_S8_S8_EEEEZNS1_11reduce_implILb1ES3_NS6_12zip_iteratorINS7_INS6_11hip_rocprim26transform_input_iterator_tIbNSD_35transform_pair_of_input_iterators_tIbNS6_6detail15normal_iteratorINS6_10device_ptrIKjEEEESL_NS6_8equal_toIjEEEENSG_9not_fun_tINSD_8identityEEEEENSD_19counting_iterator_tIlEES8_S8_S8_S8_S8_S8_S8_S8_EEEEPS9_S9_NSD_9__find_if7functorIS9_EEEE10hipError_tPvRmT1_T2_T3_mT4_P12ihipStream_tbEUlT_E1_NS1_11comp_targetILNS1_3genE10ELNS1_11target_archE1201ELNS1_3gpuE5ELNS1_3repE0EEENS1_30default_config_static_selectorELNS0_4arch9wavefront6targetE0EEEvS14_: ; @_ZN7rocprim17ROCPRIM_400000_NS6detail17trampoline_kernelINS0_14default_configENS1_22reduce_config_selectorIN6thrust23THRUST_200600_302600_NS5tupleIblNS6_9null_typeES8_S8_S8_S8_S8_S8_S8_EEEEZNS1_11reduce_implILb1ES3_NS6_12zip_iteratorINS7_INS6_11hip_rocprim26transform_input_iterator_tIbNSD_35transform_pair_of_input_iterators_tIbNS6_6detail15normal_iteratorINS6_10device_ptrIKjEEEESL_NS6_8equal_toIjEEEENSG_9not_fun_tINSD_8identityEEEEENSD_19counting_iterator_tIlEES8_S8_S8_S8_S8_S8_S8_S8_EEEEPS9_S9_NSD_9__find_if7functorIS9_EEEE10hipError_tPvRmT1_T2_T3_mT4_P12ihipStream_tbEUlT_E1_NS1_11comp_targetILNS1_3genE10ELNS1_11target_archE1201ELNS1_3gpuE5ELNS1_3repE0EEENS1_30default_config_static_selectorELNS0_4arch9wavefront6targetE0EEEvS14_
; %bb.0:
	.section	.rodata,"a",@progbits
	.p2align	6, 0x0
	.amdhsa_kernel _ZN7rocprim17ROCPRIM_400000_NS6detail17trampoline_kernelINS0_14default_configENS1_22reduce_config_selectorIN6thrust23THRUST_200600_302600_NS5tupleIblNS6_9null_typeES8_S8_S8_S8_S8_S8_S8_EEEEZNS1_11reduce_implILb1ES3_NS6_12zip_iteratorINS7_INS6_11hip_rocprim26transform_input_iterator_tIbNSD_35transform_pair_of_input_iterators_tIbNS6_6detail15normal_iteratorINS6_10device_ptrIKjEEEESL_NS6_8equal_toIjEEEENSG_9not_fun_tINSD_8identityEEEEENSD_19counting_iterator_tIlEES8_S8_S8_S8_S8_S8_S8_S8_EEEEPS9_S9_NSD_9__find_if7functorIS9_EEEE10hipError_tPvRmT1_T2_T3_mT4_P12ihipStream_tbEUlT_E1_NS1_11comp_targetILNS1_3genE10ELNS1_11target_archE1201ELNS1_3gpuE5ELNS1_3repE0EEENS1_30default_config_static_selectorELNS0_4arch9wavefront6targetE0EEEvS14_
		.amdhsa_group_segment_fixed_size 0
		.amdhsa_private_segment_fixed_size 0
		.amdhsa_kernarg_size 88
		.amdhsa_user_sgpr_count 15
		.amdhsa_user_sgpr_dispatch_ptr 0
		.amdhsa_user_sgpr_queue_ptr 0
		.amdhsa_user_sgpr_kernarg_segment_ptr 1
		.amdhsa_user_sgpr_dispatch_id 0
		.amdhsa_user_sgpr_private_segment_size 0
		.amdhsa_wavefront_size32 1
		.amdhsa_uses_dynamic_stack 0
		.amdhsa_enable_private_segment 0
		.amdhsa_system_sgpr_workgroup_id_x 1
		.amdhsa_system_sgpr_workgroup_id_y 0
		.amdhsa_system_sgpr_workgroup_id_z 0
		.amdhsa_system_sgpr_workgroup_info 0
		.amdhsa_system_vgpr_workitem_id 0
		.amdhsa_next_free_vgpr 1
		.amdhsa_next_free_sgpr 1
		.amdhsa_reserve_vcc 0
		.amdhsa_float_round_mode_32 0
		.amdhsa_float_round_mode_16_64 0
		.amdhsa_float_denorm_mode_32 3
		.amdhsa_float_denorm_mode_16_64 3
		.amdhsa_dx10_clamp 1
		.amdhsa_ieee_mode 1
		.amdhsa_fp16_overflow 0
		.amdhsa_workgroup_processor_mode 1
		.amdhsa_memory_ordered 1
		.amdhsa_forward_progress 0
		.amdhsa_shared_vgpr_count 0
		.amdhsa_exception_fp_ieee_invalid_op 0
		.amdhsa_exception_fp_denorm_src 0
		.amdhsa_exception_fp_ieee_div_zero 0
		.amdhsa_exception_fp_ieee_overflow 0
		.amdhsa_exception_fp_ieee_underflow 0
		.amdhsa_exception_fp_ieee_inexact 0
		.amdhsa_exception_int_div_zero 0
	.end_amdhsa_kernel
	.section	.text._ZN7rocprim17ROCPRIM_400000_NS6detail17trampoline_kernelINS0_14default_configENS1_22reduce_config_selectorIN6thrust23THRUST_200600_302600_NS5tupleIblNS6_9null_typeES8_S8_S8_S8_S8_S8_S8_EEEEZNS1_11reduce_implILb1ES3_NS6_12zip_iteratorINS7_INS6_11hip_rocprim26transform_input_iterator_tIbNSD_35transform_pair_of_input_iterators_tIbNS6_6detail15normal_iteratorINS6_10device_ptrIKjEEEESL_NS6_8equal_toIjEEEENSG_9not_fun_tINSD_8identityEEEEENSD_19counting_iterator_tIlEES8_S8_S8_S8_S8_S8_S8_S8_EEEEPS9_S9_NSD_9__find_if7functorIS9_EEEE10hipError_tPvRmT1_T2_T3_mT4_P12ihipStream_tbEUlT_E1_NS1_11comp_targetILNS1_3genE10ELNS1_11target_archE1201ELNS1_3gpuE5ELNS1_3repE0EEENS1_30default_config_static_selectorELNS0_4arch9wavefront6targetE0EEEvS14_,"axG",@progbits,_ZN7rocprim17ROCPRIM_400000_NS6detail17trampoline_kernelINS0_14default_configENS1_22reduce_config_selectorIN6thrust23THRUST_200600_302600_NS5tupleIblNS6_9null_typeES8_S8_S8_S8_S8_S8_S8_EEEEZNS1_11reduce_implILb1ES3_NS6_12zip_iteratorINS7_INS6_11hip_rocprim26transform_input_iterator_tIbNSD_35transform_pair_of_input_iterators_tIbNS6_6detail15normal_iteratorINS6_10device_ptrIKjEEEESL_NS6_8equal_toIjEEEENSG_9not_fun_tINSD_8identityEEEEENSD_19counting_iterator_tIlEES8_S8_S8_S8_S8_S8_S8_S8_EEEEPS9_S9_NSD_9__find_if7functorIS9_EEEE10hipError_tPvRmT1_T2_T3_mT4_P12ihipStream_tbEUlT_E1_NS1_11comp_targetILNS1_3genE10ELNS1_11target_archE1201ELNS1_3gpuE5ELNS1_3repE0EEENS1_30default_config_static_selectorELNS0_4arch9wavefront6targetE0EEEvS14_,comdat
.Lfunc_end497:
	.size	_ZN7rocprim17ROCPRIM_400000_NS6detail17trampoline_kernelINS0_14default_configENS1_22reduce_config_selectorIN6thrust23THRUST_200600_302600_NS5tupleIblNS6_9null_typeES8_S8_S8_S8_S8_S8_S8_EEEEZNS1_11reduce_implILb1ES3_NS6_12zip_iteratorINS7_INS6_11hip_rocprim26transform_input_iterator_tIbNSD_35transform_pair_of_input_iterators_tIbNS6_6detail15normal_iteratorINS6_10device_ptrIKjEEEESL_NS6_8equal_toIjEEEENSG_9not_fun_tINSD_8identityEEEEENSD_19counting_iterator_tIlEES8_S8_S8_S8_S8_S8_S8_S8_EEEEPS9_S9_NSD_9__find_if7functorIS9_EEEE10hipError_tPvRmT1_T2_T3_mT4_P12ihipStream_tbEUlT_E1_NS1_11comp_targetILNS1_3genE10ELNS1_11target_archE1201ELNS1_3gpuE5ELNS1_3repE0EEENS1_30default_config_static_selectorELNS0_4arch9wavefront6targetE0EEEvS14_, .Lfunc_end497-_ZN7rocprim17ROCPRIM_400000_NS6detail17trampoline_kernelINS0_14default_configENS1_22reduce_config_selectorIN6thrust23THRUST_200600_302600_NS5tupleIblNS6_9null_typeES8_S8_S8_S8_S8_S8_S8_EEEEZNS1_11reduce_implILb1ES3_NS6_12zip_iteratorINS7_INS6_11hip_rocprim26transform_input_iterator_tIbNSD_35transform_pair_of_input_iterators_tIbNS6_6detail15normal_iteratorINS6_10device_ptrIKjEEEESL_NS6_8equal_toIjEEEENSG_9not_fun_tINSD_8identityEEEEENSD_19counting_iterator_tIlEES8_S8_S8_S8_S8_S8_S8_S8_EEEEPS9_S9_NSD_9__find_if7functorIS9_EEEE10hipError_tPvRmT1_T2_T3_mT4_P12ihipStream_tbEUlT_E1_NS1_11comp_targetILNS1_3genE10ELNS1_11target_archE1201ELNS1_3gpuE5ELNS1_3repE0EEENS1_30default_config_static_selectorELNS0_4arch9wavefront6targetE0EEEvS14_
                                        ; -- End function
	.section	.AMDGPU.csdata,"",@progbits
; Kernel info:
; codeLenInByte = 0
; NumSgprs: 0
; NumVgprs: 0
; ScratchSize: 0
; MemoryBound: 0
; FloatMode: 240
; IeeeMode: 1
; LDSByteSize: 0 bytes/workgroup (compile time only)
; SGPRBlocks: 0
; VGPRBlocks: 0
; NumSGPRsForWavesPerEU: 1
; NumVGPRsForWavesPerEU: 1
; Occupancy: 16
; WaveLimiterHint : 0
; COMPUTE_PGM_RSRC2:SCRATCH_EN: 0
; COMPUTE_PGM_RSRC2:USER_SGPR: 15
; COMPUTE_PGM_RSRC2:TRAP_HANDLER: 0
; COMPUTE_PGM_RSRC2:TGID_X_EN: 1
; COMPUTE_PGM_RSRC2:TGID_Y_EN: 0
; COMPUTE_PGM_RSRC2:TGID_Z_EN: 0
; COMPUTE_PGM_RSRC2:TIDIG_COMP_CNT: 0
	.section	.text._ZN7rocprim17ROCPRIM_400000_NS6detail17trampoline_kernelINS0_14default_configENS1_22reduce_config_selectorIN6thrust23THRUST_200600_302600_NS5tupleIblNS6_9null_typeES8_S8_S8_S8_S8_S8_S8_EEEEZNS1_11reduce_implILb1ES3_NS6_12zip_iteratorINS7_INS6_11hip_rocprim26transform_input_iterator_tIbNSD_35transform_pair_of_input_iterators_tIbNS6_6detail15normal_iteratorINS6_10device_ptrIKjEEEESL_NS6_8equal_toIjEEEENSG_9not_fun_tINSD_8identityEEEEENSD_19counting_iterator_tIlEES8_S8_S8_S8_S8_S8_S8_S8_EEEEPS9_S9_NSD_9__find_if7functorIS9_EEEE10hipError_tPvRmT1_T2_T3_mT4_P12ihipStream_tbEUlT_E1_NS1_11comp_targetILNS1_3genE10ELNS1_11target_archE1200ELNS1_3gpuE4ELNS1_3repE0EEENS1_30default_config_static_selectorELNS0_4arch9wavefront6targetE0EEEvS14_,"axG",@progbits,_ZN7rocprim17ROCPRIM_400000_NS6detail17trampoline_kernelINS0_14default_configENS1_22reduce_config_selectorIN6thrust23THRUST_200600_302600_NS5tupleIblNS6_9null_typeES8_S8_S8_S8_S8_S8_S8_EEEEZNS1_11reduce_implILb1ES3_NS6_12zip_iteratorINS7_INS6_11hip_rocprim26transform_input_iterator_tIbNSD_35transform_pair_of_input_iterators_tIbNS6_6detail15normal_iteratorINS6_10device_ptrIKjEEEESL_NS6_8equal_toIjEEEENSG_9not_fun_tINSD_8identityEEEEENSD_19counting_iterator_tIlEES8_S8_S8_S8_S8_S8_S8_S8_EEEEPS9_S9_NSD_9__find_if7functorIS9_EEEE10hipError_tPvRmT1_T2_T3_mT4_P12ihipStream_tbEUlT_E1_NS1_11comp_targetILNS1_3genE10ELNS1_11target_archE1200ELNS1_3gpuE4ELNS1_3repE0EEENS1_30default_config_static_selectorELNS0_4arch9wavefront6targetE0EEEvS14_,comdat
	.protected	_ZN7rocprim17ROCPRIM_400000_NS6detail17trampoline_kernelINS0_14default_configENS1_22reduce_config_selectorIN6thrust23THRUST_200600_302600_NS5tupleIblNS6_9null_typeES8_S8_S8_S8_S8_S8_S8_EEEEZNS1_11reduce_implILb1ES3_NS6_12zip_iteratorINS7_INS6_11hip_rocprim26transform_input_iterator_tIbNSD_35transform_pair_of_input_iterators_tIbNS6_6detail15normal_iteratorINS6_10device_ptrIKjEEEESL_NS6_8equal_toIjEEEENSG_9not_fun_tINSD_8identityEEEEENSD_19counting_iterator_tIlEES8_S8_S8_S8_S8_S8_S8_S8_EEEEPS9_S9_NSD_9__find_if7functorIS9_EEEE10hipError_tPvRmT1_T2_T3_mT4_P12ihipStream_tbEUlT_E1_NS1_11comp_targetILNS1_3genE10ELNS1_11target_archE1200ELNS1_3gpuE4ELNS1_3repE0EEENS1_30default_config_static_selectorELNS0_4arch9wavefront6targetE0EEEvS14_ ; -- Begin function _ZN7rocprim17ROCPRIM_400000_NS6detail17trampoline_kernelINS0_14default_configENS1_22reduce_config_selectorIN6thrust23THRUST_200600_302600_NS5tupleIblNS6_9null_typeES8_S8_S8_S8_S8_S8_S8_EEEEZNS1_11reduce_implILb1ES3_NS6_12zip_iteratorINS7_INS6_11hip_rocprim26transform_input_iterator_tIbNSD_35transform_pair_of_input_iterators_tIbNS6_6detail15normal_iteratorINS6_10device_ptrIKjEEEESL_NS6_8equal_toIjEEEENSG_9not_fun_tINSD_8identityEEEEENSD_19counting_iterator_tIlEES8_S8_S8_S8_S8_S8_S8_S8_EEEEPS9_S9_NSD_9__find_if7functorIS9_EEEE10hipError_tPvRmT1_T2_T3_mT4_P12ihipStream_tbEUlT_E1_NS1_11comp_targetILNS1_3genE10ELNS1_11target_archE1200ELNS1_3gpuE4ELNS1_3repE0EEENS1_30default_config_static_selectorELNS0_4arch9wavefront6targetE0EEEvS14_
	.globl	_ZN7rocprim17ROCPRIM_400000_NS6detail17trampoline_kernelINS0_14default_configENS1_22reduce_config_selectorIN6thrust23THRUST_200600_302600_NS5tupleIblNS6_9null_typeES8_S8_S8_S8_S8_S8_S8_EEEEZNS1_11reduce_implILb1ES3_NS6_12zip_iteratorINS7_INS6_11hip_rocprim26transform_input_iterator_tIbNSD_35transform_pair_of_input_iterators_tIbNS6_6detail15normal_iteratorINS6_10device_ptrIKjEEEESL_NS6_8equal_toIjEEEENSG_9not_fun_tINSD_8identityEEEEENSD_19counting_iterator_tIlEES8_S8_S8_S8_S8_S8_S8_S8_EEEEPS9_S9_NSD_9__find_if7functorIS9_EEEE10hipError_tPvRmT1_T2_T3_mT4_P12ihipStream_tbEUlT_E1_NS1_11comp_targetILNS1_3genE10ELNS1_11target_archE1200ELNS1_3gpuE4ELNS1_3repE0EEENS1_30default_config_static_selectorELNS0_4arch9wavefront6targetE0EEEvS14_
	.p2align	8
	.type	_ZN7rocprim17ROCPRIM_400000_NS6detail17trampoline_kernelINS0_14default_configENS1_22reduce_config_selectorIN6thrust23THRUST_200600_302600_NS5tupleIblNS6_9null_typeES8_S8_S8_S8_S8_S8_S8_EEEEZNS1_11reduce_implILb1ES3_NS6_12zip_iteratorINS7_INS6_11hip_rocprim26transform_input_iterator_tIbNSD_35transform_pair_of_input_iterators_tIbNS6_6detail15normal_iteratorINS6_10device_ptrIKjEEEESL_NS6_8equal_toIjEEEENSG_9not_fun_tINSD_8identityEEEEENSD_19counting_iterator_tIlEES8_S8_S8_S8_S8_S8_S8_S8_EEEEPS9_S9_NSD_9__find_if7functorIS9_EEEE10hipError_tPvRmT1_T2_T3_mT4_P12ihipStream_tbEUlT_E1_NS1_11comp_targetILNS1_3genE10ELNS1_11target_archE1200ELNS1_3gpuE4ELNS1_3repE0EEENS1_30default_config_static_selectorELNS0_4arch9wavefront6targetE0EEEvS14_,@function
_ZN7rocprim17ROCPRIM_400000_NS6detail17trampoline_kernelINS0_14default_configENS1_22reduce_config_selectorIN6thrust23THRUST_200600_302600_NS5tupleIblNS6_9null_typeES8_S8_S8_S8_S8_S8_S8_EEEEZNS1_11reduce_implILb1ES3_NS6_12zip_iteratorINS7_INS6_11hip_rocprim26transform_input_iterator_tIbNSD_35transform_pair_of_input_iterators_tIbNS6_6detail15normal_iteratorINS6_10device_ptrIKjEEEESL_NS6_8equal_toIjEEEENSG_9not_fun_tINSD_8identityEEEEENSD_19counting_iterator_tIlEES8_S8_S8_S8_S8_S8_S8_S8_EEEEPS9_S9_NSD_9__find_if7functorIS9_EEEE10hipError_tPvRmT1_T2_T3_mT4_P12ihipStream_tbEUlT_E1_NS1_11comp_targetILNS1_3genE10ELNS1_11target_archE1200ELNS1_3gpuE4ELNS1_3repE0EEENS1_30default_config_static_selectorELNS0_4arch9wavefront6targetE0EEEvS14_: ; @_ZN7rocprim17ROCPRIM_400000_NS6detail17trampoline_kernelINS0_14default_configENS1_22reduce_config_selectorIN6thrust23THRUST_200600_302600_NS5tupleIblNS6_9null_typeES8_S8_S8_S8_S8_S8_S8_EEEEZNS1_11reduce_implILb1ES3_NS6_12zip_iteratorINS7_INS6_11hip_rocprim26transform_input_iterator_tIbNSD_35transform_pair_of_input_iterators_tIbNS6_6detail15normal_iteratorINS6_10device_ptrIKjEEEESL_NS6_8equal_toIjEEEENSG_9not_fun_tINSD_8identityEEEEENSD_19counting_iterator_tIlEES8_S8_S8_S8_S8_S8_S8_S8_EEEEPS9_S9_NSD_9__find_if7functorIS9_EEEE10hipError_tPvRmT1_T2_T3_mT4_P12ihipStream_tbEUlT_E1_NS1_11comp_targetILNS1_3genE10ELNS1_11target_archE1200ELNS1_3gpuE4ELNS1_3repE0EEENS1_30default_config_static_selectorELNS0_4arch9wavefront6targetE0EEEvS14_
; %bb.0:
	.section	.rodata,"a",@progbits
	.p2align	6, 0x0
	.amdhsa_kernel _ZN7rocprim17ROCPRIM_400000_NS6detail17trampoline_kernelINS0_14default_configENS1_22reduce_config_selectorIN6thrust23THRUST_200600_302600_NS5tupleIblNS6_9null_typeES8_S8_S8_S8_S8_S8_S8_EEEEZNS1_11reduce_implILb1ES3_NS6_12zip_iteratorINS7_INS6_11hip_rocprim26transform_input_iterator_tIbNSD_35transform_pair_of_input_iterators_tIbNS6_6detail15normal_iteratorINS6_10device_ptrIKjEEEESL_NS6_8equal_toIjEEEENSG_9not_fun_tINSD_8identityEEEEENSD_19counting_iterator_tIlEES8_S8_S8_S8_S8_S8_S8_S8_EEEEPS9_S9_NSD_9__find_if7functorIS9_EEEE10hipError_tPvRmT1_T2_T3_mT4_P12ihipStream_tbEUlT_E1_NS1_11comp_targetILNS1_3genE10ELNS1_11target_archE1200ELNS1_3gpuE4ELNS1_3repE0EEENS1_30default_config_static_selectorELNS0_4arch9wavefront6targetE0EEEvS14_
		.amdhsa_group_segment_fixed_size 0
		.amdhsa_private_segment_fixed_size 0
		.amdhsa_kernarg_size 88
		.amdhsa_user_sgpr_count 15
		.amdhsa_user_sgpr_dispatch_ptr 0
		.amdhsa_user_sgpr_queue_ptr 0
		.amdhsa_user_sgpr_kernarg_segment_ptr 1
		.amdhsa_user_sgpr_dispatch_id 0
		.amdhsa_user_sgpr_private_segment_size 0
		.amdhsa_wavefront_size32 1
		.amdhsa_uses_dynamic_stack 0
		.amdhsa_enable_private_segment 0
		.amdhsa_system_sgpr_workgroup_id_x 1
		.amdhsa_system_sgpr_workgroup_id_y 0
		.amdhsa_system_sgpr_workgroup_id_z 0
		.amdhsa_system_sgpr_workgroup_info 0
		.amdhsa_system_vgpr_workitem_id 0
		.amdhsa_next_free_vgpr 1
		.amdhsa_next_free_sgpr 1
		.amdhsa_reserve_vcc 0
		.amdhsa_float_round_mode_32 0
		.amdhsa_float_round_mode_16_64 0
		.amdhsa_float_denorm_mode_32 3
		.amdhsa_float_denorm_mode_16_64 3
		.amdhsa_dx10_clamp 1
		.amdhsa_ieee_mode 1
		.amdhsa_fp16_overflow 0
		.amdhsa_workgroup_processor_mode 1
		.amdhsa_memory_ordered 1
		.amdhsa_forward_progress 0
		.amdhsa_shared_vgpr_count 0
		.amdhsa_exception_fp_ieee_invalid_op 0
		.amdhsa_exception_fp_denorm_src 0
		.amdhsa_exception_fp_ieee_div_zero 0
		.amdhsa_exception_fp_ieee_overflow 0
		.amdhsa_exception_fp_ieee_underflow 0
		.amdhsa_exception_fp_ieee_inexact 0
		.amdhsa_exception_int_div_zero 0
	.end_amdhsa_kernel
	.section	.text._ZN7rocprim17ROCPRIM_400000_NS6detail17trampoline_kernelINS0_14default_configENS1_22reduce_config_selectorIN6thrust23THRUST_200600_302600_NS5tupleIblNS6_9null_typeES8_S8_S8_S8_S8_S8_S8_EEEEZNS1_11reduce_implILb1ES3_NS6_12zip_iteratorINS7_INS6_11hip_rocprim26transform_input_iterator_tIbNSD_35transform_pair_of_input_iterators_tIbNS6_6detail15normal_iteratorINS6_10device_ptrIKjEEEESL_NS6_8equal_toIjEEEENSG_9not_fun_tINSD_8identityEEEEENSD_19counting_iterator_tIlEES8_S8_S8_S8_S8_S8_S8_S8_EEEEPS9_S9_NSD_9__find_if7functorIS9_EEEE10hipError_tPvRmT1_T2_T3_mT4_P12ihipStream_tbEUlT_E1_NS1_11comp_targetILNS1_3genE10ELNS1_11target_archE1200ELNS1_3gpuE4ELNS1_3repE0EEENS1_30default_config_static_selectorELNS0_4arch9wavefront6targetE0EEEvS14_,"axG",@progbits,_ZN7rocprim17ROCPRIM_400000_NS6detail17trampoline_kernelINS0_14default_configENS1_22reduce_config_selectorIN6thrust23THRUST_200600_302600_NS5tupleIblNS6_9null_typeES8_S8_S8_S8_S8_S8_S8_EEEEZNS1_11reduce_implILb1ES3_NS6_12zip_iteratorINS7_INS6_11hip_rocprim26transform_input_iterator_tIbNSD_35transform_pair_of_input_iterators_tIbNS6_6detail15normal_iteratorINS6_10device_ptrIKjEEEESL_NS6_8equal_toIjEEEENSG_9not_fun_tINSD_8identityEEEEENSD_19counting_iterator_tIlEES8_S8_S8_S8_S8_S8_S8_S8_EEEEPS9_S9_NSD_9__find_if7functorIS9_EEEE10hipError_tPvRmT1_T2_T3_mT4_P12ihipStream_tbEUlT_E1_NS1_11comp_targetILNS1_3genE10ELNS1_11target_archE1200ELNS1_3gpuE4ELNS1_3repE0EEENS1_30default_config_static_selectorELNS0_4arch9wavefront6targetE0EEEvS14_,comdat
.Lfunc_end498:
	.size	_ZN7rocprim17ROCPRIM_400000_NS6detail17trampoline_kernelINS0_14default_configENS1_22reduce_config_selectorIN6thrust23THRUST_200600_302600_NS5tupleIblNS6_9null_typeES8_S8_S8_S8_S8_S8_S8_EEEEZNS1_11reduce_implILb1ES3_NS6_12zip_iteratorINS7_INS6_11hip_rocprim26transform_input_iterator_tIbNSD_35transform_pair_of_input_iterators_tIbNS6_6detail15normal_iteratorINS6_10device_ptrIKjEEEESL_NS6_8equal_toIjEEEENSG_9not_fun_tINSD_8identityEEEEENSD_19counting_iterator_tIlEES8_S8_S8_S8_S8_S8_S8_S8_EEEEPS9_S9_NSD_9__find_if7functorIS9_EEEE10hipError_tPvRmT1_T2_T3_mT4_P12ihipStream_tbEUlT_E1_NS1_11comp_targetILNS1_3genE10ELNS1_11target_archE1200ELNS1_3gpuE4ELNS1_3repE0EEENS1_30default_config_static_selectorELNS0_4arch9wavefront6targetE0EEEvS14_, .Lfunc_end498-_ZN7rocprim17ROCPRIM_400000_NS6detail17trampoline_kernelINS0_14default_configENS1_22reduce_config_selectorIN6thrust23THRUST_200600_302600_NS5tupleIblNS6_9null_typeES8_S8_S8_S8_S8_S8_S8_EEEEZNS1_11reduce_implILb1ES3_NS6_12zip_iteratorINS7_INS6_11hip_rocprim26transform_input_iterator_tIbNSD_35transform_pair_of_input_iterators_tIbNS6_6detail15normal_iteratorINS6_10device_ptrIKjEEEESL_NS6_8equal_toIjEEEENSG_9not_fun_tINSD_8identityEEEEENSD_19counting_iterator_tIlEES8_S8_S8_S8_S8_S8_S8_S8_EEEEPS9_S9_NSD_9__find_if7functorIS9_EEEE10hipError_tPvRmT1_T2_T3_mT4_P12ihipStream_tbEUlT_E1_NS1_11comp_targetILNS1_3genE10ELNS1_11target_archE1200ELNS1_3gpuE4ELNS1_3repE0EEENS1_30default_config_static_selectorELNS0_4arch9wavefront6targetE0EEEvS14_
                                        ; -- End function
	.section	.AMDGPU.csdata,"",@progbits
; Kernel info:
; codeLenInByte = 0
; NumSgprs: 0
; NumVgprs: 0
; ScratchSize: 0
; MemoryBound: 0
; FloatMode: 240
; IeeeMode: 1
; LDSByteSize: 0 bytes/workgroup (compile time only)
; SGPRBlocks: 0
; VGPRBlocks: 0
; NumSGPRsForWavesPerEU: 1
; NumVGPRsForWavesPerEU: 1
; Occupancy: 16
; WaveLimiterHint : 0
; COMPUTE_PGM_RSRC2:SCRATCH_EN: 0
; COMPUTE_PGM_RSRC2:USER_SGPR: 15
; COMPUTE_PGM_RSRC2:TRAP_HANDLER: 0
; COMPUTE_PGM_RSRC2:TGID_X_EN: 1
; COMPUTE_PGM_RSRC2:TGID_Y_EN: 0
; COMPUTE_PGM_RSRC2:TGID_Z_EN: 0
; COMPUTE_PGM_RSRC2:TIDIG_COMP_CNT: 0
	.section	.text._ZN7rocprim17ROCPRIM_400000_NS6detail17trampoline_kernelINS0_14default_configENS1_22reduce_config_selectorIN6thrust23THRUST_200600_302600_NS5tupleIblNS6_9null_typeES8_S8_S8_S8_S8_S8_S8_EEEEZNS1_11reduce_implILb1ES3_NS6_12zip_iteratorINS7_INS6_11hip_rocprim26transform_input_iterator_tIbNSD_35transform_pair_of_input_iterators_tIbNS6_6detail15normal_iteratorINS6_10device_ptrIKjEEEESL_NS6_8equal_toIjEEEENSG_9not_fun_tINSD_8identityEEEEENSD_19counting_iterator_tIlEES8_S8_S8_S8_S8_S8_S8_S8_EEEEPS9_S9_NSD_9__find_if7functorIS9_EEEE10hipError_tPvRmT1_T2_T3_mT4_P12ihipStream_tbEUlT_E1_NS1_11comp_targetILNS1_3genE9ELNS1_11target_archE1100ELNS1_3gpuE3ELNS1_3repE0EEENS1_30default_config_static_selectorELNS0_4arch9wavefront6targetE0EEEvS14_,"axG",@progbits,_ZN7rocprim17ROCPRIM_400000_NS6detail17trampoline_kernelINS0_14default_configENS1_22reduce_config_selectorIN6thrust23THRUST_200600_302600_NS5tupleIblNS6_9null_typeES8_S8_S8_S8_S8_S8_S8_EEEEZNS1_11reduce_implILb1ES3_NS6_12zip_iteratorINS7_INS6_11hip_rocprim26transform_input_iterator_tIbNSD_35transform_pair_of_input_iterators_tIbNS6_6detail15normal_iteratorINS6_10device_ptrIKjEEEESL_NS6_8equal_toIjEEEENSG_9not_fun_tINSD_8identityEEEEENSD_19counting_iterator_tIlEES8_S8_S8_S8_S8_S8_S8_S8_EEEEPS9_S9_NSD_9__find_if7functorIS9_EEEE10hipError_tPvRmT1_T2_T3_mT4_P12ihipStream_tbEUlT_E1_NS1_11comp_targetILNS1_3genE9ELNS1_11target_archE1100ELNS1_3gpuE3ELNS1_3repE0EEENS1_30default_config_static_selectorELNS0_4arch9wavefront6targetE0EEEvS14_,comdat
	.protected	_ZN7rocprim17ROCPRIM_400000_NS6detail17trampoline_kernelINS0_14default_configENS1_22reduce_config_selectorIN6thrust23THRUST_200600_302600_NS5tupleIblNS6_9null_typeES8_S8_S8_S8_S8_S8_S8_EEEEZNS1_11reduce_implILb1ES3_NS6_12zip_iteratorINS7_INS6_11hip_rocprim26transform_input_iterator_tIbNSD_35transform_pair_of_input_iterators_tIbNS6_6detail15normal_iteratorINS6_10device_ptrIKjEEEESL_NS6_8equal_toIjEEEENSG_9not_fun_tINSD_8identityEEEEENSD_19counting_iterator_tIlEES8_S8_S8_S8_S8_S8_S8_S8_EEEEPS9_S9_NSD_9__find_if7functorIS9_EEEE10hipError_tPvRmT1_T2_T3_mT4_P12ihipStream_tbEUlT_E1_NS1_11comp_targetILNS1_3genE9ELNS1_11target_archE1100ELNS1_3gpuE3ELNS1_3repE0EEENS1_30default_config_static_selectorELNS0_4arch9wavefront6targetE0EEEvS14_ ; -- Begin function _ZN7rocprim17ROCPRIM_400000_NS6detail17trampoline_kernelINS0_14default_configENS1_22reduce_config_selectorIN6thrust23THRUST_200600_302600_NS5tupleIblNS6_9null_typeES8_S8_S8_S8_S8_S8_S8_EEEEZNS1_11reduce_implILb1ES3_NS6_12zip_iteratorINS7_INS6_11hip_rocprim26transform_input_iterator_tIbNSD_35transform_pair_of_input_iterators_tIbNS6_6detail15normal_iteratorINS6_10device_ptrIKjEEEESL_NS6_8equal_toIjEEEENSG_9not_fun_tINSD_8identityEEEEENSD_19counting_iterator_tIlEES8_S8_S8_S8_S8_S8_S8_S8_EEEEPS9_S9_NSD_9__find_if7functorIS9_EEEE10hipError_tPvRmT1_T2_T3_mT4_P12ihipStream_tbEUlT_E1_NS1_11comp_targetILNS1_3genE9ELNS1_11target_archE1100ELNS1_3gpuE3ELNS1_3repE0EEENS1_30default_config_static_selectorELNS0_4arch9wavefront6targetE0EEEvS14_
	.globl	_ZN7rocprim17ROCPRIM_400000_NS6detail17trampoline_kernelINS0_14default_configENS1_22reduce_config_selectorIN6thrust23THRUST_200600_302600_NS5tupleIblNS6_9null_typeES8_S8_S8_S8_S8_S8_S8_EEEEZNS1_11reduce_implILb1ES3_NS6_12zip_iteratorINS7_INS6_11hip_rocprim26transform_input_iterator_tIbNSD_35transform_pair_of_input_iterators_tIbNS6_6detail15normal_iteratorINS6_10device_ptrIKjEEEESL_NS6_8equal_toIjEEEENSG_9not_fun_tINSD_8identityEEEEENSD_19counting_iterator_tIlEES8_S8_S8_S8_S8_S8_S8_S8_EEEEPS9_S9_NSD_9__find_if7functorIS9_EEEE10hipError_tPvRmT1_T2_T3_mT4_P12ihipStream_tbEUlT_E1_NS1_11comp_targetILNS1_3genE9ELNS1_11target_archE1100ELNS1_3gpuE3ELNS1_3repE0EEENS1_30default_config_static_selectorELNS0_4arch9wavefront6targetE0EEEvS14_
	.p2align	8
	.type	_ZN7rocprim17ROCPRIM_400000_NS6detail17trampoline_kernelINS0_14default_configENS1_22reduce_config_selectorIN6thrust23THRUST_200600_302600_NS5tupleIblNS6_9null_typeES8_S8_S8_S8_S8_S8_S8_EEEEZNS1_11reduce_implILb1ES3_NS6_12zip_iteratorINS7_INS6_11hip_rocprim26transform_input_iterator_tIbNSD_35transform_pair_of_input_iterators_tIbNS6_6detail15normal_iteratorINS6_10device_ptrIKjEEEESL_NS6_8equal_toIjEEEENSG_9not_fun_tINSD_8identityEEEEENSD_19counting_iterator_tIlEES8_S8_S8_S8_S8_S8_S8_S8_EEEEPS9_S9_NSD_9__find_if7functorIS9_EEEE10hipError_tPvRmT1_T2_T3_mT4_P12ihipStream_tbEUlT_E1_NS1_11comp_targetILNS1_3genE9ELNS1_11target_archE1100ELNS1_3gpuE3ELNS1_3repE0EEENS1_30default_config_static_selectorELNS0_4arch9wavefront6targetE0EEEvS14_,@function
_ZN7rocprim17ROCPRIM_400000_NS6detail17trampoline_kernelINS0_14default_configENS1_22reduce_config_selectorIN6thrust23THRUST_200600_302600_NS5tupleIblNS6_9null_typeES8_S8_S8_S8_S8_S8_S8_EEEEZNS1_11reduce_implILb1ES3_NS6_12zip_iteratorINS7_INS6_11hip_rocprim26transform_input_iterator_tIbNSD_35transform_pair_of_input_iterators_tIbNS6_6detail15normal_iteratorINS6_10device_ptrIKjEEEESL_NS6_8equal_toIjEEEENSG_9not_fun_tINSD_8identityEEEEENSD_19counting_iterator_tIlEES8_S8_S8_S8_S8_S8_S8_S8_EEEEPS9_S9_NSD_9__find_if7functorIS9_EEEE10hipError_tPvRmT1_T2_T3_mT4_P12ihipStream_tbEUlT_E1_NS1_11comp_targetILNS1_3genE9ELNS1_11target_archE1100ELNS1_3gpuE3ELNS1_3repE0EEENS1_30default_config_static_selectorELNS0_4arch9wavefront6targetE0EEEvS14_: ; @_ZN7rocprim17ROCPRIM_400000_NS6detail17trampoline_kernelINS0_14default_configENS1_22reduce_config_selectorIN6thrust23THRUST_200600_302600_NS5tupleIblNS6_9null_typeES8_S8_S8_S8_S8_S8_S8_EEEEZNS1_11reduce_implILb1ES3_NS6_12zip_iteratorINS7_INS6_11hip_rocprim26transform_input_iterator_tIbNSD_35transform_pair_of_input_iterators_tIbNS6_6detail15normal_iteratorINS6_10device_ptrIKjEEEESL_NS6_8equal_toIjEEEENSG_9not_fun_tINSD_8identityEEEEENSD_19counting_iterator_tIlEES8_S8_S8_S8_S8_S8_S8_S8_EEEEPS9_S9_NSD_9__find_if7functorIS9_EEEE10hipError_tPvRmT1_T2_T3_mT4_P12ihipStream_tbEUlT_E1_NS1_11comp_targetILNS1_3genE9ELNS1_11target_archE1100ELNS1_3gpuE3ELNS1_3repE0EEENS1_30default_config_static_selectorELNS0_4arch9wavefront6targetE0EEEvS14_
; %bb.0:
	s_mov_b32 s10, s15
	s_clause 0x4
	s_load_b32 s25, s[0:1], 0x4
	s_load_b128 s[16:19], s[0:1], 0x8
	s_load_b128 s[12:15], s[0:1], 0x28
	s_load_b32 s24, s[0:1], 0x40
	s_load_b64 s[20:21], s[0:1], 0x48
	s_waitcnt lgkmcnt(0)
	s_cmp_lt_i32 s25, 4
	s_cbranch_scc1 .LBB499_19
; %bb.1:
	s_cmp_gt_i32 s25, 7
	s_cbranch_scc0 .LBB499_20
; %bb.2:
	s_cmp_eq_u32 s25, 8
	s_mov_b32 s27, 0
	s_cbranch_scc0 .LBB499_21
; %bb.3:
	s_mov_b32 s11, 0
	s_lshl_b32 s6, s10, 11
	s_mov_b32 s7, s11
	s_lshr_b64 s[4:5], s[14:15], 11
	s_lshl_b64 s[2:3], s[6:7], 2
	s_delay_alu instid0(SALU_CYCLE_1)
	s_add_u32 s8, s16, s2
	s_addc_u32 s9, s17, s3
	s_add_u32 s22, s18, s2
	s_addc_u32 s23, s19, s3
	;; [unrolled: 2-line block ×3, first 2 shown]
	s_cmp_lg_u64 s[4:5], s[10:11]
	s_cbranch_scc0 .LBB499_40
; %bb.4:
	v_lshlrev_b32_e32 v1, 2, v0
	s_clause 0x7
	global_load_b32 v6, v1, s[8:9]
	global_load_b32 v7, v1, s[8:9] offset:1024
	global_load_b32 v8, v1, s[8:9] offset:2048
	;; [unrolled: 1-line block ×5, first 2 shown]
	global_load_b32 v12, v1, s[22:23]
	global_load_b32 v13, v1, s[8:9] offset:3072
	v_add_co_u32 v3, s2, s8, v1
	s_delay_alu instid0(VALU_DEP_1) | instskip(SKIP_1) | instid1(VALU_DEP_1)
	v_add_co_ci_u32_e64 v4, null, s9, 0, s2
	v_add_co_u32 v2, s2, s22, v1
	v_add_co_ci_u32_e64 v5, null, s23, 0, s2
	s_delay_alu instid0(VALU_DEP_2) | instskip(NEXT) | instid1(VALU_DEP_2)
	v_add_co_u32 v1, vcc_lo, 0x1000, v2
	v_add_co_ci_u32_e32 v2, vcc_lo, 0, v5, vcc_lo
	v_add_co_u32 v3, vcc_lo, 0x1000, v3
	v_add_co_ci_u32_e32 v4, vcc_lo, 0, v4, vcc_lo
	global_load_b32 v5, v[1:2], off
	s_clause 0x1
	global_load_b32 v14, v[3:4], off
	global_load_b32 v15, v[3:4], off offset:1024
	s_clause 0x1
	global_load_b32 v16, v[1:2], off offset:1024
	global_load_b32 v17, v[1:2], off offset:2048
	s_clause 0x1
	global_load_b32 v18, v[3:4], off offset:2048
	global_load_b32 v3, v[3:4], off offset:3072
	;; [unrolled: 1-line block ×3, first 2 shown]
	v_mov_b32_e32 v2, 0x100
	v_mov_b32_e32 v4, 0x300
	s_waitcnt vmcnt(12)
	v_cmp_ne_u32_e32 vcc_lo, v7, v9
	s_waitcnt vmcnt(11)
	v_cmp_ne_u32_e64 s3, v8, v10
	s_waitcnt vmcnt(9)
	v_cmp_ne_u32_e64 s2, v6, v12
	s_waitcnt vmcnt(8)
	v_cmp_ne_u32_e64 s4, v13, v11
	v_cndmask_b32_e32 v2, 0x200, v2, vcc_lo
	v_mov_b32_e32 v6, 0x500
	s_delay_alu instid0(VALU_DEP_3) | instskip(NEXT) | instid1(VALU_DEP_3)
	v_cndmask_b32_e64 v4, 0x400, v4, s4
	v_cndmask_b32_e64 v2, v2, 0, s2
	s_or_b32 s2, s2, vcc_lo
	s_delay_alu instid0(SALU_CYCLE_1) | instskip(NEXT) | instid1(SALU_CYCLE_1)
	s_or_b32 s2, s2, s3
	s_or_b32 s4, s2, s4
	s_delay_alu instid0(VALU_DEP_1)
	v_cndmask_b32_e64 v2, v4, v2, s2
	s_waitcnt vmcnt(6)
	v_cmp_ne_u32_e32 vcc_lo, v14, v5
	s_waitcnt vmcnt(4)
	v_cmp_ne_u32_e64 s3, v15, v16
	s_waitcnt vmcnt(2)
	v_cmp_ne_u32_e64 s2, v18, v17
	s_or_b32 vcc_lo, s4, vcc_lo
	s_waitcnt vmcnt(0)
	v_cmp_ne_u32_e64 s4, v3, v1
	v_cndmask_b32_e64 v4, 0x600, v6, s3
	s_or_b32 s3, vcc_lo, s3
	s_delay_alu instid0(VALU_DEP_1) | instskip(SKIP_1) | instid1(SALU_CYCLE_1)
	v_cndmask_b32_e32 v2, v4, v2, vcc_lo
	s_or_b32 vcc_lo, s3, s2
	s_or_b32 s3, vcc_lo, s4
	s_mov_b32 s4, exec_lo
	s_delay_alu instid0(VALU_DEP_1) | instskip(SKIP_3) | instid1(VALU_DEP_3)
	v_cndmask_b32_e32 v1, 0x700, v2, vcc_lo
	v_add_co_u32 v2, s2, s26, v0
	v_cndmask_b32_e64 v5, 0, 1, s3
	v_add_co_ci_u32_e64 v3, null, s28, 0, s2
	v_add_co_u32 v1, vcc_lo, v2, v1
	s_delay_alu instid0(VALU_DEP_3) | instskip(NEXT) | instid1(VALU_DEP_3)
	v_mov_b32_dpp v6, v5 quad_perm:[1,0,3,2] row_mask:0xf bank_mask:0xf
	v_add_co_ci_u32_e32 v2, vcc_lo, 0, v3, vcc_lo
	s_delay_alu instid0(VALU_DEP_3) | instskip(NEXT) | instid1(VALU_DEP_3)
	v_mov_b32_dpp v3, v1 quad_perm:[1,0,3,2] row_mask:0xf bank_mask:0xf
	v_and_b32_e32 v7, 1, v6
	s_delay_alu instid0(VALU_DEP_3) | instskip(NEXT) | instid1(VALU_DEP_2)
	v_mov_b32_dpp v4, v2 quad_perm:[1,0,3,2] row_mask:0xf bank_mask:0xf
	v_cmpx_eq_u32_e32 1, v7
; %bb.5:
	v_cndmask_b32_e64 v5, v6, 1, s3
	s_delay_alu instid0(VALU_DEP_3) | instskip(NEXT) | instid1(VALU_DEP_2)
	v_cmp_lt_i64_e32 vcc_lo, v[1:2], v[3:4]
	v_and_b32_e32 v6, 1, v5
	v_and_b32_e32 v5, 0xff, v5
	s_and_b32 vcc_lo, s3, vcc_lo
	s_and_not1_b32 s3, s3, exec_lo
	v_dual_cndmask_b32 v2, v4, v2 :: v_dual_cndmask_b32 v1, v3, v1
	v_cmp_eq_u32_e64 s2, 1, v6
	s_delay_alu instid0(VALU_DEP_1) | instskip(NEXT) | instid1(SALU_CYCLE_1)
	s_and_b32 s2, s2, exec_lo
	s_or_b32 s3, s3, s2
; %bb.6:
	s_or_b32 exec_lo, exec_lo, s4
	v_mov_b32_dpp v6, v5 quad_perm:[2,3,0,1] row_mask:0xf bank_mask:0xf
	v_mov_b32_dpp v3, v1 quad_perm:[2,3,0,1] row_mask:0xf bank_mask:0xf
	;; [unrolled: 1-line block ×3, first 2 shown]
	s_mov_b32 s4, exec_lo
	s_delay_alu instid0(VALU_DEP_3) | instskip(NEXT) | instid1(VALU_DEP_1)
	v_and_b32_e32 v7, 1, v6
	v_cmpx_eq_u32_e32 1, v7
; %bb.7:
	v_cndmask_b32_e64 v5, v6, 1, s3
	v_cmp_lt_i64_e32 vcc_lo, v[1:2], v[3:4]
	s_delay_alu instid0(VALU_DEP_2)
	v_and_b32_e32 v6, 1, v5
	v_and_b32_e32 v5, 0xff, v5
	s_and_b32 vcc_lo, s3, vcc_lo
	s_and_not1_b32 s3, s3, exec_lo
	v_dual_cndmask_b32 v2, v4, v2 :: v_dual_cndmask_b32 v1, v3, v1
	v_cmp_eq_u32_e64 s2, 1, v6
	s_delay_alu instid0(VALU_DEP_1) | instskip(NEXT) | instid1(SALU_CYCLE_1)
	s_and_b32 s2, s2, exec_lo
	s_or_b32 s3, s3, s2
; %bb.8:
	s_or_b32 exec_lo, exec_lo, s4
	v_mov_b32_dpp v6, v5 row_ror:4 row_mask:0xf bank_mask:0xf
	v_mov_b32_dpp v3, v1 row_ror:4 row_mask:0xf bank_mask:0xf
	;; [unrolled: 1-line block ×3, first 2 shown]
	s_mov_b32 s4, exec_lo
	s_delay_alu instid0(VALU_DEP_3) | instskip(NEXT) | instid1(VALU_DEP_1)
	v_and_b32_e32 v7, 1, v6
	v_cmpx_eq_u32_e32 1, v7
; %bb.9:
	v_cndmask_b32_e64 v5, v6, 1, s3
	v_cmp_lt_i64_e32 vcc_lo, v[1:2], v[3:4]
	s_delay_alu instid0(VALU_DEP_2)
	v_and_b32_e32 v6, 1, v5
	v_and_b32_e32 v5, 0xff, v5
	s_and_b32 vcc_lo, s3, vcc_lo
	s_and_not1_b32 s3, s3, exec_lo
	v_dual_cndmask_b32 v2, v4, v2 :: v_dual_cndmask_b32 v1, v3, v1
	v_cmp_eq_u32_e64 s2, 1, v6
	s_delay_alu instid0(VALU_DEP_1) | instskip(NEXT) | instid1(SALU_CYCLE_1)
	s_and_b32 s2, s2, exec_lo
	s_or_b32 s3, s3, s2
; %bb.10:
	s_or_b32 exec_lo, exec_lo, s4
	v_mov_b32_dpp v6, v5 row_ror:8 row_mask:0xf bank_mask:0xf
	v_mov_b32_dpp v3, v1 row_ror:8 row_mask:0xf bank_mask:0xf
	;; [unrolled: 1-line block ×3, first 2 shown]
	s_mov_b32 s4, exec_lo
	s_delay_alu instid0(VALU_DEP_3) | instskip(NEXT) | instid1(VALU_DEP_1)
	v_and_b32_e32 v7, 1, v6
	v_cmpx_eq_u32_e32 1, v7
; %bb.11:
	v_cndmask_b32_e64 v5, v6, 1, s3
	v_cmp_lt_i64_e32 vcc_lo, v[1:2], v[3:4]
	s_delay_alu instid0(VALU_DEP_2)
	v_and_b32_e32 v6, 1, v5
	v_and_b32_e32 v5, 0xff, v5
	s_and_b32 vcc_lo, s3, vcc_lo
	s_and_not1_b32 s3, s3, exec_lo
	v_dual_cndmask_b32 v2, v4, v2 :: v_dual_cndmask_b32 v1, v3, v1
	v_cmp_eq_u32_e64 s2, 1, v6
	s_delay_alu instid0(VALU_DEP_1) | instskip(NEXT) | instid1(SALU_CYCLE_1)
	s_and_b32 s2, s2, exec_lo
	s_or_b32 s3, s3, s2
; %bb.12:
	s_or_b32 exec_lo, exec_lo, s4
	ds_swizzle_b32 v6, v5 offset:swizzle(BROADCAST,32,15)
	ds_swizzle_b32 v3, v1 offset:swizzle(BROADCAST,32,15)
	;; [unrolled: 1-line block ×3, first 2 shown]
	s_mov_b32 s2, exec_lo
	s_waitcnt lgkmcnt(2)
	v_and_b32_e32 v7, 1, v6
	s_delay_alu instid0(VALU_DEP_1)
	v_cmpx_eq_u32_e32 1, v7
	s_cbranch_execz .LBB499_14
; %bb.13:
	s_waitcnt lgkmcnt(0)
	v_cmp_lt_i64_e32 vcc_lo, v[1:2], v[3:4]
	v_and_b32_e32 v5, 0xff, v6
	s_delay_alu instid0(VALU_DEP_1)
	v_cndmask_b32_e64 v5, v5, 1, s3
	s_and_b32 vcc_lo, s3, vcc_lo
	v_dual_cndmask_b32 v1, v3, v1 :: v_dual_cndmask_b32 v2, v4, v2
.LBB499_14:
	s_or_b32 exec_lo, exec_lo, s2
	s_waitcnt lgkmcnt(1)
	v_mov_b32_e32 v3, 0
	s_mov_b32 s2, exec_lo
	ds_bpermute_b32 v6, v3, v5 offset:124
	ds_bpermute_b32 v1, v3, v1 offset:124
	ds_bpermute_b32 v2, v3, v2 offset:124
	v_mbcnt_lo_u32_b32 v3, -1, 0
	s_delay_alu instid0(VALU_DEP_1)
	v_cmpx_eq_u32_e32 0, v3
	s_cbranch_execz .LBB499_16
; %bb.15:
	s_waitcnt lgkmcnt(3)
	v_lshrrev_b32_e32 v4, 1, v0
	s_delay_alu instid0(VALU_DEP_1)
	v_and_b32_e32 v4, 0x70, v4
	s_waitcnt lgkmcnt(2)
	ds_store_b8 v4, v6 offset:384
	s_waitcnt lgkmcnt(1)
	ds_store_b64 v4, v[1:2] offset:392
.LBB499_16:
	s_or_b32 exec_lo, exec_lo, s2
	s_delay_alu instid0(SALU_CYCLE_1)
	s_mov_b32 s4, exec_lo
	s_waitcnt lgkmcnt(0)
	s_barrier
	buffer_gl0_inv
	v_cmpx_gt_u32_e32 32, v0
	s_cbranch_execz .LBB499_18
; %bb.17:
	v_and_b32_e32 v6, 7, v3
	s_delay_alu instid0(VALU_DEP_1)
	v_lshlrev_b32_e32 v1, 4, v6
	v_cmp_ne_u32_e32 vcc_lo, 7, v6
	ds_load_u8 v7, v1 offset:384
	ds_load_b64 v[1:2], v1 offset:392
	v_add_co_ci_u32_e32 v4, vcc_lo, 0, v3, vcc_lo
	v_cmp_gt_u32_e32 vcc_lo, 6, v6
	s_delay_alu instid0(VALU_DEP_2)
	v_lshlrev_b32_e32 v5, 2, v4
	v_cndmask_b32_e64 v10, 0, 1, vcc_lo
	s_waitcnt lgkmcnt(1)
	v_and_b32_e32 v4, 0xff, v7
	v_and_b32_e32 v11, 1, v7
	ds_bpermute_b32 v8, v5, v4
	s_waitcnt lgkmcnt(1)
	ds_bpermute_b32 v4, v5, v1
	ds_bpermute_b32 v5, v5, v2
	v_cmp_eq_u32_e64 s3, 1, v11
	s_waitcnt lgkmcnt(2)
	v_and_b32_e32 v9, 1, v8
	s_waitcnt lgkmcnt(0)
	v_cmp_lt_i64_e64 s2, v[4:5], v[1:2]
	s_delay_alu instid0(VALU_DEP_2) | instskip(SKIP_2) | instid1(VALU_DEP_4)
	v_cmp_eq_u32_e32 vcc_lo, 1, v9
	v_lshlrev_b32_e32 v9, 1, v10
	v_cndmask_b32_e64 v7, v7, 1, vcc_lo
	s_and_b32 vcc_lo, vcc_lo, s2
	v_dual_cndmask_b32 v1, v1, v4 :: v_dual_cndmask_b32 v2, v2, v5
	s_delay_alu instid0(VALU_DEP_2) | instskip(SKIP_2) | instid1(VALU_DEP_4)
	v_cndmask_b32_e64 v7, v8, v7, s3
	v_add_lshl_u32 v8, v9, v3, 2
	v_cmp_gt_u32_e32 vcc_lo, 4, v6
	v_cndmask_b32_e64 v1, v4, v1, s3
	v_cndmask_b32_e64 v2, v5, v2, s3
	v_and_b32_e32 v9, 0xff, v7
	v_and_b32_e32 v10, 1, v7
	v_cndmask_b32_e64 v6, 0, 1, vcc_lo
	ds_bpermute_b32 v4, v8, v1
	ds_bpermute_b32 v5, v8, v2
	;; [unrolled: 1-line block ×3, first 2 shown]
	v_cmp_eq_u32_e64 s3, 1, v10
	s_waitcnt lgkmcnt(1)
	v_cmp_lt_i64_e64 s2, v[4:5], v[1:2]
	s_waitcnt lgkmcnt(0)
	v_and_b32_e32 v8, 1, v9
	s_delay_alu instid0(VALU_DEP_1) | instskip(SKIP_1) | instid1(VALU_DEP_4)
	v_cmp_eq_u32_e32 vcc_lo, 1, v8
	v_cndmask_b32_e64 v7, v7, 1, vcc_lo
	s_and_b32 vcc_lo, vcc_lo, s2
	v_dual_cndmask_b32 v1, v1, v4 :: v_dual_cndmask_b32 v2, v2, v5
	s_delay_alu instid0(VALU_DEP_2) | instskip(NEXT) | instid1(VALU_DEP_2)
	v_cndmask_b32_e64 v7, v9, v7, s3
	v_cndmask_b32_e64 v1, v4, v1, s3
	v_lshlrev_b32_e32 v6, 2, v6
	s_delay_alu instid0(VALU_DEP_4) | instskip(NEXT) | instid1(VALU_DEP_2)
	v_cndmask_b32_e64 v2, v5, v2, s3
	v_add_lshl_u32 v6, v6, v3, 2
	v_and_b32_e32 v3, 0xff, v7
	ds_bpermute_b32 v4, v6, v2
	ds_bpermute_b32 v5, v6, v3
	;; [unrolled: 1-line block ×3, first 2 shown]
	s_waitcnt lgkmcnt(1)
	v_and_b32_e32 v6, 1, v5
	s_waitcnt lgkmcnt(0)
	v_cmp_lt_i64_e32 vcc_lo, v[3:4], v[1:2]
	s_delay_alu instid0(VALU_DEP_2) | instskip(SKIP_1) | instid1(VALU_DEP_2)
	v_cmp_eq_u32_e64 s2, 1, v6
	v_and_b32_e32 v6, 1, v7
	v_cndmask_b32_e64 v7, v7, 1, s2
	s_and_b32 vcc_lo, s2, vcc_lo
	s_delay_alu instid0(VALU_DEP_2) | instskip(SKIP_1) | instid1(VALU_DEP_2)
	v_cmp_eq_u32_e64 s2, 1, v6
	v_dual_cndmask_b32 v1, v1, v3 :: v_dual_cndmask_b32 v2, v2, v4
	v_cndmask_b32_e64 v5, v5, v7, s2
	s_delay_alu instid0(VALU_DEP_2) | instskip(NEXT) | instid1(VALU_DEP_3)
	v_cndmask_b32_e64 v1, v3, v1, s2
	v_cndmask_b32_e64 v2, v4, v2, s2
	s_delay_alu instid0(VALU_DEP_3)
	v_and_b32_e32 v6, 0xff, v5
.LBB499_18:
	s_or_b32 exec_lo, exec_lo, s4
	s_branch .LBB499_85
.LBB499_19:
	s_mov_b32 s26, 0
                                        ; implicit-def: $vgpr3_vgpr4
                                        ; implicit-def: $vgpr5
	s_cbranch_execnz .LBB499_129
	s_branch .LBB499_200
.LBB499_20:
	s_mov_b32 s27, -1
.LBB499_21:
	s_mov_b32 s26, 0
                                        ; implicit-def: $vgpr3_vgpr4
                                        ; implicit-def: $vgpr5
	s_and_b32 vcc_lo, exec_lo, s27
	s_cbranch_vccz .LBB499_90
.LBB499_22:
	s_cmp_eq_u32 s25, 4
	s_cbranch_scc0 .LBB499_39
; %bb.23:
	s_mov_b32 s11, 0
	s_lshl_b32 s22, s10, 10
	s_mov_b32 s23, s11
	s_lshr_b64 s[28:29], s[14:15], 10
	s_lshl_b64 s[2:3], s[22:23], 2
	s_delay_alu instid0(SALU_CYCLE_1)
	s_add_u32 s6, s16, s2
	s_addc_u32 s7, s17, s3
	s_add_u32 s8, s18, s2
	s_addc_u32 s9, s19, s3
	;; [unrolled: 2-line block ×3, first 2 shown]
	s_cmp_lg_u64 s[28:29], s[10:11]
	s_cbranch_scc0 .LBB499_91
; %bb.24:
	v_mov_b32_e32 v9, 0x100
	v_lshlrev_b32_e32 v1, 2, v0
	global_load_b32 v2, v1, s[8:9] offset:1024
	s_waitcnt lgkmcnt(1)
	global_load_b32 v3, v1, s[6:7] offset:1024
	s_waitcnt lgkmcnt(0)
	s_clause 0x5
	global_load_b32 v4, v1, s[6:7]
	global_load_b32 v5, v1, s[8:9]
	global_load_b32 v6, v1, s[6:7] offset:2048
	global_load_b32 v7, v1, s[8:9] offset:2048
	;; [unrolled: 1-line block ×4, first 2 shown]
	s_waitcnt vmcnt(6)
	v_cmp_ne_u32_e32 vcc_lo, v3, v2
	s_waitcnt vmcnt(4)
	v_cmp_ne_u32_e64 s2, v4, v5
	s_waitcnt vmcnt(2)
	v_cmp_ne_u32_e64 s3, v6, v7
	v_cndmask_b32_e32 v2, 0x200, v9, vcc_lo
	s_waitcnt vmcnt(0)
	v_cmp_ne_u32_e64 s4, v1, v8
	s_delay_alu instid0(VALU_DEP_2) | instskip(SKIP_1) | instid1(SALU_CYCLE_1)
	v_cndmask_b32_e64 v2, v2, 0, s2
	s_or_b32 s2, s2, vcc_lo
	s_or_b32 vcc_lo, s2, s3
	s_delay_alu instid0(VALU_DEP_1) | instskip(SKIP_4) | instid1(VALU_DEP_3)
	v_cndmask_b32_e32 v1, 0x300, v2, vcc_lo
	s_or_b32 s3, vcc_lo, s4
	v_add_co_u32 v2, s2, s5, v0
	v_cndmask_b32_e64 v5, 0, 1, s3
	v_add_co_ci_u32_e64 v3, null, s23, 0, s2
	v_add_co_u32 v1, vcc_lo, v2, v1
	s_delay_alu instid0(VALU_DEP_3) | instskip(NEXT) | instid1(VALU_DEP_3)
	v_mov_b32_dpp v6, v5 quad_perm:[1,0,3,2] row_mask:0xf bank_mask:0xf
	v_add_co_ci_u32_e32 v2, vcc_lo, 0, v3, vcc_lo
	s_delay_alu instid0(VALU_DEP_3) | instskip(SKIP_1) | instid1(VALU_DEP_3)
	v_mov_b32_dpp v3, v1 quad_perm:[1,0,3,2] row_mask:0xf bank_mask:0xf
	s_mov_b32 s4, exec_lo
	v_and_b32_e32 v7, 1, v6
	s_delay_alu instid0(VALU_DEP_3) | instskip(NEXT) | instid1(VALU_DEP_2)
	v_mov_b32_dpp v4, v2 quad_perm:[1,0,3,2] row_mask:0xf bank_mask:0xf
	v_cmpx_eq_u32_e32 1, v7
; %bb.25:
	v_cndmask_b32_e64 v5, v6, 1, s3
	s_delay_alu instid0(VALU_DEP_3) | instskip(NEXT) | instid1(VALU_DEP_2)
	v_cmp_lt_i64_e32 vcc_lo, v[1:2], v[3:4]
	v_and_b32_e32 v6, 1, v5
	v_and_b32_e32 v5, 0xff, v5
	s_and_b32 vcc_lo, s3, vcc_lo
	s_and_not1_b32 s3, s3, exec_lo
	v_dual_cndmask_b32 v2, v4, v2 :: v_dual_cndmask_b32 v1, v3, v1
	v_cmp_eq_u32_e64 s2, 1, v6
	s_delay_alu instid0(VALU_DEP_1) | instskip(NEXT) | instid1(SALU_CYCLE_1)
	s_and_b32 s2, s2, exec_lo
	s_or_b32 s3, s3, s2
; %bb.26:
	s_or_b32 exec_lo, exec_lo, s4
	v_mov_b32_dpp v6, v5 quad_perm:[2,3,0,1] row_mask:0xf bank_mask:0xf
	v_mov_b32_dpp v3, v1 quad_perm:[2,3,0,1] row_mask:0xf bank_mask:0xf
	;; [unrolled: 1-line block ×3, first 2 shown]
	s_mov_b32 s4, exec_lo
	s_delay_alu instid0(VALU_DEP_3) | instskip(NEXT) | instid1(VALU_DEP_1)
	v_and_b32_e32 v7, 1, v6
	v_cmpx_eq_u32_e32 1, v7
; %bb.27:
	v_cndmask_b32_e64 v5, v6, 1, s3
	v_cmp_lt_i64_e32 vcc_lo, v[1:2], v[3:4]
	s_delay_alu instid0(VALU_DEP_2)
	v_and_b32_e32 v6, 1, v5
	v_and_b32_e32 v5, 0xff, v5
	s_and_b32 vcc_lo, s3, vcc_lo
	s_and_not1_b32 s3, s3, exec_lo
	v_dual_cndmask_b32 v2, v4, v2 :: v_dual_cndmask_b32 v1, v3, v1
	v_cmp_eq_u32_e64 s2, 1, v6
	s_delay_alu instid0(VALU_DEP_1) | instskip(NEXT) | instid1(SALU_CYCLE_1)
	s_and_b32 s2, s2, exec_lo
	s_or_b32 s3, s3, s2
; %bb.28:
	s_or_b32 exec_lo, exec_lo, s4
	v_mov_b32_dpp v6, v5 row_ror:4 row_mask:0xf bank_mask:0xf
	v_mov_b32_dpp v3, v1 row_ror:4 row_mask:0xf bank_mask:0xf
	v_mov_b32_dpp v4, v2 row_ror:4 row_mask:0xf bank_mask:0xf
	s_mov_b32 s4, exec_lo
	s_delay_alu instid0(VALU_DEP_3) | instskip(NEXT) | instid1(VALU_DEP_1)
	v_and_b32_e32 v7, 1, v6
	v_cmpx_eq_u32_e32 1, v7
; %bb.29:
	v_cndmask_b32_e64 v5, v6, 1, s3
	v_cmp_lt_i64_e32 vcc_lo, v[1:2], v[3:4]
	s_delay_alu instid0(VALU_DEP_2)
	v_and_b32_e32 v6, 1, v5
	v_and_b32_e32 v5, 0xff, v5
	s_and_b32 vcc_lo, s3, vcc_lo
	s_and_not1_b32 s3, s3, exec_lo
	v_dual_cndmask_b32 v2, v4, v2 :: v_dual_cndmask_b32 v1, v3, v1
	v_cmp_eq_u32_e64 s2, 1, v6
	s_delay_alu instid0(VALU_DEP_1) | instskip(NEXT) | instid1(SALU_CYCLE_1)
	s_and_b32 s2, s2, exec_lo
	s_or_b32 s3, s3, s2
; %bb.30:
	s_or_b32 exec_lo, exec_lo, s4
	v_mov_b32_dpp v6, v5 row_ror:8 row_mask:0xf bank_mask:0xf
	v_mov_b32_dpp v3, v1 row_ror:8 row_mask:0xf bank_mask:0xf
	;; [unrolled: 1-line block ×3, first 2 shown]
	s_mov_b32 s4, exec_lo
	s_delay_alu instid0(VALU_DEP_3) | instskip(NEXT) | instid1(VALU_DEP_1)
	v_and_b32_e32 v7, 1, v6
	v_cmpx_eq_u32_e32 1, v7
; %bb.31:
	v_cndmask_b32_e64 v5, v6, 1, s3
	v_cmp_lt_i64_e32 vcc_lo, v[1:2], v[3:4]
	s_delay_alu instid0(VALU_DEP_2)
	v_and_b32_e32 v6, 1, v5
	v_and_b32_e32 v5, 0xff, v5
	s_and_b32 vcc_lo, s3, vcc_lo
	s_and_not1_b32 s3, s3, exec_lo
	v_dual_cndmask_b32 v2, v4, v2 :: v_dual_cndmask_b32 v1, v3, v1
	v_cmp_eq_u32_e64 s2, 1, v6
	s_delay_alu instid0(VALU_DEP_1) | instskip(NEXT) | instid1(SALU_CYCLE_1)
	s_and_b32 s2, s2, exec_lo
	s_or_b32 s3, s3, s2
; %bb.32:
	s_or_b32 exec_lo, exec_lo, s4
	ds_swizzle_b32 v6, v5 offset:swizzle(BROADCAST,32,15)
	ds_swizzle_b32 v3, v1 offset:swizzle(BROADCAST,32,15)
	;; [unrolled: 1-line block ×3, first 2 shown]
	s_mov_b32 s2, exec_lo
	s_waitcnt lgkmcnt(2)
	v_and_b32_e32 v7, 1, v6
	s_delay_alu instid0(VALU_DEP_1)
	v_cmpx_eq_u32_e32 1, v7
	s_cbranch_execz .LBB499_34
; %bb.33:
	s_waitcnt lgkmcnt(0)
	v_cmp_lt_i64_e32 vcc_lo, v[1:2], v[3:4]
	v_and_b32_e32 v5, 0xff, v6
	s_delay_alu instid0(VALU_DEP_1)
	v_cndmask_b32_e64 v5, v5, 1, s3
	s_and_b32 vcc_lo, s3, vcc_lo
	v_dual_cndmask_b32 v1, v3, v1 :: v_dual_cndmask_b32 v2, v4, v2
.LBB499_34:
	s_or_b32 exec_lo, exec_lo, s2
	s_waitcnt lgkmcnt(1)
	v_mov_b32_e32 v3, 0
	s_mov_b32 s2, exec_lo
	ds_bpermute_b32 v6, v3, v5 offset:124
	ds_bpermute_b32 v1, v3, v1 offset:124
	;; [unrolled: 1-line block ×3, first 2 shown]
	v_mbcnt_lo_u32_b32 v3, -1, 0
	s_delay_alu instid0(VALU_DEP_1)
	v_cmpx_eq_u32_e32 0, v3
	s_cbranch_execz .LBB499_36
; %bb.35:
	s_waitcnt lgkmcnt(3)
	v_lshrrev_b32_e32 v4, 1, v0
	s_delay_alu instid0(VALU_DEP_1)
	v_and_b32_e32 v4, 0x70, v4
	s_waitcnt lgkmcnt(2)
	ds_store_b8 v4, v6 offset:256
	s_waitcnt lgkmcnt(1)
	ds_store_b64 v4, v[1:2] offset:264
.LBB499_36:
	s_or_b32 exec_lo, exec_lo, s2
	s_delay_alu instid0(SALU_CYCLE_1)
	s_mov_b32 s4, exec_lo
	s_waitcnt lgkmcnt(0)
	s_barrier
	buffer_gl0_inv
	v_cmpx_gt_u32_e32 32, v0
	s_cbranch_execz .LBB499_38
; %bb.37:
	v_and_b32_e32 v6, 7, v3
	s_delay_alu instid0(VALU_DEP_1)
	v_lshlrev_b32_e32 v1, 4, v6
	v_cmp_ne_u32_e32 vcc_lo, 7, v6
	ds_load_u8 v7, v1 offset:256
	ds_load_b64 v[1:2], v1 offset:264
	v_add_co_ci_u32_e32 v4, vcc_lo, 0, v3, vcc_lo
	v_cmp_gt_u32_e32 vcc_lo, 6, v6
	s_delay_alu instid0(VALU_DEP_2)
	v_lshlrev_b32_e32 v5, 2, v4
	v_cndmask_b32_e64 v10, 0, 1, vcc_lo
	s_waitcnt lgkmcnt(1)
	v_and_b32_e32 v4, 0xff, v7
	v_and_b32_e32 v11, 1, v7
	ds_bpermute_b32 v8, v5, v4
	s_waitcnt lgkmcnt(1)
	ds_bpermute_b32 v4, v5, v1
	ds_bpermute_b32 v5, v5, v2
	v_cmp_eq_u32_e64 s3, 1, v11
	s_waitcnt lgkmcnt(2)
	v_and_b32_e32 v9, 1, v8
	s_waitcnt lgkmcnt(0)
	v_cmp_lt_i64_e64 s2, v[4:5], v[1:2]
	s_delay_alu instid0(VALU_DEP_2) | instskip(SKIP_2) | instid1(VALU_DEP_4)
	v_cmp_eq_u32_e32 vcc_lo, 1, v9
	v_lshlrev_b32_e32 v9, 1, v10
	v_cndmask_b32_e64 v7, v7, 1, vcc_lo
	s_and_b32 vcc_lo, vcc_lo, s2
	v_dual_cndmask_b32 v1, v1, v4 :: v_dual_cndmask_b32 v2, v2, v5
	s_delay_alu instid0(VALU_DEP_2) | instskip(SKIP_2) | instid1(VALU_DEP_4)
	v_cndmask_b32_e64 v7, v8, v7, s3
	v_add_lshl_u32 v8, v9, v3, 2
	v_cmp_gt_u32_e32 vcc_lo, 4, v6
	v_cndmask_b32_e64 v1, v4, v1, s3
	v_cndmask_b32_e64 v2, v5, v2, s3
	v_and_b32_e32 v9, 0xff, v7
	v_and_b32_e32 v10, 1, v7
	v_cndmask_b32_e64 v6, 0, 1, vcc_lo
	ds_bpermute_b32 v4, v8, v1
	ds_bpermute_b32 v5, v8, v2
	;; [unrolled: 1-line block ×3, first 2 shown]
	v_cmp_eq_u32_e64 s3, 1, v10
	s_waitcnt lgkmcnt(1)
	v_cmp_lt_i64_e64 s2, v[4:5], v[1:2]
	s_waitcnt lgkmcnt(0)
	v_and_b32_e32 v8, 1, v9
	s_delay_alu instid0(VALU_DEP_1) | instskip(SKIP_1) | instid1(VALU_DEP_4)
	v_cmp_eq_u32_e32 vcc_lo, 1, v8
	v_cndmask_b32_e64 v7, v7, 1, vcc_lo
	s_and_b32 vcc_lo, vcc_lo, s2
	v_dual_cndmask_b32 v1, v1, v4 :: v_dual_cndmask_b32 v2, v2, v5
	s_delay_alu instid0(VALU_DEP_2) | instskip(NEXT) | instid1(VALU_DEP_2)
	v_cndmask_b32_e64 v7, v9, v7, s3
	v_cndmask_b32_e64 v1, v4, v1, s3
	v_lshlrev_b32_e32 v6, 2, v6
	s_delay_alu instid0(VALU_DEP_4) | instskip(NEXT) | instid1(VALU_DEP_2)
	v_cndmask_b32_e64 v2, v5, v2, s3
	v_add_lshl_u32 v6, v6, v3, 2
	v_and_b32_e32 v3, 0xff, v7
	ds_bpermute_b32 v4, v6, v2
	ds_bpermute_b32 v5, v6, v3
	;; [unrolled: 1-line block ×3, first 2 shown]
	s_waitcnt lgkmcnt(1)
	v_and_b32_e32 v6, 1, v5
	s_waitcnt lgkmcnt(0)
	v_cmp_lt_i64_e32 vcc_lo, v[3:4], v[1:2]
	s_delay_alu instid0(VALU_DEP_2) | instskip(SKIP_1) | instid1(VALU_DEP_2)
	v_cmp_eq_u32_e64 s2, 1, v6
	v_and_b32_e32 v6, 1, v7
	v_cndmask_b32_e64 v7, v7, 1, s2
	s_and_b32 vcc_lo, s2, vcc_lo
	s_delay_alu instid0(VALU_DEP_2) | instskip(SKIP_1) | instid1(VALU_DEP_2)
	v_cmp_eq_u32_e64 s2, 1, v6
	v_dual_cndmask_b32 v1, v1, v3 :: v_dual_cndmask_b32 v2, v2, v4
	v_cndmask_b32_e64 v5, v5, v7, s2
	s_delay_alu instid0(VALU_DEP_2) | instskip(NEXT) | instid1(VALU_DEP_3)
	v_cndmask_b32_e64 v1, v3, v1, s2
	v_cndmask_b32_e64 v2, v4, v2, s2
	s_delay_alu instid0(VALU_DEP_3)
	v_and_b32_e32 v6, 0xff, v5
.LBB499_38:
	s_or_b32 exec_lo, exec_lo, s4
	s_branch .LBB499_124
.LBB499_39:
                                        ; implicit-def: $vgpr3_vgpr4
                                        ; implicit-def: $vgpr5
	s_branch .LBB499_200
.LBB499_40:
                                        ; implicit-def: $vgpr1_vgpr2
                                        ; implicit-def: $vgpr6
	s_cbranch_execz .LBB499_85
; %bb.41:
	v_mov_b32_e32 v9, 0
	v_dual_mov_b32 v10, 0 :: v_dual_mov_b32 v21, 0
	s_delay_alu instid0(VALU_DEP_2) | instskip(SKIP_2) | instid1(VALU_DEP_3)
	v_mov_b32_e32 v1, v9
	v_mov_b32_e32 v17, 0
	s_sub_i32 s29, s14, s6
	v_mov_b32_e32 v2, v10
	s_mov_b32 s2, exec_lo
	v_cmpx_gt_u32_e64 s29, v0
	s_cbranch_execz .LBB499_43
; %bb.42:
	v_lshlrev_b32_e32 v1, 2, v0
	s_clause 0x1
	global_load_b32 v3, v1, s[8:9]
	global_load_b32 v4, v1, s[22:23]
	v_add_co_u32 v1, s3, s26, v0
	s_delay_alu instid0(VALU_DEP_1)
	v_add_co_ci_u32_e64 v2, null, s28, 0, s3
	s_waitcnt vmcnt(0)
	v_cmp_ne_u32_e32 vcc_lo, v3, v4
	v_cndmask_b32_e64 v17, 0, 1, vcc_lo
.LBB499_43:
	s_or_b32 exec_lo, exec_lo, s2
	v_or_b32_e32 v3, 0x100, v0
	s_delay_alu instid0(VALU_DEP_1) | instskip(NEXT) | instid1(VALU_DEP_1)
	v_cmp_gt_u32_e64 s7, s29, v3
	s_and_saveexec_b32 s2, s7
	s_cbranch_execz .LBB499_45
; %bb.44:
	v_lshlrev_b32_e32 v4, 2, v0
	v_add_co_u32 v9, s3, s26, v3
	s_delay_alu instid0(VALU_DEP_1)
	v_add_co_ci_u32_e64 v10, null, s28, 0, s3
	s_clause 0x1
	global_load_b32 v5, v4, s[8:9] offset:1024
	global_load_b32 v4, v4, s[22:23] offset:1024
	s_waitcnt vmcnt(0)
	v_cmp_ne_u32_e32 vcc_lo, v5, v4
	v_cndmask_b32_e64 v21, 0, 1, vcc_lo
.LBB499_45:
	s_or_b32 exec_lo, exec_lo, s2
	v_dual_mov_b32 v7, 0 :: v_dual_mov_b32 v20, 0
	v_mov_b32_e32 v8, 0
	v_or_b32_e32 v3, 0x200, v0
	v_mov_b32_e32 v24, 0
	s_delay_alu instid0(VALU_DEP_3) | instskip(NEXT) | instid1(VALU_DEP_3)
	v_dual_mov_b32 v16, v8 :: v_dual_mov_b32 v15, v7
	v_cmp_gt_u32_e64 s6, s29, v3
	s_delay_alu instid0(VALU_DEP_1)
	s_and_saveexec_b32 s2, s6
	s_cbranch_execz .LBB499_47
; %bb.46:
	v_lshlrev_b32_e32 v4, 2, v0
	v_add_co_u32 v15, s3, s26, v3
	s_delay_alu instid0(VALU_DEP_1)
	v_add_co_ci_u32_e64 v16, null, s28, 0, s3
	s_clause 0x1
	global_load_b32 v5, v4, s[8:9] offset:2048
	global_load_b32 v4, v4, s[22:23] offset:2048
	s_waitcnt vmcnt(0)
	v_cmp_ne_u32_e32 vcc_lo, v5, v4
	v_cndmask_b32_e64 v24, 0, 1, vcc_lo
.LBB499_47:
	s_or_b32 exec_lo, exec_lo, s2
	v_or_b32_e32 v3, 0x300, v0
	s_delay_alu instid0(VALU_DEP_1) | instskip(NEXT) | instid1(VALU_DEP_1)
	v_cmp_gt_u32_e64 s5, s29, v3
	s_and_saveexec_b32 s2, s5
	s_cbranch_execz .LBB499_49
; %bb.48:
	v_lshlrev_b32_e32 v4, 2, v0
	v_add_co_u32 v7, s3, s26, v3
	s_delay_alu instid0(VALU_DEP_1)
	v_add_co_ci_u32_e64 v8, null, s28, 0, s3
	s_clause 0x1
	global_load_b32 v5, v4, s[8:9] offset:3072
	global_load_b32 v4, v4, s[22:23] offset:3072
	s_waitcnt vmcnt(0)
	v_cmp_ne_u32_e32 vcc_lo, v5, v4
	v_cndmask_b32_e64 v20, 0, 1, vcc_lo
.LBB499_49:
	s_or_b32 exec_lo, exec_lo, s2
	v_mov_b32_e32 v5, 0
	v_dual_mov_b32 v6, 0 :: v_dual_mov_b32 v19, 0
	v_or_b32_e32 v3, 0x400, v0
	s_delay_alu instid0(VALU_DEP_2) | instskip(NEXT) | instid1(VALU_DEP_4)
	v_dual_mov_b32 v23, 0 :: v_dual_mov_b32 v14, v6
	v_mov_b32_e32 v13, v5
	s_delay_alu instid0(VALU_DEP_3) | instskip(NEXT) | instid1(VALU_DEP_1)
	v_cmp_gt_u32_e64 s4, s29, v3
	s_and_saveexec_b32 s2, s4
	s_cbranch_execz .LBB499_51
; %bb.50:
	v_lshlrev_b32_e32 v4, 2, v3
	v_add_co_u32 v13, s3, s26, v3
	s_delay_alu instid0(VALU_DEP_1)
	v_add_co_ci_u32_e64 v14, null, s28, 0, s3
	s_clause 0x1
	global_load_b32 v11, v4, s[8:9]
	global_load_b32 v4, v4, s[22:23]
	s_waitcnt vmcnt(0)
	v_cmp_ne_u32_e32 vcc_lo, v11, v4
	v_cndmask_b32_e64 v23, 0, 1, vcc_lo
.LBB499_51:
	s_or_b32 exec_lo, exec_lo, s2
	v_or_b32_e32 v3, 0x500, v0
	s_delay_alu instid0(VALU_DEP_1) | instskip(NEXT) | instid1(VALU_DEP_1)
	v_cmp_gt_u32_e64 s3, s29, v3
	s_and_saveexec_b32 s2, s3
	s_cbranch_execz .LBB499_53
; %bb.52:
	v_lshlrev_b32_e32 v4, 2, v3
	v_add_co_u32 v5, s30, s26, v3
	s_delay_alu instid0(VALU_DEP_1)
	v_add_co_ci_u32_e64 v6, null, s28, 0, s30
	s_clause 0x1
	global_load_b32 v11, v4, s[8:9]
	global_load_b32 v4, v4, s[22:23]
	s_waitcnt vmcnt(0)
	v_cmp_ne_u32_e32 vcc_lo, v11, v4
	v_cndmask_b32_e64 v19, 0, 1, vcc_lo
.LBB499_53:
	s_or_b32 exec_lo, exec_lo, s2
	v_dual_mov_b32 v3, 0 :: v_dual_mov_b32 v18, 0
	v_mov_b32_e32 v4, 0
	v_or_b32_e32 v25, 0x600, v0
	v_mov_b32_e32 v22, 0
	s_delay_alu instid0(VALU_DEP_3) | instskip(NEXT) | instid1(VALU_DEP_3)
	v_dual_mov_b32 v12, v4 :: v_dual_mov_b32 v11, v3
	v_cmp_gt_u32_e64 s2, s29, v25
	s_delay_alu instid0(VALU_DEP_1)
	s_and_saveexec_b32 s30, s2
	s_cbranch_execz .LBB499_55
; %bb.54:
	v_lshlrev_b32_e32 v11, 2, v25
	s_clause 0x1
	global_load_b32 v22, v11, s[8:9]
	global_load_b32 v26, v11, s[22:23]
	v_add_co_u32 v11, s31, s26, v25
	s_delay_alu instid0(VALU_DEP_1)
	v_add_co_ci_u32_e64 v12, null, s28, 0, s31
	s_waitcnt vmcnt(0)
	v_cmp_ne_u32_e32 vcc_lo, v22, v26
	v_cndmask_b32_e64 v22, 0, 1, vcc_lo
.LBB499_55:
	s_or_b32 exec_lo, exec_lo, s30
	v_or_b32_e32 v25, 0x700, v0
	s_delay_alu instid0(VALU_DEP_1)
	v_cmp_gt_u32_e32 vcc_lo, s29, v25
	s_and_saveexec_b32 s30, vcc_lo
	s_cbranch_execnz .LBB499_232
; %bb.56:
	s_or_b32 exec_lo, exec_lo, s30
	s_and_saveexec_b32 s9, s7
	s_cbranch_execnz .LBB499_233
.LBB499_57:
	s_or_b32 exec_lo, exec_lo, s9
	s_and_saveexec_b32 s8, s6
	s_cbranch_execnz .LBB499_234
.LBB499_58:
	s_or_b32 exec_lo, exec_lo, s8
	s_and_saveexec_b32 s7, s5
	s_cbranch_execnz .LBB499_235
.LBB499_59:
	s_or_b32 exec_lo, exec_lo, s7
	s_and_saveexec_b32 s6, s4
	s_cbranch_execnz .LBB499_236
.LBB499_60:
	s_or_b32 exec_lo, exec_lo, s6
	s_and_saveexec_b32 s5, s3
	s_cbranch_execnz .LBB499_237
.LBB499_61:
	s_or_b32 exec_lo, exec_lo, s5
	s_and_saveexec_b32 s4, s2
	s_cbranch_execnz .LBB499_238
.LBB499_62:
	s_or_b32 exec_lo, exec_lo, s4
	s_and_saveexec_b32 s3, vcc_lo
.LBB499_63:
	v_and_b32_e32 v5, 1, v18
	v_cmp_lt_i64_e32 vcc_lo, v[3:4], v[1:2]
	s_delay_alu instid0(VALU_DEP_2) | instskip(NEXT) | instid1(VALU_DEP_1)
	v_cmp_eq_u32_e64 s2, 1, v5
	s_and_b32 vcc_lo, s2, vcc_lo
	v_cndmask_b32_e64 v6, v17, 1, s2
	v_dual_cndmask_b32 v2, v2, v4 :: v_dual_and_b32 v5, 1, v17
	v_cndmask_b32_e32 v1, v1, v3, vcc_lo
	s_delay_alu instid0(VALU_DEP_2) | instskip(NEXT) | instid1(VALU_DEP_3)
	v_cmp_eq_u32_e32 vcc_lo, 1, v5
	v_cndmask_b32_e32 v2, v4, v2, vcc_lo
	v_cndmask_b32_e32 v17, v18, v6, vcc_lo
	s_delay_alu instid0(VALU_DEP_4)
	v_cndmask_b32_e32 v1, v3, v1, vcc_lo
.LBB499_64:
	s_or_b32 exec_lo, exec_lo, s3
	v_mbcnt_lo_u32_b32 v5, -1, 0
	v_and_b32_e32 v7, 0xe0, v0
	s_min_u32 s3, s29, 0x100
	v_and_b32_e32 v6, 0xffff, v17
	s_delay_alu instid0(VALU_DEP_3) | instskip(NEXT) | instid1(VALU_DEP_3)
	v_cmp_ne_u32_e32 vcc_lo, 31, v5
	v_sub_nc_u32_e64 v8, s3, v7 clamp
	v_add_nc_u32_e32 v7, 1, v5
	v_add_co_ci_u32_e32 v3, vcc_lo, 0, v5, vcc_lo
	s_delay_alu instid0(VALU_DEP_2) | instskip(NEXT) | instid1(VALU_DEP_2)
	v_cmp_lt_u32_e32 vcc_lo, v7, v8
	v_dual_mov_b32 v7, v6 :: v_dual_lshlrev_b32 v4, 2, v3
	ds_bpermute_b32 v9, v4, v6
	ds_bpermute_b32 v3, v4, v1
	;; [unrolled: 1-line block ×3, first 2 shown]
	s_and_saveexec_b32 s2, vcc_lo
	s_delay_alu instid0(SALU_CYCLE_1)
	s_xor_b32 s4, exec_lo, s2
	s_cbranch_execz .LBB499_66
; %bb.65:
	s_waitcnt lgkmcnt(2)
	v_and_b32_e32 v7, 1, v9
	s_waitcnt lgkmcnt(0)
	v_cmp_lt_i64_e32 vcc_lo, v[3:4], v[1:2]
	s_delay_alu instid0(VALU_DEP_2) | instskip(SKIP_1) | instid1(VALU_DEP_2)
	v_cmp_eq_u32_e64 s2, 1, v7
	v_and_b32_e32 v7, 1, v17
	v_cndmask_b32_e64 v6, v6, 1, s2
	s_and_b32 vcc_lo, s2, vcc_lo
	s_delay_alu instid0(VALU_DEP_2) | instskip(SKIP_1) | instid1(VALU_DEP_2)
	v_cmp_eq_u32_e64 s2, 1, v7
	v_dual_cndmask_b32 v2, v2, v4 :: v_dual_cndmask_b32 v1, v1, v3
	v_cndmask_b32_e64 v7, v9, v6, s2
	s_delay_alu instid0(VALU_DEP_2) | instskip(NEXT) | instid1(VALU_DEP_3)
	v_cndmask_b32_e64 v2, v4, v2, s2
	v_cndmask_b32_e64 v1, v3, v1, s2
	s_delay_alu instid0(VALU_DEP_3)
	v_and_b32_e32 v6, 0xff, v7
.LBB499_66:
	s_or_b32 exec_lo, exec_lo, s4
	v_cmp_gt_u32_e32 vcc_lo, 30, v5
	v_add_nc_u32_e32 v10, 2, v5
	s_mov_b32 s4, exec_lo
	s_waitcnt lgkmcnt(1)
	v_cndmask_b32_e64 v3, 0, 1, vcc_lo
	s_delay_alu instid0(VALU_DEP_1) | instskip(SKIP_1) | instid1(VALU_DEP_1)
	v_lshlrev_b32_e32 v3, 1, v3
	s_waitcnt lgkmcnt(0)
	v_add_lshl_u32 v4, v3, v5, 2
	ds_bpermute_b32 v9, v4, v6
	ds_bpermute_b32 v3, v4, v1
	ds_bpermute_b32 v4, v4, v2
	v_cmpx_lt_u32_e64 v10, v8
	s_cbranch_execz .LBB499_68
; %bb.67:
	s_waitcnt lgkmcnt(2)
	v_and_b32_e32 v6, 1, v9
	s_waitcnt lgkmcnt(0)
	v_cmp_lt_i64_e32 vcc_lo, v[3:4], v[1:2]
	s_delay_alu instid0(VALU_DEP_2) | instskip(SKIP_1) | instid1(VALU_DEP_2)
	v_cmp_eq_u32_e64 s2, 1, v6
	v_and_b32_e32 v6, 1, v7
	v_cndmask_b32_e64 v7, v7, 1, s2
	s_and_b32 vcc_lo, s2, vcc_lo
	s_delay_alu instid0(VALU_DEP_2) | instskip(SKIP_1) | instid1(VALU_DEP_2)
	v_cmp_eq_u32_e64 s2, 1, v6
	v_dual_cndmask_b32 v1, v1, v3 :: v_dual_cndmask_b32 v2, v2, v4
	v_cndmask_b32_e64 v7, v9, v7, s2
	s_delay_alu instid0(VALU_DEP_2) | instskip(NEXT) | instid1(VALU_DEP_3)
	v_cndmask_b32_e64 v1, v3, v1, s2
	v_cndmask_b32_e64 v2, v4, v2, s2
	s_delay_alu instid0(VALU_DEP_3)
	v_and_b32_e32 v6, 0xff, v7
.LBB499_68:
	s_or_b32 exec_lo, exec_lo, s4
	v_cmp_gt_u32_e32 vcc_lo, 28, v5
	v_add_nc_u32_e32 v10, 4, v5
	s_mov_b32 s4, exec_lo
	s_waitcnt lgkmcnt(1)
	v_cndmask_b32_e64 v3, 0, 1, vcc_lo
	s_delay_alu instid0(VALU_DEP_1) | instskip(SKIP_1) | instid1(VALU_DEP_1)
	v_lshlrev_b32_e32 v3, 2, v3
	s_waitcnt lgkmcnt(0)
	v_add_lshl_u32 v4, v3, v5, 2
	ds_bpermute_b32 v9, v4, v6
	ds_bpermute_b32 v3, v4, v1
	ds_bpermute_b32 v4, v4, v2
	v_cmpx_lt_u32_e64 v10, v8
	;; [unrolled: 35-line block ×4, first 2 shown]
	s_cbranch_execz .LBB499_74
; %bb.73:
	s_waitcnt lgkmcnt(2)
	v_and_b32_e32 v6, 1, v9
	s_waitcnt lgkmcnt(0)
	v_cmp_lt_i64_e32 vcc_lo, v[3:4], v[1:2]
	s_delay_alu instid0(VALU_DEP_2) | instskip(SKIP_1) | instid1(VALU_DEP_2)
	v_cmp_eq_u32_e64 s2, 1, v6
	v_and_b32_e32 v6, 1, v7
	v_cndmask_b32_e64 v7, v7, 1, s2
	s_and_b32 vcc_lo, s2, vcc_lo
	s_delay_alu instid0(VALU_DEP_2) | instskip(SKIP_1) | instid1(VALU_DEP_2)
	v_cmp_eq_u32_e64 s2, 1, v6
	v_dual_cndmask_b32 v1, v1, v3 :: v_dual_cndmask_b32 v2, v2, v4
	v_cndmask_b32_e64 v7, v9, v7, s2
	s_delay_alu instid0(VALU_DEP_2) | instskip(NEXT) | instid1(VALU_DEP_3)
	v_cndmask_b32_e64 v1, v3, v1, s2
	v_cndmask_b32_e64 v2, v4, v2, s2
	s_delay_alu instid0(VALU_DEP_3)
	v_and_b32_e32 v6, 0xff, v7
.LBB499_74:
	s_or_b32 exec_lo, exec_lo, s4
	s_delay_alu instid0(SALU_CYCLE_1)
	s_mov_b32 s2, exec_lo
	v_cmpx_eq_u32_e32 0, v5
	s_cbranch_execz .LBB499_76
; %bb.75:
	s_waitcnt lgkmcnt(1)
	v_lshrrev_b32_e32 v3, 1, v0
	s_delay_alu instid0(VALU_DEP_1)
	v_and_b32_e32 v3, 0x70, v3
	ds_store_b8 v3, v7 offset:512
	ds_store_b64 v3, v[1:2] offset:520
.LBB499_76:
	s_or_b32 exec_lo, exec_lo, s2
	s_delay_alu instid0(SALU_CYCLE_1)
	s_mov_b32 s4, exec_lo
	s_waitcnt lgkmcnt(0)
	s_barrier
	buffer_gl0_inv
	v_cmpx_gt_u32_e32 8, v0
	s_cbranch_execz .LBB499_84
; %bb.77:
	v_lshlrev_b32_e32 v1, 4, v5
	v_and_b32_e32 v8, 7, v5
	s_add_i32 s3, s3, 31
	s_mov_b32 s5, exec_lo
	s_lshr_b32 s3, s3, 5
	ds_load_u8 v7, v1 offset:512
	ds_load_b64 v[1:2], v1 offset:520
	v_cmp_ne_u32_e32 vcc_lo, 7, v8
	v_add_nc_u32_e32 v10, 1, v8
	v_add_co_ci_u32_e32 v3, vcc_lo, 0, v5, vcc_lo
	s_delay_alu instid0(VALU_DEP_1)
	v_lshlrev_b32_e32 v4, 2, v3
	s_waitcnt lgkmcnt(1)
	v_and_b32_e32 v6, 0xff, v7
	s_waitcnt lgkmcnt(0)
	ds_bpermute_b32 v3, v4, v1
	ds_bpermute_b32 v9, v4, v6
	;; [unrolled: 1-line block ×3, first 2 shown]
	v_cmpx_gt_u32_e64 s3, v10
	s_cbranch_execz .LBB499_79
; %bb.78:
	s_waitcnt lgkmcnt(1)
	v_and_b32_e32 v6, 1, v9
	s_waitcnt lgkmcnt(0)
	v_cmp_lt_i64_e32 vcc_lo, v[3:4], v[1:2]
	s_delay_alu instid0(VALU_DEP_2) | instskip(SKIP_1) | instid1(VALU_DEP_2)
	v_cmp_eq_u32_e64 s2, 1, v6
	v_and_b32_e32 v6, 1, v7
	v_cndmask_b32_e64 v7, v7, 1, s2
	s_and_b32 vcc_lo, s2, vcc_lo
	s_delay_alu instid0(VALU_DEP_2) | instskip(SKIP_1) | instid1(VALU_DEP_2)
	v_cmp_eq_u32_e64 s2, 1, v6
	v_dual_cndmask_b32 v1, v1, v3 :: v_dual_cndmask_b32 v2, v2, v4
	v_cndmask_b32_e64 v7, v9, v7, s2
	s_delay_alu instid0(VALU_DEP_2) | instskip(NEXT) | instid1(VALU_DEP_3)
	v_cndmask_b32_e64 v1, v3, v1, s2
	v_cndmask_b32_e64 v2, v4, v2, s2
	s_delay_alu instid0(VALU_DEP_3)
	v_and_b32_e32 v6, 0xff, v7
.LBB499_79:
	s_or_b32 exec_lo, exec_lo, s5
	v_cmp_gt_u32_e32 vcc_lo, 6, v8
	v_add_nc_u32_e32 v10, 2, v8
	s_mov_b32 s5, exec_lo
	s_waitcnt lgkmcnt(2)
	v_cndmask_b32_e64 v3, 0, 1, vcc_lo
	s_delay_alu instid0(VALU_DEP_1) | instskip(SKIP_1) | instid1(VALU_DEP_1)
	v_lshlrev_b32_e32 v3, 1, v3
	s_waitcnt lgkmcnt(0)
	v_add_lshl_u32 v4, v3, v5, 2
	ds_bpermute_b32 v9, v4, v6
	ds_bpermute_b32 v3, v4, v1
	;; [unrolled: 1-line block ×3, first 2 shown]
	v_cmpx_gt_u32_e64 s3, v10
	s_cbranch_execz .LBB499_81
; %bb.80:
	s_waitcnt lgkmcnt(2)
	v_and_b32_e32 v6, 1, v9
	s_waitcnt lgkmcnt(0)
	v_cmp_lt_i64_e32 vcc_lo, v[3:4], v[1:2]
	s_delay_alu instid0(VALU_DEP_2) | instskip(SKIP_1) | instid1(VALU_DEP_2)
	v_cmp_eq_u32_e64 s2, 1, v6
	v_and_b32_e32 v6, 1, v7
	v_cndmask_b32_e64 v7, v7, 1, s2
	s_and_b32 vcc_lo, s2, vcc_lo
	s_delay_alu instid0(VALU_DEP_2) | instskip(SKIP_1) | instid1(VALU_DEP_2)
	v_cmp_eq_u32_e64 s2, 1, v6
	v_dual_cndmask_b32 v1, v1, v3 :: v_dual_cndmask_b32 v2, v2, v4
	v_cndmask_b32_e64 v7, v9, v7, s2
	s_delay_alu instid0(VALU_DEP_2) | instskip(NEXT) | instid1(VALU_DEP_3)
	v_cndmask_b32_e64 v1, v3, v1, s2
	v_cndmask_b32_e64 v2, v4, v2, s2
	s_delay_alu instid0(VALU_DEP_3)
	v_and_b32_e32 v6, 0xff, v7
.LBB499_81:
	s_or_b32 exec_lo, exec_lo, s5
	v_cmp_gt_u32_e32 vcc_lo, 4, v8
	v_add_nc_u32_e32 v8, 4, v8
	s_waitcnt lgkmcnt(1)
	v_cndmask_b32_e64 v3, 0, 1, vcc_lo
	s_delay_alu instid0(VALU_DEP_2) | instskip(NEXT) | instid1(VALU_DEP_2)
	v_cmp_gt_u32_e32 vcc_lo, s3, v8
	v_lshlrev_b32_e32 v3, 2, v3
	s_waitcnt lgkmcnt(0)
	s_delay_alu instid0(VALU_DEP_1)
	v_add_lshl_u32 v4, v3, v5, 2
	ds_bpermute_b32 v5, v4, v6
	ds_bpermute_b32 v3, v4, v1
	;; [unrolled: 1-line block ×3, first 2 shown]
	s_and_saveexec_b32 s3, vcc_lo
	s_cbranch_execz .LBB499_83
; %bb.82:
	s_waitcnt lgkmcnt(2)
	v_and_b32_e32 v6, 1, v5
	s_waitcnt lgkmcnt(0)
	v_cmp_lt_i64_e32 vcc_lo, v[3:4], v[1:2]
	s_delay_alu instid0(VALU_DEP_2) | instskip(SKIP_1) | instid1(VALU_DEP_2)
	v_cmp_eq_u32_e64 s2, 1, v6
	v_and_b32_e32 v6, 1, v7
	v_cndmask_b32_e64 v7, v7, 1, s2
	s_and_b32 vcc_lo, s2, vcc_lo
	s_delay_alu instid0(VALU_DEP_2) | instskip(SKIP_1) | instid1(VALU_DEP_2)
	v_cmp_eq_u32_e64 s2, 1, v6
	v_dual_cndmask_b32 v1, v1, v3 :: v_dual_cndmask_b32 v2, v2, v4
	v_cndmask_b32_e64 v5, v5, v7, s2
	s_delay_alu instid0(VALU_DEP_2) | instskip(NEXT) | instid1(VALU_DEP_3)
	v_cndmask_b32_e64 v1, v3, v1, s2
	v_cndmask_b32_e64 v2, v4, v2, s2
	s_delay_alu instid0(VALU_DEP_3)
	v_and_b32_e32 v6, 0xff, v5
.LBB499_83:
	s_or_b32 exec_lo, exec_lo, s3
.LBB499_84:
	s_delay_alu instid0(SALU_CYCLE_1)
	s_or_b32 exec_lo, exec_lo, s4
.LBB499_85:
	s_mov_b32 s26, 0
                                        ; implicit-def: $vgpr3_vgpr4
                                        ; implicit-def: $vgpr5
	s_mov_b32 s2, exec_lo
	v_cmpx_eq_u32_e32 0, v0
	s_xor_b32 s4, exec_lo, s2
	s_cbranch_execz .LBB499_89
; %bb.86:
	s_waitcnt lgkmcnt(0)
	v_dual_mov_b32 v3, s20 :: v_dual_mov_b32 v4, s21
	v_mov_b32_e32 v5, s24
	s_cmp_eq_u64 s[14:15], 0
	s_cbranch_scc1 .LBB499_88
; %bb.87:
	v_and_b32_e32 v3, 1, v6
	v_cmp_gt_i64_e32 vcc_lo, s[20:21], v[1:2]
	s_bitcmp1_b32 s24, 0
	s_cselect_b32 s3, -1, 0
	s_delay_alu instid0(VALU_DEP_2) | instskip(NEXT) | instid1(VALU_DEP_1)
	v_cmp_eq_u32_e64 s2, 1, v3
	s_and_b32 vcc_lo, s2, vcc_lo
	v_cndmask_b32_e64 v3, s24, 1, s2
	v_cndmask_b32_e32 v7, s20, v1, vcc_lo
	v_cndmask_b32_e32 v4, s21, v2, vcc_lo
	s_delay_alu instid0(VALU_DEP_3) | instskip(NEXT) | instid1(VALU_DEP_3)
	v_cndmask_b32_e64 v5, v6, v3, s3
	v_cndmask_b32_e64 v3, v1, v7, s3
	s_delay_alu instid0(VALU_DEP_3)
	v_cndmask_b32_e64 v4, v2, v4, s3
.LBB499_88:
	s_mov_b32 s26, exec_lo
.LBB499_89:
	s_or_b32 exec_lo, exec_lo, s4
	s_delay_alu instid0(SALU_CYCLE_1)
	s_and_b32 vcc_lo, exec_lo, s27
	s_cbranch_vccnz .LBB499_22
.LBB499_90:
	s_branch .LBB499_200
.LBB499_91:
                                        ; implicit-def: $vgpr1_vgpr2
                                        ; implicit-def: $vgpr6
	s_cbranch_execz .LBB499_124
; %bb.92:
	s_waitcnt lgkmcnt(2)
	v_mov_b32_e32 v5, 0
	v_dual_mov_b32 v6, 0 :: v_dual_mov_b32 v11, 0
	s_delay_alu instid0(VALU_DEP_2) | instskip(SKIP_2) | instid1(VALU_DEP_3)
	v_mov_b32_e32 v1, v5
	v_mov_b32_e32 v9, 0
	s_sub_i32 s22, s14, s22
	v_mov_b32_e32 v2, v6
	s_mov_b32 s2, exec_lo
	v_cmpx_gt_u32_e64 s22, v0
	s_cbranch_execz .LBB499_94
; %bb.93:
	v_lshlrev_b32_e32 v1, 2, v0
	s_waitcnt lgkmcnt(1)
	global_load_b32 v3, v1, s[6:7]
	s_waitcnt lgkmcnt(0)
	global_load_b32 v4, v1, s[8:9]
	v_add_co_u32 v1, s3, s5, v0
	s_delay_alu instid0(VALU_DEP_1)
	v_add_co_ci_u32_e64 v2, null, s23, 0, s3
	s_waitcnt vmcnt(0)
	v_cmp_ne_u32_e32 vcc_lo, v3, v4
	v_cndmask_b32_e64 v9, 0, 1, vcc_lo
.LBB499_94:
	s_or_b32 exec_lo, exec_lo, s2
	s_waitcnt lgkmcnt(1)
	v_or_b32_e32 v3, 0x100, v0
	s_delay_alu instid0(VALU_DEP_1) | instskip(NEXT) | instid1(VALU_DEP_1)
	v_cmp_gt_u32_e64 s3, s22, v3
	s_and_saveexec_b32 s2, s3
	s_cbranch_execz .LBB499_96
; %bb.95:
	s_waitcnt lgkmcnt(0)
	v_lshlrev_b32_e32 v4, 2, v0
	v_add_co_u32 v5, s4, s5, v3
	s_delay_alu instid0(VALU_DEP_1)
	v_add_co_ci_u32_e64 v6, null, s23, 0, s4
	s_clause 0x1
	global_load_b32 v7, v4, s[6:7] offset:1024
	global_load_b32 v4, v4, s[8:9] offset:1024
	s_waitcnt vmcnt(0)
	v_cmp_ne_u32_e32 vcc_lo, v7, v4
	v_cndmask_b32_e64 v11, 0, 1, vcc_lo
.LBB499_96:
	s_or_b32 exec_lo, exec_lo, s2
	s_waitcnt lgkmcnt(0)
	v_dual_mov_b32 v3, 0 :: v_dual_mov_b32 v10, 0
	v_mov_b32_e32 v4, 0
	v_or_b32_e32 v13, 0x200, v0
	v_mov_b32_e32 v12, 0
	s_delay_alu instid0(VALU_DEP_3) | instskip(NEXT) | instid1(VALU_DEP_3)
	v_dual_mov_b32 v8, v4 :: v_dual_mov_b32 v7, v3
	v_cmp_gt_u32_e64 s2, s22, v13
	s_delay_alu instid0(VALU_DEP_1)
	s_and_saveexec_b32 s4, s2
	s_cbranch_execz .LBB499_98
; %bb.97:
	v_lshlrev_b32_e32 v7, 2, v0
	s_clause 0x1
	global_load_b32 v12, v7, s[6:7] offset:2048
	global_load_b32 v14, v7, s[8:9] offset:2048
	v_add_co_u32 v7, s27, s5, v13
	s_delay_alu instid0(VALU_DEP_1)
	v_add_co_ci_u32_e64 v8, null, s23, 0, s27
	s_waitcnt vmcnt(0)
	v_cmp_ne_u32_e32 vcc_lo, v12, v14
	v_cndmask_b32_e64 v12, 0, 1, vcc_lo
.LBB499_98:
	s_or_b32 exec_lo, exec_lo, s4
	v_or_b32_e32 v13, 0x300, v0
	s_delay_alu instid0(VALU_DEP_1)
	v_cmp_gt_u32_e32 vcc_lo, s22, v13
	s_and_saveexec_b32 s27, vcc_lo
	s_cbranch_execnz .LBB499_239
; %bb.99:
	s_or_b32 exec_lo, exec_lo, s27
	s_and_saveexec_b32 s5, s3
	s_cbranch_execnz .LBB499_240
.LBB499_100:
	s_or_b32 exec_lo, exec_lo, s5
	s_and_saveexec_b32 s4, s2
	s_cbranch_execnz .LBB499_241
.LBB499_101:
	s_or_b32 exec_lo, exec_lo, s4
	s_and_saveexec_b32 s3, vcc_lo
.LBB499_102:
	v_and_b32_e32 v5, 1, v10
	v_cmp_lt_i64_e32 vcc_lo, v[3:4], v[1:2]
	s_delay_alu instid0(VALU_DEP_2) | instskip(NEXT) | instid1(VALU_DEP_1)
	v_cmp_eq_u32_e64 s2, 1, v5
	s_and_b32 vcc_lo, s2, vcc_lo
	v_cndmask_b32_e64 v6, v9, 1, s2
	v_dual_cndmask_b32 v2, v2, v4 :: v_dual_and_b32 v5, 1, v9
	v_cndmask_b32_e32 v1, v1, v3, vcc_lo
	s_delay_alu instid0(VALU_DEP_2) | instskip(NEXT) | instid1(VALU_DEP_3)
	v_cmp_eq_u32_e32 vcc_lo, 1, v5
	v_cndmask_b32_e32 v2, v4, v2, vcc_lo
	v_cndmask_b32_e32 v9, v10, v6, vcc_lo
	s_delay_alu instid0(VALU_DEP_4)
	v_cndmask_b32_e32 v1, v3, v1, vcc_lo
.LBB499_103:
	s_or_b32 exec_lo, exec_lo, s3
	v_mbcnt_lo_u32_b32 v5, -1, 0
	v_and_b32_e32 v7, 0xe0, v0
	s_min_u32 s3, s22, 0x100
	v_and_b32_e32 v6, 0xffff, v9
	s_delay_alu instid0(VALU_DEP_3) | instskip(NEXT) | instid1(VALU_DEP_3)
	v_cmp_ne_u32_e32 vcc_lo, 31, v5
	v_sub_nc_u32_e64 v8, s3, v7 clamp
	v_add_nc_u32_e32 v7, 1, v5
	v_add_co_ci_u32_e32 v3, vcc_lo, 0, v5, vcc_lo
	s_delay_alu instid0(VALU_DEP_2) | instskip(NEXT) | instid1(VALU_DEP_2)
	v_cmp_lt_u32_e32 vcc_lo, v7, v8
	v_dual_mov_b32 v7, v6 :: v_dual_lshlrev_b32 v4, 2, v3
	ds_bpermute_b32 v10, v4, v6
	ds_bpermute_b32 v3, v4, v1
	ds_bpermute_b32 v4, v4, v2
	s_and_saveexec_b32 s2, vcc_lo
	s_delay_alu instid0(SALU_CYCLE_1)
	s_xor_b32 s4, exec_lo, s2
	s_cbranch_execz .LBB499_105
; %bb.104:
	s_waitcnt lgkmcnt(2)
	v_and_b32_e32 v7, 1, v10
	s_waitcnt lgkmcnt(0)
	v_cmp_lt_i64_e32 vcc_lo, v[3:4], v[1:2]
	s_delay_alu instid0(VALU_DEP_2) | instskip(SKIP_1) | instid1(VALU_DEP_2)
	v_cmp_eq_u32_e64 s2, 1, v7
	v_and_b32_e32 v7, 1, v9
	v_cndmask_b32_e64 v6, v6, 1, s2
	s_and_b32 vcc_lo, s2, vcc_lo
	s_delay_alu instid0(VALU_DEP_2) | instskip(SKIP_1) | instid1(VALU_DEP_2)
	v_cmp_eq_u32_e64 s2, 1, v7
	v_dual_cndmask_b32 v2, v2, v4 :: v_dual_cndmask_b32 v1, v1, v3
	v_cndmask_b32_e64 v7, v10, v6, s2
	s_delay_alu instid0(VALU_DEP_2) | instskip(NEXT) | instid1(VALU_DEP_3)
	v_cndmask_b32_e64 v2, v4, v2, s2
	v_cndmask_b32_e64 v1, v3, v1, s2
	s_delay_alu instid0(VALU_DEP_3)
	v_and_b32_e32 v6, 0xff, v7
.LBB499_105:
	s_or_b32 exec_lo, exec_lo, s4
	v_cmp_gt_u32_e32 vcc_lo, 30, v5
	s_waitcnt lgkmcnt(2)
	v_add_nc_u32_e32 v10, 2, v5
	s_mov_b32 s4, exec_lo
	s_waitcnt lgkmcnt(1)
	v_cndmask_b32_e64 v3, 0, 1, vcc_lo
	s_delay_alu instid0(VALU_DEP_1) | instskip(SKIP_1) | instid1(VALU_DEP_1)
	v_lshlrev_b32_e32 v3, 1, v3
	s_waitcnt lgkmcnt(0)
	v_add_lshl_u32 v4, v3, v5, 2
	ds_bpermute_b32 v9, v4, v6
	ds_bpermute_b32 v3, v4, v1
	ds_bpermute_b32 v4, v4, v2
	v_cmpx_lt_u32_e64 v10, v8
	s_cbranch_execz .LBB499_107
; %bb.106:
	s_waitcnt lgkmcnt(2)
	v_and_b32_e32 v6, 1, v9
	s_waitcnt lgkmcnt(0)
	v_cmp_lt_i64_e32 vcc_lo, v[3:4], v[1:2]
	s_delay_alu instid0(VALU_DEP_2) | instskip(SKIP_1) | instid1(VALU_DEP_2)
	v_cmp_eq_u32_e64 s2, 1, v6
	v_and_b32_e32 v6, 1, v7
	v_cndmask_b32_e64 v7, v7, 1, s2
	s_and_b32 vcc_lo, s2, vcc_lo
	s_delay_alu instid0(VALU_DEP_2) | instskip(SKIP_1) | instid1(VALU_DEP_2)
	v_cmp_eq_u32_e64 s2, 1, v6
	v_dual_cndmask_b32 v1, v1, v3 :: v_dual_cndmask_b32 v2, v2, v4
	v_cndmask_b32_e64 v7, v9, v7, s2
	s_delay_alu instid0(VALU_DEP_2) | instskip(NEXT) | instid1(VALU_DEP_3)
	v_cndmask_b32_e64 v1, v3, v1, s2
	v_cndmask_b32_e64 v2, v4, v2, s2
	s_delay_alu instid0(VALU_DEP_3)
	v_and_b32_e32 v6, 0xff, v7
.LBB499_107:
	s_or_b32 exec_lo, exec_lo, s4
	v_cmp_gt_u32_e32 vcc_lo, 28, v5
	v_add_nc_u32_e32 v10, 4, v5
	s_mov_b32 s4, exec_lo
	s_waitcnt lgkmcnt(1)
	v_cndmask_b32_e64 v3, 0, 1, vcc_lo
	s_delay_alu instid0(VALU_DEP_1) | instskip(SKIP_1) | instid1(VALU_DEP_1)
	v_lshlrev_b32_e32 v3, 2, v3
	s_waitcnt lgkmcnt(0)
	v_add_lshl_u32 v4, v3, v5, 2
	ds_bpermute_b32 v9, v4, v6
	ds_bpermute_b32 v3, v4, v1
	ds_bpermute_b32 v4, v4, v2
	v_cmpx_lt_u32_e64 v10, v8
	s_cbranch_execz .LBB499_109
; %bb.108:
	s_waitcnt lgkmcnt(2)
	v_and_b32_e32 v6, 1, v9
	s_waitcnt lgkmcnt(0)
	v_cmp_lt_i64_e32 vcc_lo, v[3:4], v[1:2]
	s_delay_alu instid0(VALU_DEP_2) | instskip(SKIP_1) | instid1(VALU_DEP_2)
	v_cmp_eq_u32_e64 s2, 1, v6
	v_and_b32_e32 v6, 1, v7
	v_cndmask_b32_e64 v7, v7, 1, s2
	s_and_b32 vcc_lo, s2, vcc_lo
	s_delay_alu instid0(VALU_DEP_2) | instskip(SKIP_1) | instid1(VALU_DEP_2)
	v_cmp_eq_u32_e64 s2, 1, v6
	v_dual_cndmask_b32 v1, v1, v3 :: v_dual_cndmask_b32 v2, v2, v4
	v_cndmask_b32_e64 v7, v9, v7, s2
	s_delay_alu instid0(VALU_DEP_2) | instskip(NEXT) | instid1(VALU_DEP_3)
	v_cndmask_b32_e64 v1, v3, v1, s2
	v_cndmask_b32_e64 v2, v4, v2, s2
	s_delay_alu instid0(VALU_DEP_3)
	v_and_b32_e32 v6, 0xff, v7
.LBB499_109:
	s_or_b32 exec_lo, exec_lo, s4
	v_cmp_gt_u32_e32 vcc_lo, 24, v5
	;; [unrolled: 35-line block ×3, first 2 shown]
	v_add_nc_u32_e32 v10, 16, v5
	s_mov_b32 s4, exec_lo
	s_waitcnt lgkmcnt(1)
	v_cndmask_b32_e64 v3, 0, 1, vcc_lo
	s_delay_alu instid0(VALU_DEP_1) | instskip(SKIP_1) | instid1(VALU_DEP_1)
	v_lshlrev_b32_e32 v3, 4, v3
	s_waitcnt lgkmcnt(0)
	v_add_lshl_u32 v4, v3, v5, 2
	ds_bpermute_b32 v9, v4, v6
	ds_bpermute_b32 v3, v4, v1
	;; [unrolled: 1-line block ×3, first 2 shown]
	v_cmpx_lt_u32_e64 v10, v8
	s_cbranch_execz .LBB499_113
; %bb.112:
	s_waitcnt lgkmcnt(2)
	v_and_b32_e32 v6, 1, v9
	s_waitcnt lgkmcnt(0)
	v_cmp_lt_i64_e32 vcc_lo, v[3:4], v[1:2]
	s_delay_alu instid0(VALU_DEP_2) | instskip(SKIP_1) | instid1(VALU_DEP_2)
	v_cmp_eq_u32_e64 s2, 1, v6
	v_and_b32_e32 v6, 1, v7
	v_cndmask_b32_e64 v7, v7, 1, s2
	s_and_b32 vcc_lo, s2, vcc_lo
	s_delay_alu instid0(VALU_DEP_2) | instskip(SKIP_1) | instid1(VALU_DEP_2)
	v_cmp_eq_u32_e64 s2, 1, v6
	v_dual_cndmask_b32 v1, v1, v3 :: v_dual_cndmask_b32 v2, v2, v4
	v_cndmask_b32_e64 v7, v9, v7, s2
	s_delay_alu instid0(VALU_DEP_2) | instskip(NEXT) | instid1(VALU_DEP_3)
	v_cndmask_b32_e64 v1, v3, v1, s2
	v_cndmask_b32_e64 v2, v4, v2, s2
	s_delay_alu instid0(VALU_DEP_3)
	v_and_b32_e32 v6, 0xff, v7
.LBB499_113:
	s_or_b32 exec_lo, exec_lo, s4
	s_delay_alu instid0(SALU_CYCLE_1)
	s_mov_b32 s2, exec_lo
	v_cmpx_eq_u32_e32 0, v5
	s_cbranch_execz .LBB499_115
; %bb.114:
	s_waitcnt lgkmcnt(1)
	v_lshrrev_b32_e32 v3, 1, v0
	s_delay_alu instid0(VALU_DEP_1)
	v_and_b32_e32 v3, 0x70, v3
	ds_store_b8 v3, v7 offset:512
	ds_store_b64 v3, v[1:2] offset:520
.LBB499_115:
	s_or_b32 exec_lo, exec_lo, s2
	s_delay_alu instid0(SALU_CYCLE_1)
	s_mov_b32 s4, exec_lo
	s_waitcnt lgkmcnt(0)
	s_barrier
	buffer_gl0_inv
	v_cmpx_gt_u32_e32 8, v0
	s_cbranch_execz .LBB499_123
; %bb.116:
	v_lshlrev_b32_e32 v1, 4, v5
	v_and_b32_e32 v8, 7, v5
	s_add_i32 s3, s3, 31
	s_mov_b32 s5, exec_lo
	s_lshr_b32 s3, s3, 5
	ds_load_u8 v7, v1 offset:512
	ds_load_b64 v[1:2], v1 offset:520
	v_cmp_ne_u32_e32 vcc_lo, 7, v8
	v_add_nc_u32_e32 v10, 1, v8
	v_add_co_ci_u32_e32 v3, vcc_lo, 0, v5, vcc_lo
	s_delay_alu instid0(VALU_DEP_1)
	v_lshlrev_b32_e32 v4, 2, v3
	s_waitcnt lgkmcnt(1)
	v_and_b32_e32 v6, 0xff, v7
	s_waitcnt lgkmcnt(0)
	ds_bpermute_b32 v3, v4, v1
	ds_bpermute_b32 v9, v4, v6
	;; [unrolled: 1-line block ×3, first 2 shown]
	v_cmpx_gt_u32_e64 s3, v10
	s_cbranch_execz .LBB499_118
; %bb.117:
	s_waitcnt lgkmcnt(1)
	v_and_b32_e32 v6, 1, v9
	s_waitcnt lgkmcnt(0)
	v_cmp_lt_i64_e32 vcc_lo, v[3:4], v[1:2]
	s_delay_alu instid0(VALU_DEP_2) | instskip(SKIP_1) | instid1(VALU_DEP_2)
	v_cmp_eq_u32_e64 s2, 1, v6
	v_and_b32_e32 v6, 1, v7
	v_cndmask_b32_e64 v7, v7, 1, s2
	s_and_b32 vcc_lo, s2, vcc_lo
	s_delay_alu instid0(VALU_DEP_2) | instskip(SKIP_1) | instid1(VALU_DEP_2)
	v_cmp_eq_u32_e64 s2, 1, v6
	v_dual_cndmask_b32 v1, v1, v3 :: v_dual_cndmask_b32 v2, v2, v4
	v_cndmask_b32_e64 v7, v9, v7, s2
	s_delay_alu instid0(VALU_DEP_2) | instskip(NEXT) | instid1(VALU_DEP_3)
	v_cndmask_b32_e64 v1, v3, v1, s2
	v_cndmask_b32_e64 v2, v4, v2, s2
	s_delay_alu instid0(VALU_DEP_3)
	v_and_b32_e32 v6, 0xff, v7
.LBB499_118:
	s_or_b32 exec_lo, exec_lo, s5
	v_cmp_gt_u32_e32 vcc_lo, 6, v8
	v_add_nc_u32_e32 v10, 2, v8
	s_mov_b32 s5, exec_lo
	s_waitcnt lgkmcnt(2)
	v_cndmask_b32_e64 v3, 0, 1, vcc_lo
	s_delay_alu instid0(VALU_DEP_1) | instskip(SKIP_1) | instid1(VALU_DEP_1)
	v_lshlrev_b32_e32 v3, 1, v3
	s_waitcnt lgkmcnt(0)
	v_add_lshl_u32 v4, v3, v5, 2
	ds_bpermute_b32 v9, v4, v6
	ds_bpermute_b32 v3, v4, v1
	;; [unrolled: 1-line block ×3, first 2 shown]
	v_cmpx_gt_u32_e64 s3, v10
	s_cbranch_execz .LBB499_120
; %bb.119:
	s_waitcnt lgkmcnt(2)
	v_and_b32_e32 v6, 1, v9
	s_waitcnt lgkmcnt(0)
	v_cmp_lt_i64_e32 vcc_lo, v[3:4], v[1:2]
	s_delay_alu instid0(VALU_DEP_2) | instskip(SKIP_1) | instid1(VALU_DEP_2)
	v_cmp_eq_u32_e64 s2, 1, v6
	v_and_b32_e32 v6, 1, v7
	v_cndmask_b32_e64 v7, v7, 1, s2
	s_and_b32 vcc_lo, s2, vcc_lo
	s_delay_alu instid0(VALU_DEP_2) | instskip(SKIP_1) | instid1(VALU_DEP_2)
	v_cmp_eq_u32_e64 s2, 1, v6
	v_dual_cndmask_b32 v1, v1, v3 :: v_dual_cndmask_b32 v2, v2, v4
	v_cndmask_b32_e64 v7, v9, v7, s2
	s_delay_alu instid0(VALU_DEP_2) | instskip(NEXT) | instid1(VALU_DEP_3)
	v_cndmask_b32_e64 v1, v3, v1, s2
	v_cndmask_b32_e64 v2, v4, v2, s2
	s_delay_alu instid0(VALU_DEP_3)
	v_and_b32_e32 v6, 0xff, v7
.LBB499_120:
	s_or_b32 exec_lo, exec_lo, s5
	v_cmp_gt_u32_e32 vcc_lo, 4, v8
	v_add_nc_u32_e32 v8, 4, v8
	s_waitcnt lgkmcnt(1)
	v_cndmask_b32_e64 v3, 0, 1, vcc_lo
	s_delay_alu instid0(VALU_DEP_2) | instskip(NEXT) | instid1(VALU_DEP_2)
	v_cmp_gt_u32_e32 vcc_lo, s3, v8
	v_lshlrev_b32_e32 v3, 2, v3
	s_waitcnt lgkmcnt(0)
	s_delay_alu instid0(VALU_DEP_1)
	v_add_lshl_u32 v4, v3, v5, 2
	ds_bpermute_b32 v5, v4, v6
	ds_bpermute_b32 v3, v4, v1
	;; [unrolled: 1-line block ×3, first 2 shown]
	s_and_saveexec_b32 s3, vcc_lo
	s_cbranch_execz .LBB499_122
; %bb.121:
	s_waitcnt lgkmcnt(2)
	v_and_b32_e32 v6, 1, v5
	s_waitcnt lgkmcnt(0)
	v_cmp_lt_i64_e32 vcc_lo, v[3:4], v[1:2]
	s_delay_alu instid0(VALU_DEP_2) | instskip(SKIP_1) | instid1(VALU_DEP_2)
	v_cmp_eq_u32_e64 s2, 1, v6
	v_and_b32_e32 v6, 1, v7
	v_cndmask_b32_e64 v7, v7, 1, s2
	s_and_b32 vcc_lo, s2, vcc_lo
	s_delay_alu instid0(VALU_DEP_2) | instskip(SKIP_1) | instid1(VALU_DEP_2)
	v_cmp_eq_u32_e64 s2, 1, v6
	v_dual_cndmask_b32 v1, v1, v3 :: v_dual_cndmask_b32 v2, v2, v4
	v_cndmask_b32_e64 v5, v5, v7, s2
	s_delay_alu instid0(VALU_DEP_2) | instskip(NEXT) | instid1(VALU_DEP_3)
	v_cndmask_b32_e64 v1, v3, v1, s2
	v_cndmask_b32_e64 v2, v4, v2, s2
	s_delay_alu instid0(VALU_DEP_3)
	v_and_b32_e32 v6, 0xff, v5
.LBB499_122:
	s_or_b32 exec_lo, exec_lo, s3
.LBB499_123:
	s_delay_alu instid0(SALU_CYCLE_1)
	s_or_b32 exec_lo, exec_lo, s4
.LBB499_124:
                                        ; implicit-def: $vgpr3_vgpr4
                                        ; implicit-def: $vgpr5
	s_delay_alu instid0(SALU_CYCLE_1)
	s_mov_b32 s2, exec_lo
	v_cmpx_eq_u32_e32 0, v0
	s_xor_b32 s4, exec_lo, s2
	s_cbranch_execz .LBB499_128
; %bb.125:
	s_waitcnt lgkmcnt(0)
	v_dual_mov_b32 v3, s20 :: v_dual_mov_b32 v4, s21
	v_mov_b32_e32 v5, s24
	s_cmp_eq_u64 s[14:15], 0
	s_cbranch_scc1 .LBB499_127
; %bb.126:
	v_and_b32_e32 v3, 1, v6
	v_cmp_gt_i64_e32 vcc_lo, s[20:21], v[1:2]
	s_bitcmp1_b32 s24, 0
	s_cselect_b32 s3, -1, 0
	s_delay_alu instid0(VALU_DEP_2) | instskip(NEXT) | instid1(VALU_DEP_1)
	v_cmp_eq_u32_e64 s2, 1, v3
	s_and_b32 vcc_lo, s2, vcc_lo
	v_cndmask_b32_e64 v3, s24, 1, s2
	v_cndmask_b32_e32 v7, s20, v1, vcc_lo
	v_cndmask_b32_e32 v4, s21, v2, vcc_lo
	s_delay_alu instid0(VALU_DEP_3) | instskip(NEXT) | instid1(VALU_DEP_3)
	v_cndmask_b32_e64 v5, v6, v3, s3
	v_cndmask_b32_e64 v3, v1, v7, s3
	s_delay_alu instid0(VALU_DEP_3)
	v_cndmask_b32_e64 v4, v2, v4, s3
.LBB499_127:
	s_or_b32 s26, s26, exec_lo
.LBB499_128:
	s_or_b32 exec_lo, exec_lo, s4
	s_branch .LBB499_200
.LBB499_129:
	s_cmp_gt_i32 s25, 1
	s_cbranch_scc0 .LBB499_147
; %bb.130:
	s_cmp_eq_u32 s25, 2
	s_cbranch_scc0 .LBB499_148
; %bb.131:
	s_mov_b32 s11, 0
	s_lshl_b32 s8, s10, 9
	s_mov_b32 s9, s11
	s_lshr_b64 s[28:29], s[14:15], 9
	s_lshl_b64 s[2:3], s[8:9], 2
	s_delay_alu instid0(SALU_CYCLE_1)
	s_add_u32 s4, s16, s2
	s_addc_u32 s5, s17, s3
	s_add_u32 s6, s18, s2
	s_addc_u32 s7, s19, s3
	;; [unrolled: 2-line block ×3, first 2 shown]
	s_cmp_lg_u64 s[28:29], s[10:11]
	s_cbranch_scc0 .LBB499_149
; %bb.132:
	v_lshlrev_b32_e32 v1, 2, v0
	v_add_co_u32 v7, s2, s9, v0
	s_waitcnt lgkmcnt(2)
	v_add_co_ci_u32_e64 v5, null, s22, 0, s2
	global_load_b32 v2, v1, s[6:7] offset:1024
	s_waitcnt lgkmcnt(1)
	global_load_b32 v3, v1, s[6:7]
	s_waitcnt lgkmcnt(0)
	s_clause 0x1
	global_load_b32 v4, v1, s[4:5] offset:1024
	global_load_b32 v1, v1, s[4:5]
	v_add_co_u32 v8, vcc_lo, 0x100, v7
	v_add_co_ci_u32_e32 v6, vcc_lo, 0, v5, vcc_lo
	s_mov_b32 s23, exec_lo
	s_waitcnt vmcnt(1)
	v_cmp_ne_u32_e32 vcc_lo, v4, v2
	s_waitcnt vmcnt(0)
	v_cmp_ne_u32_e64 s2, v1, v3
	s_delay_alu instid0(VALU_DEP_1) | instskip(SKIP_3) | instid1(VALU_DEP_3)
	s_or_b32 s3, s2, vcc_lo
	v_cndmask_b32_e64 v2, v6, v5, s2
	v_cndmask_b32_e64 v5, 0, 1, s3
	;; [unrolled: 1-line block ×3, first 2 shown]
	v_mov_b32_dpp v4, v2 quad_perm:[1,0,3,2] row_mask:0xf bank_mask:0xf
	s_delay_alu instid0(VALU_DEP_3) | instskip(NEXT) | instid1(VALU_DEP_3)
	v_mov_b32_dpp v6, v5 quad_perm:[1,0,3,2] row_mask:0xf bank_mask:0xf
	v_mov_b32_dpp v3, v1 quad_perm:[1,0,3,2] row_mask:0xf bank_mask:0xf
	s_delay_alu instid0(VALU_DEP_2) | instskip(NEXT) | instid1(VALU_DEP_1)
	v_and_b32_e32 v7, 1, v6
	v_cmpx_eq_u32_e32 1, v7
; %bb.133:
	v_cndmask_b32_e64 v5, v6, 1, s3
	s_delay_alu instid0(VALU_DEP_4) | instskip(NEXT) | instid1(VALU_DEP_2)
	v_cmp_lt_i64_e32 vcc_lo, v[1:2], v[3:4]
	v_and_b32_e32 v6, 1, v5
	v_and_b32_e32 v5, 0xff, v5
	s_and_b32 vcc_lo, s3, vcc_lo
	s_and_not1_b32 s3, s3, exec_lo
	v_dual_cndmask_b32 v2, v4, v2 :: v_dual_cndmask_b32 v1, v3, v1
	v_cmp_eq_u32_e64 s2, 1, v6
	s_delay_alu instid0(VALU_DEP_1) | instskip(NEXT) | instid1(SALU_CYCLE_1)
	s_and_b32 s2, s2, exec_lo
	s_or_b32 s3, s3, s2
; %bb.134:
	s_or_b32 exec_lo, exec_lo, s23
	v_mov_b32_dpp v6, v5 quad_perm:[2,3,0,1] row_mask:0xf bank_mask:0xf
	v_mov_b32_dpp v3, v1 quad_perm:[2,3,0,1] row_mask:0xf bank_mask:0xf
	;; [unrolled: 1-line block ×3, first 2 shown]
	s_mov_b32 s23, exec_lo
	s_delay_alu instid0(VALU_DEP_3) | instskip(NEXT) | instid1(VALU_DEP_1)
	v_and_b32_e32 v7, 1, v6
	v_cmpx_eq_u32_e32 1, v7
; %bb.135:
	v_cndmask_b32_e64 v5, v6, 1, s3
	v_cmp_lt_i64_e32 vcc_lo, v[1:2], v[3:4]
	s_delay_alu instid0(VALU_DEP_2)
	v_and_b32_e32 v6, 1, v5
	v_and_b32_e32 v5, 0xff, v5
	s_and_b32 vcc_lo, s3, vcc_lo
	s_and_not1_b32 s3, s3, exec_lo
	v_dual_cndmask_b32 v2, v4, v2 :: v_dual_cndmask_b32 v1, v3, v1
	v_cmp_eq_u32_e64 s2, 1, v6
	s_delay_alu instid0(VALU_DEP_1) | instskip(NEXT) | instid1(SALU_CYCLE_1)
	s_and_b32 s2, s2, exec_lo
	s_or_b32 s3, s3, s2
; %bb.136:
	s_or_b32 exec_lo, exec_lo, s23
	v_mov_b32_dpp v6, v5 row_ror:4 row_mask:0xf bank_mask:0xf
	v_mov_b32_dpp v3, v1 row_ror:4 row_mask:0xf bank_mask:0xf
	;; [unrolled: 1-line block ×3, first 2 shown]
	s_mov_b32 s23, exec_lo
	s_delay_alu instid0(VALU_DEP_3) | instskip(NEXT) | instid1(VALU_DEP_1)
	v_and_b32_e32 v7, 1, v6
	v_cmpx_eq_u32_e32 1, v7
; %bb.137:
	v_cndmask_b32_e64 v5, v6, 1, s3
	v_cmp_lt_i64_e32 vcc_lo, v[1:2], v[3:4]
	s_delay_alu instid0(VALU_DEP_2)
	v_and_b32_e32 v6, 1, v5
	v_and_b32_e32 v5, 0xff, v5
	s_and_b32 vcc_lo, s3, vcc_lo
	s_and_not1_b32 s3, s3, exec_lo
	v_dual_cndmask_b32 v2, v4, v2 :: v_dual_cndmask_b32 v1, v3, v1
	v_cmp_eq_u32_e64 s2, 1, v6
	s_delay_alu instid0(VALU_DEP_1) | instskip(NEXT) | instid1(SALU_CYCLE_1)
	s_and_b32 s2, s2, exec_lo
	s_or_b32 s3, s3, s2
; %bb.138:
	s_or_b32 exec_lo, exec_lo, s23
	v_mov_b32_dpp v6, v5 row_ror:8 row_mask:0xf bank_mask:0xf
	v_mov_b32_dpp v3, v1 row_ror:8 row_mask:0xf bank_mask:0xf
	;; [unrolled: 1-line block ×3, first 2 shown]
	s_mov_b32 s23, exec_lo
	s_delay_alu instid0(VALU_DEP_3) | instskip(NEXT) | instid1(VALU_DEP_1)
	v_and_b32_e32 v7, 1, v6
	v_cmpx_eq_u32_e32 1, v7
; %bb.139:
	v_cndmask_b32_e64 v5, v6, 1, s3
	v_cmp_lt_i64_e32 vcc_lo, v[1:2], v[3:4]
	s_delay_alu instid0(VALU_DEP_2)
	v_and_b32_e32 v6, 1, v5
	v_and_b32_e32 v5, 0xff, v5
	s_and_b32 vcc_lo, s3, vcc_lo
	s_and_not1_b32 s3, s3, exec_lo
	v_dual_cndmask_b32 v2, v4, v2 :: v_dual_cndmask_b32 v1, v3, v1
	v_cmp_eq_u32_e64 s2, 1, v6
	s_delay_alu instid0(VALU_DEP_1) | instskip(NEXT) | instid1(SALU_CYCLE_1)
	s_and_b32 s2, s2, exec_lo
	s_or_b32 s3, s3, s2
; %bb.140:
	s_or_b32 exec_lo, exec_lo, s23
	ds_swizzle_b32 v6, v5 offset:swizzle(BROADCAST,32,15)
	ds_swizzle_b32 v3, v1 offset:swizzle(BROADCAST,32,15)
	;; [unrolled: 1-line block ×3, first 2 shown]
	s_mov_b32 s2, exec_lo
	s_waitcnt lgkmcnt(2)
	v_and_b32_e32 v7, 1, v6
	s_delay_alu instid0(VALU_DEP_1)
	v_cmpx_eq_u32_e32 1, v7
	s_cbranch_execz .LBB499_142
; %bb.141:
	s_waitcnt lgkmcnt(0)
	v_cmp_lt_i64_e32 vcc_lo, v[1:2], v[3:4]
	v_and_b32_e32 v5, 0xff, v6
	s_delay_alu instid0(VALU_DEP_1)
	v_cndmask_b32_e64 v5, v5, 1, s3
	s_and_b32 vcc_lo, s3, vcc_lo
	v_dual_cndmask_b32 v1, v3, v1 :: v_dual_cndmask_b32 v2, v4, v2
.LBB499_142:
	s_or_b32 exec_lo, exec_lo, s2
	s_waitcnt lgkmcnt(1)
	v_mov_b32_e32 v3, 0
	s_mov_b32 s2, exec_lo
	ds_bpermute_b32 v6, v3, v5 offset:124
	ds_bpermute_b32 v1, v3, v1 offset:124
	;; [unrolled: 1-line block ×3, first 2 shown]
	v_mbcnt_lo_u32_b32 v3, -1, 0
	s_delay_alu instid0(VALU_DEP_1)
	v_cmpx_eq_u32_e32 0, v3
	s_cbranch_execz .LBB499_144
; %bb.143:
	s_waitcnt lgkmcnt(3)
	v_lshrrev_b32_e32 v4, 1, v0
	s_delay_alu instid0(VALU_DEP_1)
	v_and_b32_e32 v4, 0x70, v4
	s_waitcnt lgkmcnt(2)
	ds_store_b8 v4, v6 offset:128
	s_waitcnt lgkmcnt(1)
	ds_store_b64 v4, v[1:2] offset:136
.LBB499_144:
	s_or_b32 exec_lo, exec_lo, s2
	s_delay_alu instid0(SALU_CYCLE_1)
	s_mov_b32 s23, exec_lo
	s_waitcnt lgkmcnt(0)
	s_barrier
	buffer_gl0_inv
	v_cmpx_gt_u32_e32 32, v0
	s_cbranch_execz .LBB499_146
; %bb.145:
	v_and_b32_e32 v6, 7, v3
	s_delay_alu instid0(VALU_DEP_1)
	v_lshlrev_b32_e32 v1, 4, v6
	v_cmp_ne_u32_e32 vcc_lo, 7, v6
	ds_load_u8 v7, v1 offset:128
	ds_load_b64 v[1:2], v1 offset:136
	v_add_co_ci_u32_e32 v4, vcc_lo, 0, v3, vcc_lo
	v_cmp_gt_u32_e32 vcc_lo, 6, v6
	s_delay_alu instid0(VALU_DEP_2)
	v_lshlrev_b32_e32 v5, 2, v4
	v_cndmask_b32_e64 v10, 0, 1, vcc_lo
	s_waitcnt lgkmcnt(1)
	v_and_b32_e32 v4, 0xff, v7
	v_and_b32_e32 v11, 1, v7
	ds_bpermute_b32 v8, v5, v4
	s_waitcnt lgkmcnt(1)
	ds_bpermute_b32 v4, v5, v1
	ds_bpermute_b32 v5, v5, v2
	v_cmp_eq_u32_e64 s3, 1, v11
	s_waitcnt lgkmcnt(2)
	v_and_b32_e32 v9, 1, v8
	s_waitcnt lgkmcnt(0)
	v_cmp_lt_i64_e64 s2, v[4:5], v[1:2]
	s_delay_alu instid0(VALU_DEP_2) | instskip(SKIP_2) | instid1(VALU_DEP_4)
	v_cmp_eq_u32_e32 vcc_lo, 1, v9
	v_lshlrev_b32_e32 v9, 1, v10
	v_cndmask_b32_e64 v7, v7, 1, vcc_lo
	s_and_b32 vcc_lo, vcc_lo, s2
	v_dual_cndmask_b32 v1, v1, v4 :: v_dual_cndmask_b32 v2, v2, v5
	s_delay_alu instid0(VALU_DEP_2) | instskip(SKIP_2) | instid1(VALU_DEP_4)
	v_cndmask_b32_e64 v7, v8, v7, s3
	v_add_lshl_u32 v8, v9, v3, 2
	v_cmp_gt_u32_e32 vcc_lo, 4, v6
	v_cndmask_b32_e64 v1, v4, v1, s3
	v_cndmask_b32_e64 v2, v5, v2, s3
	v_and_b32_e32 v9, 0xff, v7
	v_and_b32_e32 v10, 1, v7
	v_cndmask_b32_e64 v6, 0, 1, vcc_lo
	ds_bpermute_b32 v4, v8, v1
	ds_bpermute_b32 v5, v8, v2
	;; [unrolled: 1-line block ×3, first 2 shown]
	v_cmp_eq_u32_e64 s3, 1, v10
	s_waitcnt lgkmcnt(1)
	v_cmp_lt_i64_e64 s2, v[4:5], v[1:2]
	s_waitcnt lgkmcnt(0)
	v_and_b32_e32 v8, 1, v9
	s_delay_alu instid0(VALU_DEP_1) | instskip(SKIP_1) | instid1(VALU_DEP_4)
	v_cmp_eq_u32_e32 vcc_lo, 1, v8
	v_cndmask_b32_e64 v7, v7, 1, vcc_lo
	s_and_b32 vcc_lo, vcc_lo, s2
	v_dual_cndmask_b32 v1, v1, v4 :: v_dual_cndmask_b32 v2, v2, v5
	s_delay_alu instid0(VALU_DEP_2) | instskip(NEXT) | instid1(VALU_DEP_2)
	v_cndmask_b32_e64 v7, v9, v7, s3
	v_cndmask_b32_e64 v1, v4, v1, s3
	v_lshlrev_b32_e32 v6, 2, v6
	s_delay_alu instid0(VALU_DEP_4) | instskip(NEXT) | instid1(VALU_DEP_2)
	v_cndmask_b32_e64 v2, v5, v2, s3
	v_add_lshl_u32 v6, v6, v3, 2
	v_and_b32_e32 v3, 0xff, v7
	ds_bpermute_b32 v4, v6, v2
	ds_bpermute_b32 v5, v6, v3
	;; [unrolled: 1-line block ×3, first 2 shown]
	s_waitcnt lgkmcnt(1)
	v_and_b32_e32 v6, 1, v5
	s_waitcnt lgkmcnt(0)
	v_cmp_lt_i64_e32 vcc_lo, v[3:4], v[1:2]
	s_delay_alu instid0(VALU_DEP_2) | instskip(SKIP_1) | instid1(VALU_DEP_2)
	v_cmp_eq_u32_e64 s2, 1, v6
	v_and_b32_e32 v6, 1, v7
	v_cndmask_b32_e64 v7, v7, 1, s2
	s_and_b32 vcc_lo, s2, vcc_lo
	s_delay_alu instid0(VALU_DEP_2) | instskip(SKIP_1) | instid1(VALU_DEP_2)
	v_cmp_eq_u32_e64 s2, 1, v6
	v_dual_cndmask_b32 v1, v1, v3 :: v_dual_cndmask_b32 v2, v2, v4
	v_cndmask_b32_e64 v5, v5, v7, s2
	s_delay_alu instid0(VALU_DEP_2) | instskip(NEXT) | instid1(VALU_DEP_3)
	v_cndmask_b32_e64 v1, v3, v1, s2
	v_cndmask_b32_e64 v2, v4, v2, s2
	s_delay_alu instid0(VALU_DEP_3)
	v_and_b32_e32 v6, 0xff, v5
.LBB499_146:
	s_or_b32 exec_lo, exec_lo, s23
	s_branch .LBB499_177
.LBB499_147:
                                        ; implicit-def: $vgpr3_vgpr4
                                        ; implicit-def: $vgpr5
	s_cbranch_execnz .LBB499_182
	s_branch .LBB499_200
.LBB499_148:
                                        ; implicit-def: $vgpr3_vgpr4
                                        ; implicit-def: $vgpr5
	s_branch .LBB499_200
.LBB499_149:
                                        ; implicit-def: $vgpr1_vgpr2
                                        ; implicit-def: $vgpr6
	s_cbranch_execz .LBB499_177
; %bb.150:
	s_waitcnt lgkmcnt(0)
	v_mov_b32_e32 v3, 0
	v_dual_mov_b32 v4, 0 :: v_dual_mov_b32 v5, 0
	s_delay_alu instid0(VALU_DEP_2) | instskip(SKIP_2) | instid1(VALU_DEP_3)
	v_mov_b32_e32 v1, v3
	v_mov_b32_e32 v7, 0
	s_sub_i32 s3, s14, s8
	v_mov_b32_e32 v2, v4
	s_mov_b32 s2, exec_lo
	v_cmpx_gt_u32_e64 s3, v0
	s_cbranch_execz .LBB499_152
; %bb.151:
	v_lshlrev_b32_e32 v1, 2, v0
	s_clause 0x1
	global_load_b32 v6, v1, s[4:5]
	global_load_b32 v7, v1, s[6:7]
	v_add_co_u32 v1, s8, s9, v0
	s_delay_alu instid0(VALU_DEP_1)
	v_add_co_ci_u32_e64 v2, null, s22, 0, s8
	s_waitcnt vmcnt(0)
	v_cmp_ne_u32_e32 vcc_lo, v6, v7
	v_cndmask_b32_e64 v7, 0, 1, vcc_lo
.LBB499_152:
	s_or_b32 exec_lo, exec_lo, s2
	v_or_b32_e32 v6, 0x100, v0
	s_delay_alu instid0(VALU_DEP_1)
	v_cmp_gt_u32_e32 vcc_lo, s3, v6
	s_and_saveexec_b32 s8, vcc_lo
	s_cbranch_execz .LBB499_154
; %bb.153:
	v_lshlrev_b32_e32 v3, 2, v0
	s_clause 0x1
	global_load_b32 v5, v3, s[4:5] offset:1024
	global_load_b32 v8, v3, s[6:7] offset:1024
	v_add_co_u32 v3, s2, s9, v6
	s_delay_alu instid0(VALU_DEP_1) | instskip(SKIP_2) | instid1(VALU_DEP_1)
	v_add_co_ci_u32_e64 v4, null, s22, 0, s2
	s_waitcnt vmcnt(0)
	v_cmp_ne_u32_e64 s2, v5, v8
	v_cndmask_b32_e64 v5, 0, 1, s2
.LBB499_154:
	s_or_b32 exec_lo, exec_lo, s8
	s_and_saveexec_b32 s4, vcc_lo
; %bb.155:
	s_delay_alu instid0(VALU_DEP_1) | instskip(SKIP_1) | instid1(VALU_DEP_2)
	v_and_b32_e32 v6, 1, v5
	v_cmp_lt_i64_e32 vcc_lo, v[3:4], v[1:2]
	v_cmp_eq_u32_e64 s2, 1, v6
	s_delay_alu instid0(VALU_DEP_1) | instskip(SKIP_4) | instid1(VALU_DEP_3)
	s_and_b32 vcc_lo, s2, vcc_lo
	v_cndmask_b32_e32 v1, v1, v3, vcc_lo
	v_and_b32_e32 v6, 1, v7
	v_cndmask_b32_e64 v7, v7, 1, s2
	v_cndmask_b32_e32 v2, v2, v4, vcc_lo
	v_cmp_eq_u32_e32 vcc_lo, 1, v6
	s_delay_alu instid0(VALU_DEP_2)
	v_dual_cndmask_b32 v7, v5, v7 :: v_dual_cndmask_b32 v2, v4, v2
	v_cndmask_b32_e32 v1, v3, v1, vcc_lo
; %bb.156:
	s_or_b32 exec_lo, exec_lo, s4
	v_mbcnt_lo_u32_b32 v5, -1, 0
	s_delay_alu instid0(VALU_DEP_3)
	v_and_b32_e32 v6, 0xffff, v7
	v_and_b32_e32 v8, 0xe0, v0
	s_min_u32 s3, s3, 0x100
	s_mov_b32 s4, exec_lo
	v_cmp_ne_u32_e32 vcc_lo, 31, v5
	v_add_nc_u32_e32 v10, 1, v5
	v_sub_nc_u32_e64 v8, s3, v8 clamp
	v_add_co_ci_u32_e32 v3, vcc_lo, 0, v5, vcc_lo
	s_delay_alu instid0(VALU_DEP_1)
	v_lshlrev_b32_e32 v4, 2, v3
	ds_bpermute_b32 v9, v4, v6
	ds_bpermute_b32 v3, v4, v1
	ds_bpermute_b32 v4, v4, v2
	v_cmpx_lt_u32_e64 v10, v8
	s_cbranch_execz .LBB499_158
; %bb.157:
	s_waitcnt lgkmcnt(2)
	v_and_b32_e32 v6, 1, v9
	s_waitcnt lgkmcnt(0)
	v_cmp_lt_i64_e32 vcc_lo, v[3:4], v[1:2]
	s_delay_alu instid0(VALU_DEP_2) | instskip(SKIP_1) | instid1(VALU_DEP_2)
	v_cmp_eq_u32_e64 s2, 1, v6
	v_and_b32_e32 v6, 1, v7
	v_cndmask_b32_e64 v7, v7, 1, s2
	s_and_b32 vcc_lo, s2, vcc_lo
	s_delay_alu instid0(VALU_DEP_2) | instskip(SKIP_1) | instid1(VALU_DEP_2)
	v_cmp_eq_u32_e64 s2, 1, v6
	v_dual_cndmask_b32 v1, v1, v3 :: v_dual_cndmask_b32 v2, v2, v4
	v_cndmask_b32_e64 v7, v9, v7, s2
	s_delay_alu instid0(VALU_DEP_2) | instskip(NEXT) | instid1(VALU_DEP_3)
	v_cndmask_b32_e64 v1, v3, v1, s2
	v_cndmask_b32_e64 v2, v4, v2, s2
	s_delay_alu instid0(VALU_DEP_3)
	v_and_b32_e32 v6, 0xff, v7
.LBB499_158:
	s_or_b32 exec_lo, exec_lo, s4
	v_cmp_gt_u32_e32 vcc_lo, 30, v5
	v_add_nc_u32_e32 v10, 2, v5
	s_mov_b32 s4, exec_lo
	s_waitcnt lgkmcnt(1)
	v_cndmask_b32_e64 v3, 0, 1, vcc_lo
	s_delay_alu instid0(VALU_DEP_1) | instskip(SKIP_1) | instid1(VALU_DEP_1)
	v_lshlrev_b32_e32 v3, 1, v3
	s_waitcnt lgkmcnt(0)
	v_add_lshl_u32 v4, v3, v5, 2
	ds_bpermute_b32 v9, v4, v6
	ds_bpermute_b32 v3, v4, v1
	ds_bpermute_b32 v4, v4, v2
	v_cmpx_lt_u32_e64 v10, v8
	s_cbranch_execz .LBB499_160
; %bb.159:
	s_waitcnt lgkmcnt(2)
	v_and_b32_e32 v6, 1, v9
	s_waitcnt lgkmcnt(0)
	v_cmp_lt_i64_e32 vcc_lo, v[3:4], v[1:2]
	s_delay_alu instid0(VALU_DEP_2) | instskip(SKIP_1) | instid1(VALU_DEP_2)
	v_cmp_eq_u32_e64 s2, 1, v6
	v_and_b32_e32 v6, 1, v7
	v_cndmask_b32_e64 v7, v7, 1, s2
	s_and_b32 vcc_lo, s2, vcc_lo
	s_delay_alu instid0(VALU_DEP_2) | instskip(SKIP_1) | instid1(VALU_DEP_2)
	v_cmp_eq_u32_e64 s2, 1, v6
	v_dual_cndmask_b32 v1, v1, v3 :: v_dual_cndmask_b32 v2, v2, v4
	v_cndmask_b32_e64 v7, v9, v7, s2
	s_delay_alu instid0(VALU_DEP_2) | instskip(NEXT) | instid1(VALU_DEP_3)
	v_cndmask_b32_e64 v1, v3, v1, s2
	v_cndmask_b32_e64 v2, v4, v2, s2
	s_delay_alu instid0(VALU_DEP_3)
	v_and_b32_e32 v6, 0xff, v7
.LBB499_160:
	s_or_b32 exec_lo, exec_lo, s4
	v_cmp_gt_u32_e32 vcc_lo, 28, v5
	v_add_nc_u32_e32 v10, 4, v5
	s_mov_b32 s4, exec_lo
	s_waitcnt lgkmcnt(1)
	v_cndmask_b32_e64 v3, 0, 1, vcc_lo
	s_delay_alu instid0(VALU_DEP_1) | instskip(SKIP_1) | instid1(VALU_DEP_1)
	v_lshlrev_b32_e32 v3, 2, v3
	s_waitcnt lgkmcnt(0)
	v_add_lshl_u32 v4, v3, v5, 2
	;; [unrolled: 35-line block ×4, first 2 shown]
	ds_bpermute_b32 v9, v4, v6
	ds_bpermute_b32 v3, v4, v1
	;; [unrolled: 1-line block ×3, first 2 shown]
	v_cmpx_lt_u32_e64 v10, v8
	s_cbranch_execz .LBB499_166
; %bb.165:
	s_waitcnt lgkmcnt(2)
	v_and_b32_e32 v6, 1, v9
	s_waitcnt lgkmcnt(0)
	v_cmp_lt_i64_e32 vcc_lo, v[3:4], v[1:2]
	s_delay_alu instid0(VALU_DEP_2) | instskip(SKIP_1) | instid1(VALU_DEP_2)
	v_cmp_eq_u32_e64 s2, 1, v6
	v_and_b32_e32 v6, 1, v7
	v_cndmask_b32_e64 v7, v7, 1, s2
	s_and_b32 vcc_lo, s2, vcc_lo
	s_delay_alu instid0(VALU_DEP_2) | instskip(SKIP_1) | instid1(VALU_DEP_2)
	v_cmp_eq_u32_e64 s2, 1, v6
	v_dual_cndmask_b32 v1, v1, v3 :: v_dual_cndmask_b32 v2, v2, v4
	v_cndmask_b32_e64 v7, v9, v7, s2
	s_delay_alu instid0(VALU_DEP_2) | instskip(NEXT) | instid1(VALU_DEP_3)
	v_cndmask_b32_e64 v1, v3, v1, s2
	v_cndmask_b32_e64 v2, v4, v2, s2
	s_delay_alu instid0(VALU_DEP_3)
	v_and_b32_e32 v6, 0xff, v7
.LBB499_166:
	s_or_b32 exec_lo, exec_lo, s4
	s_delay_alu instid0(SALU_CYCLE_1)
	s_mov_b32 s2, exec_lo
	v_cmpx_eq_u32_e32 0, v5
	s_cbranch_execz .LBB499_168
; %bb.167:
	s_waitcnt lgkmcnt(1)
	v_lshrrev_b32_e32 v3, 1, v0
	s_delay_alu instid0(VALU_DEP_1)
	v_and_b32_e32 v3, 0x70, v3
	ds_store_b8 v3, v7 offset:512
	ds_store_b64 v3, v[1:2] offset:520
.LBB499_168:
	s_or_b32 exec_lo, exec_lo, s2
	s_delay_alu instid0(SALU_CYCLE_1)
	s_mov_b32 s4, exec_lo
	s_waitcnt lgkmcnt(0)
	s_barrier
	buffer_gl0_inv
	v_cmpx_gt_u32_e32 8, v0
	s_cbranch_execz .LBB499_176
; %bb.169:
	v_lshlrev_b32_e32 v1, 4, v5
	v_and_b32_e32 v8, 7, v5
	s_add_i32 s3, s3, 31
	s_mov_b32 s5, exec_lo
	s_lshr_b32 s3, s3, 5
	ds_load_u8 v7, v1 offset:512
	ds_load_b64 v[1:2], v1 offset:520
	v_cmp_ne_u32_e32 vcc_lo, 7, v8
	v_add_nc_u32_e32 v10, 1, v8
	v_add_co_ci_u32_e32 v3, vcc_lo, 0, v5, vcc_lo
	s_delay_alu instid0(VALU_DEP_1)
	v_lshlrev_b32_e32 v4, 2, v3
	s_waitcnt lgkmcnt(1)
	v_and_b32_e32 v6, 0xff, v7
	s_waitcnt lgkmcnt(0)
	ds_bpermute_b32 v3, v4, v1
	ds_bpermute_b32 v9, v4, v6
	;; [unrolled: 1-line block ×3, first 2 shown]
	v_cmpx_gt_u32_e64 s3, v10
	s_cbranch_execz .LBB499_171
; %bb.170:
	s_waitcnt lgkmcnt(1)
	v_and_b32_e32 v6, 1, v9
	s_waitcnt lgkmcnt(0)
	v_cmp_lt_i64_e32 vcc_lo, v[3:4], v[1:2]
	s_delay_alu instid0(VALU_DEP_2) | instskip(SKIP_1) | instid1(VALU_DEP_2)
	v_cmp_eq_u32_e64 s2, 1, v6
	v_and_b32_e32 v6, 1, v7
	v_cndmask_b32_e64 v7, v7, 1, s2
	s_and_b32 vcc_lo, s2, vcc_lo
	s_delay_alu instid0(VALU_DEP_2) | instskip(SKIP_1) | instid1(VALU_DEP_2)
	v_cmp_eq_u32_e64 s2, 1, v6
	v_dual_cndmask_b32 v1, v1, v3 :: v_dual_cndmask_b32 v2, v2, v4
	v_cndmask_b32_e64 v7, v9, v7, s2
	s_delay_alu instid0(VALU_DEP_2) | instskip(NEXT) | instid1(VALU_DEP_3)
	v_cndmask_b32_e64 v1, v3, v1, s2
	v_cndmask_b32_e64 v2, v4, v2, s2
	s_delay_alu instid0(VALU_DEP_3)
	v_and_b32_e32 v6, 0xff, v7
.LBB499_171:
	s_or_b32 exec_lo, exec_lo, s5
	v_cmp_gt_u32_e32 vcc_lo, 6, v8
	v_add_nc_u32_e32 v10, 2, v8
	s_mov_b32 s5, exec_lo
	s_waitcnt lgkmcnt(2)
	v_cndmask_b32_e64 v3, 0, 1, vcc_lo
	s_delay_alu instid0(VALU_DEP_1) | instskip(SKIP_1) | instid1(VALU_DEP_1)
	v_lshlrev_b32_e32 v3, 1, v3
	s_waitcnt lgkmcnt(0)
	v_add_lshl_u32 v4, v3, v5, 2
	ds_bpermute_b32 v9, v4, v6
	ds_bpermute_b32 v3, v4, v1
	;; [unrolled: 1-line block ×3, first 2 shown]
	v_cmpx_gt_u32_e64 s3, v10
	s_cbranch_execz .LBB499_173
; %bb.172:
	s_waitcnt lgkmcnt(2)
	v_and_b32_e32 v6, 1, v9
	s_waitcnt lgkmcnt(0)
	v_cmp_lt_i64_e32 vcc_lo, v[3:4], v[1:2]
	s_delay_alu instid0(VALU_DEP_2) | instskip(SKIP_1) | instid1(VALU_DEP_2)
	v_cmp_eq_u32_e64 s2, 1, v6
	v_and_b32_e32 v6, 1, v7
	v_cndmask_b32_e64 v7, v7, 1, s2
	s_and_b32 vcc_lo, s2, vcc_lo
	s_delay_alu instid0(VALU_DEP_2) | instskip(SKIP_1) | instid1(VALU_DEP_2)
	v_cmp_eq_u32_e64 s2, 1, v6
	v_dual_cndmask_b32 v1, v1, v3 :: v_dual_cndmask_b32 v2, v2, v4
	v_cndmask_b32_e64 v7, v9, v7, s2
	s_delay_alu instid0(VALU_DEP_2) | instskip(NEXT) | instid1(VALU_DEP_3)
	v_cndmask_b32_e64 v1, v3, v1, s2
	v_cndmask_b32_e64 v2, v4, v2, s2
	s_delay_alu instid0(VALU_DEP_3)
	v_and_b32_e32 v6, 0xff, v7
.LBB499_173:
	s_or_b32 exec_lo, exec_lo, s5
	v_cmp_gt_u32_e32 vcc_lo, 4, v8
	v_add_nc_u32_e32 v8, 4, v8
	s_waitcnt lgkmcnt(1)
	v_cndmask_b32_e64 v3, 0, 1, vcc_lo
	s_delay_alu instid0(VALU_DEP_2) | instskip(NEXT) | instid1(VALU_DEP_2)
	v_cmp_gt_u32_e32 vcc_lo, s3, v8
	v_lshlrev_b32_e32 v3, 2, v3
	s_waitcnt lgkmcnt(0)
	s_delay_alu instid0(VALU_DEP_1)
	v_add_lshl_u32 v4, v3, v5, 2
	ds_bpermute_b32 v5, v4, v6
	ds_bpermute_b32 v3, v4, v1
	;; [unrolled: 1-line block ×3, first 2 shown]
	s_and_saveexec_b32 s3, vcc_lo
	s_cbranch_execz .LBB499_175
; %bb.174:
	s_waitcnt lgkmcnt(2)
	v_and_b32_e32 v6, 1, v5
	s_waitcnt lgkmcnt(0)
	v_cmp_lt_i64_e32 vcc_lo, v[3:4], v[1:2]
	s_delay_alu instid0(VALU_DEP_2) | instskip(SKIP_1) | instid1(VALU_DEP_2)
	v_cmp_eq_u32_e64 s2, 1, v6
	v_and_b32_e32 v6, 1, v7
	v_cndmask_b32_e64 v7, v7, 1, s2
	s_and_b32 vcc_lo, s2, vcc_lo
	s_delay_alu instid0(VALU_DEP_2) | instskip(SKIP_1) | instid1(VALU_DEP_2)
	v_cmp_eq_u32_e64 s2, 1, v6
	v_dual_cndmask_b32 v1, v1, v3 :: v_dual_cndmask_b32 v2, v2, v4
	v_cndmask_b32_e64 v5, v5, v7, s2
	s_delay_alu instid0(VALU_DEP_2) | instskip(NEXT) | instid1(VALU_DEP_3)
	v_cndmask_b32_e64 v1, v3, v1, s2
	v_cndmask_b32_e64 v2, v4, v2, s2
	s_delay_alu instid0(VALU_DEP_3)
	v_and_b32_e32 v6, 0xff, v5
.LBB499_175:
	s_or_b32 exec_lo, exec_lo, s3
.LBB499_176:
	s_delay_alu instid0(SALU_CYCLE_1)
	s_or_b32 exec_lo, exec_lo, s4
.LBB499_177:
                                        ; implicit-def: $vgpr3_vgpr4
                                        ; implicit-def: $vgpr5
	s_delay_alu instid0(SALU_CYCLE_1)
	s_mov_b32 s2, exec_lo
	v_cmpx_eq_u32_e32 0, v0
	s_xor_b32 s4, exec_lo, s2
	s_cbranch_execz .LBB499_181
; %bb.178:
	s_waitcnt lgkmcnt(0)
	v_dual_mov_b32 v3, s20 :: v_dual_mov_b32 v4, s21
	v_mov_b32_e32 v5, s24
	s_cmp_eq_u64 s[14:15], 0
	s_cbranch_scc1 .LBB499_180
; %bb.179:
	v_and_b32_e32 v3, 1, v6
	v_cmp_gt_i64_e32 vcc_lo, s[20:21], v[1:2]
	s_bitcmp1_b32 s24, 0
	s_cselect_b32 s3, -1, 0
	s_delay_alu instid0(VALU_DEP_2) | instskip(NEXT) | instid1(VALU_DEP_1)
	v_cmp_eq_u32_e64 s2, 1, v3
	s_and_b32 vcc_lo, s2, vcc_lo
	v_cndmask_b32_e64 v3, s24, 1, s2
	v_cndmask_b32_e32 v7, s20, v1, vcc_lo
	v_cndmask_b32_e32 v4, s21, v2, vcc_lo
	s_delay_alu instid0(VALU_DEP_3) | instskip(NEXT) | instid1(VALU_DEP_3)
	v_cndmask_b32_e64 v5, v6, v3, s3
	v_cndmask_b32_e64 v3, v1, v7, s3
	s_delay_alu instid0(VALU_DEP_3)
	v_cndmask_b32_e64 v4, v2, v4, s3
.LBB499_180:
	s_or_b32 s26, s26, exec_lo
.LBB499_181:
	s_or_b32 exec_lo, exec_lo, s4
	s_branch .LBB499_200
.LBB499_182:
	s_cmp_eq_u32 s25, 1
	s_cbranch_scc0 .LBB499_199
; %bb.183:
	s_mov_b32 s5, 0
	s_lshr_b64 s[2:3], s[14:15], 8
	s_mov_b32 s11, s5
	s_lshl_b32 s4, s10, 8
	s_cmp_lg_u64 s[2:3], s[10:11]
	s_cbranch_scc0 .LBB499_203
; %bb.184:
	s_lshl_b64 s[2:3], s[4:5], 2
	v_lshlrev_b32_e32 v1, 2, v0
	s_add_u32 s6, s16, s2
	s_addc_u32 s7, s17, s3
	s_add_u32 s2, s18, s2
	s_addc_u32 s3, s19, s3
	s_clause 0x1
	global_load_b32 v2, v1, s[6:7]
	global_load_b32 v1, v1, s[2:3]
	s_add_u32 s2, s12, s4
	s_addc_u32 s3, s13, 0
	s_waitcnt vmcnt(0)
	v_cmp_ne_u32_e32 vcc_lo, v2, v1
	v_cndmask_b32_e64 v1, 0, 1, vcc_lo
	v_cndmask_b32_e64 v6, 0, 1, vcc_lo
	s_waitcnt lgkmcnt(2)
	s_delay_alu instid0(VALU_DEP_2) | instskip(SKIP_1) | instid1(VALU_DEP_1)
	v_mov_b32_dpp v5, v1 quad_perm:[1,0,3,2] row_mask:0xf bank_mask:0xf
	v_add_co_u32 v1, s2, s2, v0
	v_add_co_ci_u32_e64 v2, null, s3, 0, s2
	s_delay_alu instid0(VALU_DEP_3) | instskip(SKIP_1) | instid1(VALU_DEP_3)
	v_and_b32_e32 v7, 1, v5
	s_waitcnt lgkmcnt(1)
	v_mov_b32_dpp v3, v1 quad_perm:[1,0,3,2] row_mask:0xf bank_mask:0xf
	s_mov_b32 s3, exec_lo
	s_waitcnt lgkmcnt(0)
	v_mov_b32_dpp v4, v2 quad_perm:[1,0,3,2] row_mask:0xf bank_mask:0xf
	v_cmpx_eq_u32_e32 1, v7
; %bb.185:
	s_delay_alu instid0(VALU_DEP_2) | instskip(SKIP_1) | instid1(VALU_DEP_2)
	v_cmp_lt_i64_e64 s2, v[1:2], v[3:4]
	v_cndmask_b32_e64 v6, v5, 1, vcc_lo
	s_and_b32 vcc_lo, vcc_lo, s2
	v_dual_cndmask_b32 v2, v4, v2 :: v_dual_cndmask_b32 v1, v3, v1
; %bb.186:
	s_or_b32 exec_lo, exec_lo, s3
	s_delay_alu instid0(VALU_DEP_2) | instskip(SKIP_1) | instid1(VALU_DEP_3)
	v_and_b32_e32 v5, 0xff, v6
	v_and_b32_e32 v6, 1, v6
	v_mov_b32_dpp v3, v1 quad_perm:[2,3,0,1] row_mask:0xf bank_mask:0xf
	v_mov_b32_dpp v4, v2 quad_perm:[2,3,0,1] row_mask:0xf bank_mask:0xf
	s_mov_b32 s6, exec_lo
	v_mov_b32_dpp v7, v5 quad_perm:[2,3,0,1] row_mask:0xf bank_mask:0xf
	v_cmp_eq_u32_e64 s3, 1, v6
	s_delay_alu instid0(VALU_DEP_2) | instskip(NEXT) | instid1(VALU_DEP_1)
	v_and_b32_e32 v8, 1, v7
	v_cmpx_eq_u32_e32 1, v8
; %bb.187:
	s_delay_alu instid0(VALU_DEP_3) | instskip(SKIP_1) | instid1(VALU_DEP_2)
	v_cndmask_b32_e64 v5, v7, 1, s3
	v_cmp_lt_i64_e32 vcc_lo, v[1:2], v[3:4]
	v_and_b32_e32 v6, 1, v5
	v_and_b32_e32 v5, 0xff, v5
	s_and_b32 vcc_lo, s3, vcc_lo
	s_and_not1_b32 s3, s3, exec_lo
	v_dual_cndmask_b32 v2, v4, v2 :: v_dual_cndmask_b32 v1, v3, v1
	v_cmp_eq_u32_e64 s2, 1, v6
	s_delay_alu instid0(VALU_DEP_1) | instskip(NEXT) | instid1(SALU_CYCLE_1)
	s_and_b32 s2, s2, exec_lo
	s_or_b32 s3, s3, s2
; %bb.188:
	s_or_b32 exec_lo, exec_lo, s6
	v_mov_b32_dpp v6, v5 row_ror:4 row_mask:0xf bank_mask:0xf
	v_mov_b32_dpp v3, v1 row_ror:4 row_mask:0xf bank_mask:0xf
	;; [unrolled: 1-line block ×3, first 2 shown]
	s_mov_b32 s6, exec_lo
	s_delay_alu instid0(VALU_DEP_3) | instskip(NEXT) | instid1(VALU_DEP_1)
	v_and_b32_e32 v7, 1, v6
	v_cmpx_eq_u32_e32 1, v7
; %bb.189:
	v_cndmask_b32_e64 v5, v6, 1, s3
	v_cmp_lt_i64_e32 vcc_lo, v[1:2], v[3:4]
	s_delay_alu instid0(VALU_DEP_2)
	v_and_b32_e32 v6, 1, v5
	v_and_b32_e32 v5, 0xff, v5
	s_and_b32 vcc_lo, s3, vcc_lo
	s_and_not1_b32 s3, s3, exec_lo
	v_dual_cndmask_b32 v2, v4, v2 :: v_dual_cndmask_b32 v1, v3, v1
	v_cmp_eq_u32_e64 s2, 1, v6
	s_delay_alu instid0(VALU_DEP_1) | instskip(NEXT) | instid1(SALU_CYCLE_1)
	s_and_b32 s2, s2, exec_lo
	s_or_b32 s3, s3, s2
; %bb.190:
	s_or_b32 exec_lo, exec_lo, s6
	v_mov_b32_dpp v6, v5 row_ror:8 row_mask:0xf bank_mask:0xf
	v_mov_b32_dpp v3, v1 row_ror:8 row_mask:0xf bank_mask:0xf
	;; [unrolled: 1-line block ×3, first 2 shown]
	s_mov_b32 s6, exec_lo
	s_delay_alu instid0(VALU_DEP_3) | instskip(NEXT) | instid1(VALU_DEP_1)
	v_and_b32_e32 v7, 1, v6
	v_cmpx_eq_u32_e32 1, v7
; %bb.191:
	v_cndmask_b32_e64 v5, v6, 1, s3
	v_cmp_lt_i64_e32 vcc_lo, v[1:2], v[3:4]
	s_delay_alu instid0(VALU_DEP_2)
	v_and_b32_e32 v6, 1, v5
	v_and_b32_e32 v5, 0xff, v5
	s_and_b32 vcc_lo, s3, vcc_lo
	s_and_not1_b32 s3, s3, exec_lo
	v_dual_cndmask_b32 v2, v4, v2 :: v_dual_cndmask_b32 v1, v3, v1
	v_cmp_eq_u32_e64 s2, 1, v6
	s_delay_alu instid0(VALU_DEP_1) | instskip(NEXT) | instid1(SALU_CYCLE_1)
	s_and_b32 s2, s2, exec_lo
	s_or_b32 s3, s3, s2
; %bb.192:
	s_or_b32 exec_lo, exec_lo, s6
	ds_swizzle_b32 v6, v5 offset:swizzle(BROADCAST,32,15)
	ds_swizzle_b32 v3, v1 offset:swizzle(BROADCAST,32,15)
	;; [unrolled: 1-line block ×3, first 2 shown]
	s_mov_b32 s2, exec_lo
	s_waitcnt lgkmcnt(2)
	v_and_b32_e32 v7, 1, v6
	s_delay_alu instid0(VALU_DEP_1)
	v_cmpx_eq_u32_e32 1, v7
	s_cbranch_execz .LBB499_194
; %bb.193:
	s_waitcnt lgkmcnt(0)
	v_cmp_lt_i64_e32 vcc_lo, v[1:2], v[3:4]
	v_and_b32_e32 v5, 0xff, v6
	s_delay_alu instid0(VALU_DEP_1)
	v_cndmask_b32_e64 v5, v5, 1, s3
	s_and_b32 vcc_lo, s3, vcc_lo
	v_dual_cndmask_b32 v1, v3, v1 :: v_dual_cndmask_b32 v2, v4, v2
.LBB499_194:
	s_or_b32 exec_lo, exec_lo, s2
	s_waitcnt lgkmcnt(1)
	v_mov_b32_e32 v3, 0
	s_mov_b32 s2, exec_lo
	ds_bpermute_b32 v6, v3, v5 offset:124
	ds_bpermute_b32 v1, v3, v1 offset:124
	;; [unrolled: 1-line block ×3, first 2 shown]
	v_mbcnt_lo_u32_b32 v3, -1, 0
	s_delay_alu instid0(VALU_DEP_1)
	v_cmpx_eq_u32_e32 0, v3
	s_cbranch_execz .LBB499_196
; %bb.195:
	s_waitcnt lgkmcnt(3)
	v_lshrrev_b32_e32 v4, 1, v0
	s_delay_alu instid0(VALU_DEP_1)
	v_and_b32_e32 v4, 0x70, v4
	s_waitcnt lgkmcnt(2)
	ds_store_b8 v4, v6
	s_waitcnt lgkmcnt(1)
	ds_store_b64 v4, v[1:2] offset:8
.LBB499_196:
	s_or_b32 exec_lo, exec_lo, s2
	s_delay_alu instid0(SALU_CYCLE_1)
	s_mov_b32 s6, exec_lo
	s_waitcnt lgkmcnt(0)
	s_barrier
	buffer_gl0_inv
	v_cmpx_gt_u32_e32 32, v0
	s_cbranch_execz .LBB499_198
; %bb.197:
	v_and_b32_e32 v6, 7, v3
	s_delay_alu instid0(VALU_DEP_1)
	v_lshlrev_b32_e32 v1, 4, v6
	v_cmp_ne_u32_e32 vcc_lo, 7, v6
	ds_load_u8 v7, v1
	ds_load_b64 v[1:2], v1 offset:8
	v_add_co_ci_u32_e32 v4, vcc_lo, 0, v3, vcc_lo
	v_cmp_gt_u32_e32 vcc_lo, 6, v6
	s_delay_alu instid0(VALU_DEP_2)
	v_lshlrev_b32_e32 v5, 2, v4
	v_cndmask_b32_e64 v10, 0, 1, vcc_lo
	s_waitcnt lgkmcnt(1)
	v_and_b32_e32 v4, 0xff, v7
	v_and_b32_e32 v11, 1, v7
	ds_bpermute_b32 v8, v5, v4
	s_waitcnt lgkmcnt(1)
	ds_bpermute_b32 v4, v5, v1
	ds_bpermute_b32 v5, v5, v2
	v_cmp_eq_u32_e64 s3, 1, v11
	s_waitcnt lgkmcnt(2)
	v_and_b32_e32 v9, 1, v8
	s_waitcnt lgkmcnt(0)
	v_cmp_lt_i64_e64 s2, v[4:5], v[1:2]
	s_delay_alu instid0(VALU_DEP_2) | instskip(SKIP_2) | instid1(VALU_DEP_4)
	v_cmp_eq_u32_e32 vcc_lo, 1, v9
	v_lshlrev_b32_e32 v9, 1, v10
	v_cndmask_b32_e64 v7, v7, 1, vcc_lo
	s_and_b32 vcc_lo, vcc_lo, s2
	v_dual_cndmask_b32 v1, v1, v4 :: v_dual_cndmask_b32 v2, v2, v5
	s_delay_alu instid0(VALU_DEP_2) | instskip(SKIP_2) | instid1(VALU_DEP_4)
	v_cndmask_b32_e64 v7, v8, v7, s3
	v_add_lshl_u32 v8, v9, v3, 2
	v_cmp_gt_u32_e32 vcc_lo, 4, v6
	v_cndmask_b32_e64 v1, v4, v1, s3
	v_cndmask_b32_e64 v2, v5, v2, s3
	v_and_b32_e32 v9, 0xff, v7
	v_and_b32_e32 v10, 1, v7
	v_cndmask_b32_e64 v6, 0, 1, vcc_lo
	ds_bpermute_b32 v4, v8, v1
	ds_bpermute_b32 v5, v8, v2
	;; [unrolled: 1-line block ×3, first 2 shown]
	v_cmp_eq_u32_e64 s3, 1, v10
	s_waitcnt lgkmcnt(1)
	v_cmp_lt_i64_e64 s2, v[4:5], v[1:2]
	s_waitcnt lgkmcnt(0)
	v_and_b32_e32 v8, 1, v9
	s_delay_alu instid0(VALU_DEP_1) | instskip(SKIP_1) | instid1(VALU_DEP_4)
	v_cmp_eq_u32_e32 vcc_lo, 1, v8
	v_cndmask_b32_e64 v7, v7, 1, vcc_lo
	s_and_b32 vcc_lo, vcc_lo, s2
	v_dual_cndmask_b32 v1, v1, v4 :: v_dual_cndmask_b32 v2, v2, v5
	s_delay_alu instid0(VALU_DEP_2) | instskip(NEXT) | instid1(VALU_DEP_2)
	v_cndmask_b32_e64 v7, v9, v7, s3
	v_cndmask_b32_e64 v1, v4, v1, s3
	v_lshlrev_b32_e32 v6, 2, v6
	s_delay_alu instid0(VALU_DEP_4) | instskip(NEXT) | instid1(VALU_DEP_2)
	v_cndmask_b32_e64 v2, v5, v2, s3
	v_add_lshl_u32 v6, v6, v3, 2
	v_and_b32_e32 v3, 0xff, v7
	ds_bpermute_b32 v4, v6, v2
	ds_bpermute_b32 v5, v6, v3
	;; [unrolled: 1-line block ×3, first 2 shown]
	s_waitcnt lgkmcnt(1)
	v_and_b32_e32 v6, 1, v5
	s_waitcnt lgkmcnt(0)
	v_cmp_lt_i64_e32 vcc_lo, v[3:4], v[1:2]
	s_delay_alu instid0(VALU_DEP_2) | instskip(SKIP_1) | instid1(VALU_DEP_2)
	v_cmp_eq_u32_e64 s2, 1, v6
	v_and_b32_e32 v6, 1, v7
	v_cndmask_b32_e64 v7, v7, 1, s2
	s_and_b32 vcc_lo, s2, vcc_lo
	s_delay_alu instid0(VALU_DEP_2) | instskip(SKIP_1) | instid1(VALU_DEP_2)
	v_cmp_eq_u32_e64 s2, 1, v6
	v_dual_cndmask_b32 v1, v1, v3 :: v_dual_cndmask_b32 v2, v2, v4
	v_cndmask_b32_e64 v5, v5, v7, s2
	s_delay_alu instid0(VALU_DEP_2) | instskip(NEXT) | instid1(VALU_DEP_3)
	v_cndmask_b32_e64 v1, v3, v1, s2
	v_cndmask_b32_e64 v2, v4, v2, s2
	s_delay_alu instid0(VALU_DEP_3)
	v_and_b32_e32 v6, 0xff, v5
.LBB499_198:
	s_or_b32 exec_lo, exec_lo, s6
	s_branch .LBB499_227
.LBB499_199:
                                        ; implicit-def: $vgpr3_vgpr4
                                        ; implicit-def: $vgpr5
                                        ; implicit-def: $sgpr10_sgpr11
.LBB499_200:
	s_and_saveexec_b32 s2, s26
	s_cbranch_execz .LBB499_202
.LBB499_201:
	s_load_b64 s[0:1], s[0:1], 0x38
	s_lshl_b64 s[2:3], s[10:11], 4
	v_mov_b32_e32 v0, 0
	s_waitcnt lgkmcnt(0)
	s_add_u32 s0, s0, s2
	s_addc_u32 s1, s1, s3
	s_clause 0x1
	global_store_b8 v0, v5, s[0:1]
	global_store_b64 v0, v[3:4], s[0:1] offset:8
.LBB499_202:
	s_nop 0
	s_sendmsg sendmsg(MSG_DEALLOC_VGPRS)
	s_endpgm
.LBB499_203:
                                        ; implicit-def: $vgpr1_vgpr2
                                        ; implicit-def: $vgpr6
	s_cbranch_execz .LBB499_227
; %bb.204:
	v_mov_b32_e32 v1, 0
	v_dual_mov_b32 v2, 0 :: v_dual_mov_b32 v7, 0
	s_sub_i32 s2, s14, s4
	s_mov_b32 s3, exec_lo
	v_cmpx_gt_u32_e64 s2, v0
	s_cbranch_execz .LBB499_206
; %bb.205:
	s_lshl_b64 s[6:7], s[4:5], 2
	v_lshlrev_b32_e32 v1, 2, v0
	s_add_u32 s8, s18, s6
	s_addc_u32 s9, s19, s7
	s_add_u32 s6, s16, s6
	s_addc_u32 s7, s17, s7
	s_add_u32 s4, s12, s4
	s_waitcnt lgkmcnt(1)
	global_load_b32 v3, v1, s[6:7]
	s_waitcnt lgkmcnt(0)
	global_load_b32 v4, v1, s[8:9]
	s_addc_u32 s5, s13, 0
	v_add_co_u32 v1, s4, s4, v0
	s_delay_alu instid0(VALU_DEP_1)
	v_add_co_ci_u32_e64 v2, null, s5, 0, s4
	s_waitcnt vmcnt(0)
	v_cmp_ne_u32_e32 vcc_lo, v3, v4
	v_cndmask_b32_e64 v7, 0, 1, vcc_lo
.LBB499_206:
	s_or_b32 exec_lo, exec_lo, s3
	s_waitcnt lgkmcnt(2)
	v_mbcnt_lo_u32_b32 v5, -1, 0
	s_delay_alu instid0(VALU_DEP_2)
	v_and_b32_e32 v6, 0xffff, v7
	v_and_b32_e32 v8, 0xe0, v0
	s_min_u32 s3, s2, 0x100
	s_mov_b32 s4, exec_lo
	v_cmp_ne_u32_e32 vcc_lo, 31, v5
	v_add_nc_u32_e32 v10, 1, v5
	v_sub_nc_u32_e64 v8, s3, v8 clamp
	s_waitcnt lgkmcnt(1)
	v_add_co_ci_u32_e32 v3, vcc_lo, 0, v5, vcc_lo
	s_waitcnt lgkmcnt(0)
	s_delay_alu instid0(VALU_DEP_1)
	v_lshlrev_b32_e32 v4, 2, v3
	ds_bpermute_b32 v9, v4, v6
	ds_bpermute_b32 v3, v4, v1
	ds_bpermute_b32 v4, v4, v2
	v_cmpx_lt_u32_e64 v10, v8
	s_cbranch_execz .LBB499_208
; %bb.207:
	s_waitcnt lgkmcnt(2)
	v_and_b32_e32 v6, 1, v9
	s_waitcnt lgkmcnt(0)
	v_cmp_lt_i64_e32 vcc_lo, v[3:4], v[1:2]
	s_delay_alu instid0(VALU_DEP_2) | instskip(SKIP_1) | instid1(VALU_DEP_2)
	v_cmp_eq_u32_e64 s2, 1, v6
	v_and_b32_e32 v6, 1, v7
	v_cndmask_b32_e64 v7, v7, 1, s2
	s_and_b32 vcc_lo, s2, vcc_lo
	s_delay_alu instid0(VALU_DEP_2) | instskip(SKIP_1) | instid1(VALU_DEP_2)
	v_cmp_eq_u32_e64 s2, 1, v6
	v_dual_cndmask_b32 v1, v1, v3 :: v_dual_cndmask_b32 v2, v2, v4
	v_cndmask_b32_e64 v7, v9, v7, s2
	s_delay_alu instid0(VALU_DEP_2) | instskip(NEXT) | instid1(VALU_DEP_3)
	v_cndmask_b32_e64 v1, v3, v1, s2
	v_cndmask_b32_e64 v2, v4, v2, s2
	s_delay_alu instid0(VALU_DEP_3)
	v_and_b32_e32 v6, 0xff, v7
.LBB499_208:
	s_or_b32 exec_lo, exec_lo, s4
	v_cmp_gt_u32_e32 vcc_lo, 30, v5
	v_add_nc_u32_e32 v10, 2, v5
	s_mov_b32 s4, exec_lo
	s_waitcnt lgkmcnt(1)
	v_cndmask_b32_e64 v3, 0, 1, vcc_lo
	s_delay_alu instid0(VALU_DEP_1) | instskip(SKIP_1) | instid1(VALU_DEP_1)
	v_lshlrev_b32_e32 v3, 1, v3
	s_waitcnt lgkmcnt(0)
	v_add_lshl_u32 v4, v3, v5, 2
	ds_bpermute_b32 v9, v4, v6
	ds_bpermute_b32 v3, v4, v1
	ds_bpermute_b32 v4, v4, v2
	v_cmpx_lt_u32_e64 v10, v8
	s_cbranch_execz .LBB499_210
; %bb.209:
	s_waitcnt lgkmcnt(2)
	v_and_b32_e32 v6, 1, v9
	s_waitcnt lgkmcnt(0)
	v_cmp_lt_i64_e32 vcc_lo, v[3:4], v[1:2]
	s_delay_alu instid0(VALU_DEP_2) | instskip(SKIP_1) | instid1(VALU_DEP_2)
	v_cmp_eq_u32_e64 s2, 1, v6
	v_and_b32_e32 v6, 1, v7
	v_cndmask_b32_e64 v7, v7, 1, s2
	s_and_b32 vcc_lo, s2, vcc_lo
	s_delay_alu instid0(VALU_DEP_2) | instskip(SKIP_1) | instid1(VALU_DEP_2)
	v_cmp_eq_u32_e64 s2, 1, v6
	v_dual_cndmask_b32 v1, v1, v3 :: v_dual_cndmask_b32 v2, v2, v4
	v_cndmask_b32_e64 v7, v9, v7, s2
	s_delay_alu instid0(VALU_DEP_2) | instskip(NEXT) | instid1(VALU_DEP_3)
	v_cndmask_b32_e64 v1, v3, v1, s2
	v_cndmask_b32_e64 v2, v4, v2, s2
	s_delay_alu instid0(VALU_DEP_3)
	v_and_b32_e32 v6, 0xff, v7
.LBB499_210:
	s_or_b32 exec_lo, exec_lo, s4
	v_cmp_gt_u32_e32 vcc_lo, 28, v5
	v_add_nc_u32_e32 v10, 4, v5
	s_mov_b32 s4, exec_lo
	s_waitcnt lgkmcnt(1)
	v_cndmask_b32_e64 v3, 0, 1, vcc_lo
	s_delay_alu instid0(VALU_DEP_1) | instskip(SKIP_1) | instid1(VALU_DEP_1)
	v_lshlrev_b32_e32 v3, 2, v3
	s_waitcnt lgkmcnt(0)
	v_add_lshl_u32 v4, v3, v5, 2
	;; [unrolled: 35-line block ×4, first 2 shown]
	ds_bpermute_b32 v9, v4, v6
	ds_bpermute_b32 v3, v4, v1
	;; [unrolled: 1-line block ×3, first 2 shown]
	v_cmpx_lt_u32_e64 v10, v8
	s_cbranch_execz .LBB499_216
; %bb.215:
	s_waitcnt lgkmcnt(2)
	v_and_b32_e32 v6, 1, v9
	s_waitcnt lgkmcnt(0)
	v_cmp_lt_i64_e32 vcc_lo, v[3:4], v[1:2]
	s_delay_alu instid0(VALU_DEP_2) | instskip(SKIP_1) | instid1(VALU_DEP_2)
	v_cmp_eq_u32_e64 s2, 1, v6
	v_and_b32_e32 v6, 1, v7
	v_cndmask_b32_e64 v7, v7, 1, s2
	s_and_b32 vcc_lo, s2, vcc_lo
	s_delay_alu instid0(VALU_DEP_2) | instskip(SKIP_1) | instid1(VALU_DEP_2)
	v_cmp_eq_u32_e64 s2, 1, v6
	v_dual_cndmask_b32 v1, v1, v3 :: v_dual_cndmask_b32 v2, v2, v4
	v_cndmask_b32_e64 v7, v9, v7, s2
	s_delay_alu instid0(VALU_DEP_2) | instskip(NEXT) | instid1(VALU_DEP_3)
	v_cndmask_b32_e64 v1, v3, v1, s2
	v_cndmask_b32_e64 v2, v4, v2, s2
	s_delay_alu instid0(VALU_DEP_3)
	v_and_b32_e32 v6, 0xff, v7
.LBB499_216:
	s_or_b32 exec_lo, exec_lo, s4
	s_delay_alu instid0(SALU_CYCLE_1)
	s_mov_b32 s2, exec_lo
	v_cmpx_eq_u32_e32 0, v5
	s_cbranch_execz .LBB499_218
; %bb.217:
	s_waitcnt lgkmcnt(1)
	v_lshrrev_b32_e32 v3, 1, v0
	s_delay_alu instid0(VALU_DEP_1)
	v_and_b32_e32 v3, 0x70, v3
	ds_store_b8 v3, v7 offset:512
	ds_store_b64 v3, v[1:2] offset:520
.LBB499_218:
	s_or_b32 exec_lo, exec_lo, s2
	s_delay_alu instid0(SALU_CYCLE_1)
	s_mov_b32 s4, exec_lo
	s_waitcnt lgkmcnt(0)
	s_barrier
	buffer_gl0_inv
	v_cmpx_gt_u32_e32 8, v0
	s_cbranch_execz .LBB499_226
; %bb.219:
	v_lshlrev_b32_e32 v1, 4, v5
	v_and_b32_e32 v8, 7, v5
	s_add_i32 s3, s3, 31
	s_mov_b32 s5, exec_lo
	s_lshr_b32 s3, s3, 5
	ds_load_u8 v7, v1 offset:512
	ds_load_b64 v[1:2], v1 offset:520
	v_cmp_ne_u32_e32 vcc_lo, 7, v8
	v_add_nc_u32_e32 v10, 1, v8
	v_add_co_ci_u32_e32 v3, vcc_lo, 0, v5, vcc_lo
	s_delay_alu instid0(VALU_DEP_1)
	v_lshlrev_b32_e32 v4, 2, v3
	s_waitcnt lgkmcnt(1)
	v_and_b32_e32 v6, 0xff, v7
	s_waitcnt lgkmcnt(0)
	ds_bpermute_b32 v3, v4, v1
	ds_bpermute_b32 v9, v4, v6
	;; [unrolled: 1-line block ×3, first 2 shown]
	v_cmpx_gt_u32_e64 s3, v10
	s_cbranch_execz .LBB499_221
; %bb.220:
	s_waitcnt lgkmcnt(1)
	v_and_b32_e32 v6, 1, v9
	s_waitcnt lgkmcnt(0)
	v_cmp_lt_i64_e32 vcc_lo, v[3:4], v[1:2]
	s_delay_alu instid0(VALU_DEP_2) | instskip(SKIP_1) | instid1(VALU_DEP_2)
	v_cmp_eq_u32_e64 s2, 1, v6
	v_and_b32_e32 v6, 1, v7
	v_cndmask_b32_e64 v7, v7, 1, s2
	s_and_b32 vcc_lo, s2, vcc_lo
	s_delay_alu instid0(VALU_DEP_2) | instskip(SKIP_1) | instid1(VALU_DEP_2)
	v_cmp_eq_u32_e64 s2, 1, v6
	v_dual_cndmask_b32 v1, v1, v3 :: v_dual_cndmask_b32 v2, v2, v4
	v_cndmask_b32_e64 v7, v9, v7, s2
	s_delay_alu instid0(VALU_DEP_2) | instskip(NEXT) | instid1(VALU_DEP_3)
	v_cndmask_b32_e64 v1, v3, v1, s2
	v_cndmask_b32_e64 v2, v4, v2, s2
	s_delay_alu instid0(VALU_DEP_3)
	v_and_b32_e32 v6, 0xff, v7
.LBB499_221:
	s_or_b32 exec_lo, exec_lo, s5
	v_cmp_gt_u32_e32 vcc_lo, 6, v8
	v_add_nc_u32_e32 v10, 2, v8
	s_mov_b32 s5, exec_lo
	s_waitcnt lgkmcnt(2)
	v_cndmask_b32_e64 v3, 0, 1, vcc_lo
	s_delay_alu instid0(VALU_DEP_1) | instskip(SKIP_1) | instid1(VALU_DEP_1)
	v_lshlrev_b32_e32 v3, 1, v3
	s_waitcnt lgkmcnt(0)
	v_add_lshl_u32 v4, v3, v5, 2
	ds_bpermute_b32 v9, v4, v6
	ds_bpermute_b32 v3, v4, v1
	ds_bpermute_b32 v4, v4, v2
	v_cmpx_gt_u32_e64 s3, v10
	s_cbranch_execz .LBB499_223
; %bb.222:
	s_waitcnt lgkmcnt(2)
	v_and_b32_e32 v6, 1, v9
	s_waitcnt lgkmcnt(0)
	v_cmp_lt_i64_e32 vcc_lo, v[3:4], v[1:2]
	s_delay_alu instid0(VALU_DEP_2) | instskip(SKIP_1) | instid1(VALU_DEP_2)
	v_cmp_eq_u32_e64 s2, 1, v6
	v_and_b32_e32 v6, 1, v7
	v_cndmask_b32_e64 v7, v7, 1, s2
	s_and_b32 vcc_lo, s2, vcc_lo
	s_delay_alu instid0(VALU_DEP_2) | instskip(SKIP_1) | instid1(VALU_DEP_2)
	v_cmp_eq_u32_e64 s2, 1, v6
	v_dual_cndmask_b32 v1, v1, v3 :: v_dual_cndmask_b32 v2, v2, v4
	v_cndmask_b32_e64 v7, v9, v7, s2
	s_delay_alu instid0(VALU_DEP_2) | instskip(NEXT) | instid1(VALU_DEP_3)
	v_cndmask_b32_e64 v1, v3, v1, s2
	v_cndmask_b32_e64 v2, v4, v2, s2
	s_delay_alu instid0(VALU_DEP_3)
	v_and_b32_e32 v6, 0xff, v7
.LBB499_223:
	s_or_b32 exec_lo, exec_lo, s5
	v_cmp_gt_u32_e32 vcc_lo, 4, v8
	v_add_nc_u32_e32 v8, 4, v8
	s_waitcnt lgkmcnt(1)
	v_cndmask_b32_e64 v3, 0, 1, vcc_lo
	s_delay_alu instid0(VALU_DEP_2) | instskip(NEXT) | instid1(VALU_DEP_2)
	v_cmp_gt_u32_e32 vcc_lo, s3, v8
	v_lshlrev_b32_e32 v3, 2, v3
	s_waitcnt lgkmcnt(0)
	s_delay_alu instid0(VALU_DEP_1)
	v_add_lshl_u32 v4, v3, v5, 2
	ds_bpermute_b32 v5, v4, v6
	ds_bpermute_b32 v3, v4, v1
	;; [unrolled: 1-line block ×3, first 2 shown]
	s_and_saveexec_b32 s3, vcc_lo
	s_cbranch_execz .LBB499_225
; %bb.224:
	s_waitcnt lgkmcnt(2)
	v_and_b32_e32 v6, 1, v5
	s_waitcnt lgkmcnt(0)
	v_cmp_lt_i64_e32 vcc_lo, v[3:4], v[1:2]
	s_delay_alu instid0(VALU_DEP_2) | instskip(SKIP_1) | instid1(VALU_DEP_2)
	v_cmp_eq_u32_e64 s2, 1, v6
	v_and_b32_e32 v6, 1, v7
	v_cndmask_b32_e64 v7, v7, 1, s2
	s_and_b32 vcc_lo, s2, vcc_lo
	s_delay_alu instid0(VALU_DEP_2) | instskip(SKIP_1) | instid1(VALU_DEP_2)
	v_cmp_eq_u32_e64 s2, 1, v6
	v_dual_cndmask_b32 v1, v1, v3 :: v_dual_cndmask_b32 v2, v2, v4
	v_cndmask_b32_e64 v5, v5, v7, s2
	s_delay_alu instid0(VALU_DEP_2) | instskip(NEXT) | instid1(VALU_DEP_3)
	v_cndmask_b32_e64 v1, v3, v1, s2
	v_cndmask_b32_e64 v2, v4, v2, s2
	s_delay_alu instid0(VALU_DEP_3)
	v_and_b32_e32 v6, 0xff, v5
.LBB499_225:
	s_or_b32 exec_lo, exec_lo, s3
.LBB499_226:
	s_delay_alu instid0(SALU_CYCLE_1)
	s_or_b32 exec_lo, exec_lo, s4
.LBB499_227:
	s_delay_alu instid0(SALU_CYCLE_1)
	s_mov_b32 s4, exec_lo
                                        ; implicit-def: $vgpr3_vgpr4
                                        ; implicit-def: $vgpr5
	v_cmpx_eq_u32_e32 0, v0
	s_cbranch_execz .LBB499_231
; %bb.228:
	s_waitcnt lgkmcnt(0)
	v_dual_mov_b32 v3, s20 :: v_dual_mov_b32 v4, s21
	v_mov_b32_e32 v5, s24
	s_cmp_eq_u64 s[14:15], 0
	s_cbranch_scc1 .LBB499_230
; %bb.229:
	v_and_b32_e32 v0, 1, v6
	v_cmp_gt_i64_e32 vcc_lo, s[20:21], v[1:2]
	s_bitcmp1_b32 s24, 0
	s_cselect_b32 s3, -1, 0
	s_delay_alu instid0(VALU_DEP_2) | instskip(NEXT) | instid1(VALU_DEP_1)
	v_cmp_eq_u32_e64 s2, 1, v0
	s_and_b32 vcc_lo, s2, vcc_lo
	v_cndmask_b32_e64 v0, s24, 1, s2
	v_cndmask_b32_e32 v3, s20, v1, vcc_lo
	v_cndmask_b32_e32 v4, s21, v2, vcc_lo
	s_delay_alu instid0(VALU_DEP_3) | instskip(NEXT) | instid1(VALU_DEP_3)
	v_cndmask_b32_e64 v5, v6, v0, s3
	v_cndmask_b32_e64 v3, v1, v3, s3
	s_delay_alu instid0(VALU_DEP_3)
	v_cndmask_b32_e64 v4, v2, v4, s3
.LBB499_230:
	s_or_b32 s26, s26, exec_lo
.LBB499_231:
	s_or_b32 exec_lo, exec_lo, s4
	s_and_saveexec_b32 s2, s26
	s_cbranch_execnz .LBB499_201
	s_branch .LBB499_202
.LBB499_232:
	v_lshlrev_b32_e32 v3, 2, v25
	s_clause 0x1
	global_load_b32 v18, v3, s[8:9]
	global_load_b32 v26, v3, s[22:23]
	v_add_co_u32 v3, s8, s26, v25
	s_delay_alu instid0(VALU_DEP_1) | instskip(SKIP_2) | instid1(VALU_DEP_1)
	v_add_co_ci_u32_e64 v4, null, s28, 0, s8
	s_waitcnt vmcnt(0)
	v_cmp_ne_u32_e64 s8, v18, v26
	v_cndmask_b32_e64 v18, 0, 1, s8
	s_or_b32 exec_lo, exec_lo, s30
	s_and_saveexec_b32 s9, s7
	s_cbranch_execz .LBB499_57
.LBB499_233:
	v_and_b32_e32 v25, 1, v21
	v_cmp_lt_i64_e64 s7, v[9:10], v[1:2]
	s_delay_alu instid0(VALU_DEP_2) | instskip(SKIP_1) | instid1(VALU_DEP_2)
	v_cmp_eq_u32_e64 s8, 1, v25
	v_and_b32_e32 v25, 1, v17
	s_and_b32 s7, s8, s7
	v_cndmask_b32_e64 v17, v17, 1, s8
	v_cndmask_b32_e64 v1, v1, v9, s7
	;; [unrolled: 1-line block ×3, first 2 shown]
	v_cmp_eq_u32_e64 s7, 1, v25
	s_delay_alu instid0(VALU_DEP_1) | instskip(NEXT) | instid1(VALU_DEP_3)
	v_cndmask_b32_e64 v17, v21, v17, s7
	v_cndmask_b32_e64 v2, v10, v2, s7
	;; [unrolled: 1-line block ×3, first 2 shown]
	s_or_b32 exec_lo, exec_lo, s9
	s_and_saveexec_b32 s8, s6
	s_cbranch_execz .LBB499_58
.LBB499_234:
	v_and_b32_e32 v9, 1, v24
	v_cmp_lt_i64_e64 s6, v[15:16], v[1:2]
	s_delay_alu instid0(VALU_DEP_2) | instskip(SKIP_1) | instid1(VALU_DEP_2)
	v_cmp_eq_u32_e64 s7, 1, v9
	v_and_b32_e32 v9, 1, v17
	s_and_b32 s6, s7, s6
	v_cndmask_b32_e64 v10, v17, 1, s7
	v_cndmask_b32_e64 v1, v1, v15, s6
	;; [unrolled: 1-line block ×3, first 2 shown]
	v_cmp_eq_u32_e64 s6, 1, v9
	s_delay_alu instid0(VALU_DEP_1) | instskip(NEXT) | instid1(VALU_DEP_3)
	v_cndmask_b32_e64 v17, v24, v10, s6
	v_cndmask_b32_e64 v2, v16, v2, s6
	;; [unrolled: 1-line block ×3, first 2 shown]
	s_or_b32 exec_lo, exec_lo, s8
	s_and_saveexec_b32 s7, s5
	s_cbranch_execz .LBB499_59
.LBB499_235:
	v_and_b32_e32 v9, 1, v20
	v_cmp_lt_i64_e64 s5, v[7:8], v[1:2]
	s_delay_alu instid0(VALU_DEP_2) | instskip(SKIP_1) | instid1(VALU_DEP_2)
	v_cmp_eq_u32_e64 s6, 1, v9
	v_and_b32_e32 v9, 1, v17
	s_and_b32 s5, s6, s5
	v_cndmask_b32_e64 v10, v17, 1, s6
	v_cndmask_b32_e64 v1, v1, v7, s5
	;; [unrolled: 1-line block ×3, first 2 shown]
	v_cmp_eq_u32_e64 s5, 1, v9
	s_delay_alu instid0(VALU_DEP_1) | instskip(NEXT) | instid1(VALU_DEP_3)
	v_cndmask_b32_e64 v17, v20, v10, s5
	v_cndmask_b32_e64 v2, v8, v2, s5
	;; [unrolled: 1-line block ×3, first 2 shown]
	s_or_b32 exec_lo, exec_lo, s7
	s_and_saveexec_b32 s6, s4
	s_cbranch_execz .LBB499_60
.LBB499_236:
	v_and_b32_e32 v7, 1, v23
	v_cmp_lt_i64_e64 s4, v[13:14], v[1:2]
	s_delay_alu instid0(VALU_DEP_2) | instskip(SKIP_1) | instid1(VALU_DEP_2)
	v_cmp_eq_u32_e64 s5, 1, v7
	v_and_b32_e32 v7, 1, v17
	s_and_b32 s4, s5, s4
	v_cndmask_b32_e64 v8, v17, 1, s5
	v_cndmask_b32_e64 v1, v1, v13, s4
	;; [unrolled: 1-line block ×3, first 2 shown]
	v_cmp_eq_u32_e64 s4, 1, v7
	s_delay_alu instid0(VALU_DEP_1) | instskip(NEXT) | instid1(VALU_DEP_3)
	v_cndmask_b32_e64 v17, v23, v8, s4
	v_cndmask_b32_e64 v2, v14, v2, s4
	v_cndmask_b32_e64 v1, v13, v1, s4
	s_or_b32 exec_lo, exec_lo, s6
	s_and_saveexec_b32 s5, s3
	s_cbranch_execz .LBB499_61
.LBB499_237:
	v_and_b32_e32 v7, 1, v19
	v_cmp_lt_i64_e64 s3, v[5:6], v[1:2]
	s_delay_alu instid0(VALU_DEP_2) | instskip(SKIP_1) | instid1(VALU_DEP_2)
	v_cmp_eq_u32_e64 s4, 1, v7
	v_and_b32_e32 v7, 1, v17
	s_and_b32 s3, s4, s3
	v_cndmask_b32_e64 v8, v17, 1, s4
	v_cndmask_b32_e64 v1, v1, v5, s3
	;; [unrolled: 1-line block ×3, first 2 shown]
	v_cmp_eq_u32_e64 s3, 1, v7
	s_delay_alu instid0(VALU_DEP_1) | instskip(NEXT) | instid1(VALU_DEP_3)
	v_cndmask_b32_e64 v17, v19, v8, s3
	v_cndmask_b32_e64 v2, v6, v2, s3
	;; [unrolled: 1-line block ×3, first 2 shown]
	s_or_b32 exec_lo, exec_lo, s5
	s_and_saveexec_b32 s4, s2
	s_cbranch_execz .LBB499_62
.LBB499_238:
	v_and_b32_e32 v5, 1, v22
	v_cmp_lt_i64_e64 s2, v[11:12], v[1:2]
	s_delay_alu instid0(VALU_DEP_2) | instskip(SKIP_1) | instid1(VALU_DEP_2)
	v_cmp_eq_u32_e64 s3, 1, v5
	v_and_b32_e32 v5, 1, v17
	s_and_b32 s2, s3, s2
	v_cndmask_b32_e64 v6, v17, 1, s3
	v_cndmask_b32_e64 v1, v1, v11, s2
	;; [unrolled: 1-line block ×3, first 2 shown]
	v_cmp_eq_u32_e64 s2, 1, v5
	s_delay_alu instid0(VALU_DEP_1) | instskip(NEXT) | instid1(VALU_DEP_3)
	v_cndmask_b32_e64 v17, v22, v6, s2
	v_cndmask_b32_e64 v2, v12, v2, s2
	;; [unrolled: 1-line block ×3, first 2 shown]
	s_or_b32 exec_lo, exec_lo, s4
	s_and_saveexec_b32 s3, vcc_lo
	s_cbranch_execnz .LBB499_63
	s_branch .LBB499_64
.LBB499_239:
	v_lshlrev_b32_e32 v3, 2, v0
	s_clause 0x1
	global_load_b32 v10, v3, s[6:7] offset:3072
	global_load_b32 v14, v3, s[8:9] offset:3072
	v_add_co_u32 v3, s4, s5, v13
	s_delay_alu instid0(VALU_DEP_1) | instskip(SKIP_2) | instid1(VALU_DEP_1)
	v_add_co_ci_u32_e64 v4, null, s23, 0, s4
	s_waitcnt vmcnt(0)
	v_cmp_ne_u32_e64 s4, v10, v14
	v_cndmask_b32_e64 v10, 0, 1, s4
	s_or_b32 exec_lo, exec_lo, s27
	s_and_saveexec_b32 s5, s3
	s_cbranch_execz .LBB499_100
.LBB499_240:
	v_and_b32_e32 v13, 1, v11
	v_cmp_lt_i64_e64 s3, v[5:6], v[1:2]
	s_delay_alu instid0(VALU_DEP_2) | instskip(SKIP_1) | instid1(VALU_DEP_2)
	v_cmp_eq_u32_e64 s4, 1, v13
	v_and_b32_e32 v13, 1, v9
	s_and_b32 s3, s4, s3
	v_cndmask_b32_e64 v9, v9, 1, s4
	v_cndmask_b32_e64 v1, v1, v5, s3
	;; [unrolled: 1-line block ×3, first 2 shown]
	v_cmp_eq_u32_e64 s3, 1, v13
	s_delay_alu instid0(VALU_DEP_1) | instskip(NEXT) | instid1(VALU_DEP_3)
	v_cndmask_b32_e64 v9, v11, v9, s3
	v_cndmask_b32_e64 v2, v6, v2, s3
	;; [unrolled: 1-line block ×3, first 2 shown]
	s_or_b32 exec_lo, exec_lo, s5
	s_and_saveexec_b32 s4, s2
	s_cbranch_execz .LBB499_101
.LBB499_241:
	v_and_b32_e32 v5, 1, v12
	v_cmp_lt_i64_e64 s2, v[7:8], v[1:2]
	s_delay_alu instid0(VALU_DEP_2) | instskip(SKIP_1) | instid1(VALU_DEP_2)
	v_cmp_eq_u32_e64 s3, 1, v5
	v_and_b32_e32 v5, 1, v9
	s_and_b32 s2, s3, s2
	v_cndmask_b32_e64 v6, v9, 1, s3
	v_cndmask_b32_e64 v1, v1, v7, s2
	;; [unrolled: 1-line block ×3, first 2 shown]
	v_cmp_eq_u32_e64 s2, 1, v5
	s_delay_alu instid0(VALU_DEP_1) | instskip(NEXT) | instid1(VALU_DEP_3)
	v_cndmask_b32_e64 v9, v12, v6, s2
	v_cndmask_b32_e64 v2, v8, v2, s2
	;; [unrolled: 1-line block ×3, first 2 shown]
	s_or_b32 exec_lo, exec_lo, s4
	s_and_saveexec_b32 s3, vcc_lo
	s_cbranch_execnz .LBB499_102
	s_branch .LBB499_103
	.section	.rodata,"a",@progbits
	.p2align	6, 0x0
	.amdhsa_kernel _ZN7rocprim17ROCPRIM_400000_NS6detail17trampoline_kernelINS0_14default_configENS1_22reduce_config_selectorIN6thrust23THRUST_200600_302600_NS5tupleIblNS6_9null_typeES8_S8_S8_S8_S8_S8_S8_EEEEZNS1_11reduce_implILb1ES3_NS6_12zip_iteratorINS7_INS6_11hip_rocprim26transform_input_iterator_tIbNSD_35transform_pair_of_input_iterators_tIbNS6_6detail15normal_iteratorINS6_10device_ptrIKjEEEESL_NS6_8equal_toIjEEEENSG_9not_fun_tINSD_8identityEEEEENSD_19counting_iterator_tIlEES8_S8_S8_S8_S8_S8_S8_S8_EEEEPS9_S9_NSD_9__find_if7functorIS9_EEEE10hipError_tPvRmT1_T2_T3_mT4_P12ihipStream_tbEUlT_E1_NS1_11comp_targetILNS1_3genE9ELNS1_11target_archE1100ELNS1_3gpuE3ELNS1_3repE0EEENS1_30default_config_static_selectorELNS0_4arch9wavefront6targetE0EEEvS14_
		.amdhsa_group_segment_fixed_size 640
		.amdhsa_private_segment_fixed_size 0
		.amdhsa_kernarg_size 88
		.amdhsa_user_sgpr_count 15
		.amdhsa_user_sgpr_dispatch_ptr 0
		.amdhsa_user_sgpr_queue_ptr 0
		.amdhsa_user_sgpr_kernarg_segment_ptr 1
		.amdhsa_user_sgpr_dispatch_id 0
		.amdhsa_user_sgpr_private_segment_size 0
		.amdhsa_wavefront_size32 1
		.amdhsa_uses_dynamic_stack 0
		.amdhsa_enable_private_segment 0
		.amdhsa_system_sgpr_workgroup_id_x 1
		.amdhsa_system_sgpr_workgroup_id_y 0
		.amdhsa_system_sgpr_workgroup_id_z 0
		.amdhsa_system_sgpr_workgroup_info 0
		.amdhsa_system_vgpr_workitem_id 0
		.amdhsa_next_free_vgpr 27
		.amdhsa_next_free_sgpr 32
		.amdhsa_reserve_vcc 1
		.amdhsa_float_round_mode_32 0
		.amdhsa_float_round_mode_16_64 0
		.amdhsa_float_denorm_mode_32 3
		.amdhsa_float_denorm_mode_16_64 3
		.amdhsa_dx10_clamp 1
		.amdhsa_ieee_mode 1
		.amdhsa_fp16_overflow 0
		.amdhsa_workgroup_processor_mode 1
		.amdhsa_memory_ordered 1
		.amdhsa_forward_progress 0
		.amdhsa_shared_vgpr_count 0
		.amdhsa_exception_fp_ieee_invalid_op 0
		.amdhsa_exception_fp_denorm_src 0
		.amdhsa_exception_fp_ieee_div_zero 0
		.amdhsa_exception_fp_ieee_overflow 0
		.amdhsa_exception_fp_ieee_underflow 0
		.amdhsa_exception_fp_ieee_inexact 0
		.amdhsa_exception_int_div_zero 0
	.end_amdhsa_kernel
	.section	.text._ZN7rocprim17ROCPRIM_400000_NS6detail17trampoline_kernelINS0_14default_configENS1_22reduce_config_selectorIN6thrust23THRUST_200600_302600_NS5tupleIblNS6_9null_typeES8_S8_S8_S8_S8_S8_S8_EEEEZNS1_11reduce_implILb1ES3_NS6_12zip_iteratorINS7_INS6_11hip_rocprim26transform_input_iterator_tIbNSD_35transform_pair_of_input_iterators_tIbNS6_6detail15normal_iteratorINS6_10device_ptrIKjEEEESL_NS6_8equal_toIjEEEENSG_9not_fun_tINSD_8identityEEEEENSD_19counting_iterator_tIlEES8_S8_S8_S8_S8_S8_S8_S8_EEEEPS9_S9_NSD_9__find_if7functorIS9_EEEE10hipError_tPvRmT1_T2_T3_mT4_P12ihipStream_tbEUlT_E1_NS1_11comp_targetILNS1_3genE9ELNS1_11target_archE1100ELNS1_3gpuE3ELNS1_3repE0EEENS1_30default_config_static_selectorELNS0_4arch9wavefront6targetE0EEEvS14_,"axG",@progbits,_ZN7rocprim17ROCPRIM_400000_NS6detail17trampoline_kernelINS0_14default_configENS1_22reduce_config_selectorIN6thrust23THRUST_200600_302600_NS5tupleIblNS6_9null_typeES8_S8_S8_S8_S8_S8_S8_EEEEZNS1_11reduce_implILb1ES3_NS6_12zip_iteratorINS7_INS6_11hip_rocprim26transform_input_iterator_tIbNSD_35transform_pair_of_input_iterators_tIbNS6_6detail15normal_iteratorINS6_10device_ptrIKjEEEESL_NS6_8equal_toIjEEEENSG_9not_fun_tINSD_8identityEEEEENSD_19counting_iterator_tIlEES8_S8_S8_S8_S8_S8_S8_S8_EEEEPS9_S9_NSD_9__find_if7functorIS9_EEEE10hipError_tPvRmT1_T2_T3_mT4_P12ihipStream_tbEUlT_E1_NS1_11comp_targetILNS1_3genE9ELNS1_11target_archE1100ELNS1_3gpuE3ELNS1_3repE0EEENS1_30default_config_static_selectorELNS0_4arch9wavefront6targetE0EEEvS14_,comdat
.Lfunc_end499:
	.size	_ZN7rocprim17ROCPRIM_400000_NS6detail17trampoline_kernelINS0_14default_configENS1_22reduce_config_selectorIN6thrust23THRUST_200600_302600_NS5tupleIblNS6_9null_typeES8_S8_S8_S8_S8_S8_S8_EEEEZNS1_11reduce_implILb1ES3_NS6_12zip_iteratorINS7_INS6_11hip_rocprim26transform_input_iterator_tIbNSD_35transform_pair_of_input_iterators_tIbNS6_6detail15normal_iteratorINS6_10device_ptrIKjEEEESL_NS6_8equal_toIjEEEENSG_9not_fun_tINSD_8identityEEEEENSD_19counting_iterator_tIlEES8_S8_S8_S8_S8_S8_S8_S8_EEEEPS9_S9_NSD_9__find_if7functorIS9_EEEE10hipError_tPvRmT1_T2_T3_mT4_P12ihipStream_tbEUlT_E1_NS1_11comp_targetILNS1_3genE9ELNS1_11target_archE1100ELNS1_3gpuE3ELNS1_3repE0EEENS1_30default_config_static_selectorELNS0_4arch9wavefront6targetE0EEEvS14_, .Lfunc_end499-_ZN7rocprim17ROCPRIM_400000_NS6detail17trampoline_kernelINS0_14default_configENS1_22reduce_config_selectorIN6thrust23THRUST_200600_302600_NS5tupleIblNS6_9null_typeES8_S8_S8_S8_S8_S8_S8_EEEEZNS1_11reduce_implILb1ES3_NS6_12zip_iteratorINS7_INS6_11hip_rocprim26transform_input_iterator_tIbNSD_35transform_pair_of_input_iterators_tIbNS6_6detail15normal_iteratorINS6_10device_ptrIKjEEEESL_NS6_8equal_toIjEEEENSG_9not_fun_tINSD_8identityEEEEENSD_19counting_iterator_tIlEES8_S8_S8_S8_S8_S8_S8_S8_EEEEPS9_S9_NSD_9__find_if7functorIS9_EEEE10hipError_tPvRmT1_T2_T3_mT4_P12ihipStream_tbEUlT_E1_NS1_11comp_targetILNS1_3genE9ELNS1_11target_archE1100ELNS1_3gpuE3ELNS1_3repE0EEENS1_30default_config_static_selectorELNS0_4arch9wavefront6targetE0EEEvS14_
                                        ; -- End function
	.section	.AMDGPU.csdata,"",@progbits
; Kernel info:
; codeLenInByte = 15968
; NumSgprs: 34
; NumVgprs: 27
; ScratchSize: 0
; MemoryBound: 0
; FloatMode: 240
; IeeeMode: 1
; LDSByteSize: 640 bytes/workgroup (compile time only)
; SGPRBlocks: 4
; VGPRBlocks: 3
; NumSGPRsForWavesPerEU: 34
; NumVGPRsForWavesPerEU: 27
; Occupancy: 16
; WaveLimiterHint : 0
; COMPUTE_PGM_RSRC2:SCRATCH_EN: 0
; COMPUTE_PGM_RSRC2:USER_SGPR: 15
; COMPUTE_PGM_RSRC2:TRAP_HANDLER: 0
; COMPUTE_PGM_RSRC2:TGID_X_EN: 1
; COMPUTE_PGM_RSRC2:TGID_Y_EN: 0
; COMPUTE_PGM_RSRC2:TGID_Z_EN: 0
; COMPUTE_PGM_RSRC2:TIDIG_COMP_CNT: 0
	.section	.text._ZN7rocprim17ROCPRIM_400000_NS6detail17trampoline_kernelINS0_14default_configENS1_22reduce_config_selectorIN6thrust23THRUST_200600_302600_NS5tupleIblNS6_9null_typeES8_S8_S8_S8_S8_S8_S8_EEEEZNS1_11reduce_implILb1ES3_NS6_12zip_iteratorINS7_INS6_11hip_rocprim26transform_input_iterator_tIbNSD_35transform_pair_of_input_iterators_tIbNS6_6detail15normal_iteratorINS6_10device_ptrIKjEEEESL_NS6_8equal_toIjEEEENSG_9not_fun_tINSD_8identityEEEEENSD_19counting_iterator_tIlEES8_S8_S8_S8_S8_S8_S8_S8_EEEEPS9_S9_NSD_9__find_if7functorIS9_EEEE10hipError_tPvRmT1_T2_T3_mT4_P12ihipStream_tbEUlT_E1_NS1_11comp_targetILNS1_3genE8ELNS1_11target_archE1030ELNS1_3gpuE2ELNS1_3repE0EEENS1_30default_config_static_selectorELNS0_4arch9wavefront6targetE0EEEvS14_,"axG",@progbits,_ZN7rocprim17ROCPRIM_400000_NS6detail17trampoline_kernelINS0_14default_configENS1_22reduce_config_selectorIN6thrust23THRUST_200600_302600_NS5tupleIblNS6_9null_typeES8_S8_S8_S8_S8_S8_S8_EEEEZNS1_11reduce_implILb1ES3_NS6_12zip_iteratorINS7_INS6_11hip_rocprim26transform_input_iterator_tIbNSD_35transform_pair_of_input_iterators_tIbNS6_6detail15normal_iteratorINS6_10device_ptrIKjEEEESL_NS6_8equal_toIjEEEENSG_9not_fun_tINSD_8identityEEEEENSD_19counting_iterator_tIlEES8_S8_S8_S8_S8_S8_S8_S8_EEEEPS9_S9_NSD_9__find_if7functorIS9_EEEE10hipError_tPvRmT1_T2_T3_mT4_P12ihipStream_tbEUlT_E1_NS1_11comp_targetILNS1_3genE8ELNS1_11target_archE1030ELNS1_3gpuE2ELNS1_3repE0EEENS1_30default_config_static_selectorELNS0_4arch9wavefront6targetE0EEEvS14_,comdat
	.protected	_ZN7rocprim17ROCPRIM_400000_NS6detail17trampoline_kernelINS0_14default_configENS1_22reduce_config_selectorIN6thrust23THRUST_200600_302600_NS5tupleIblNS6_9null_typeES8_S8_S8_S8_S8_S8_S8_EEEEZNS1_11reduce_implILb1ES3_NS6_12zip_iteratorINS7_INS6_11hip_rocprim26transform_input_iterator_tIbNSD_35transform_pair_of_input_iterators_tIbNS6_6detail15normal_iteratorINS6_10device_ptrIKjEEEESL_NS6_8equal_toIjEEEENSG_9not_fun_tINSD_8identityEEEEENSD_19counting_iterator_tIlEES8_S8_S8_S8_S8_S8_S8_S8_EEEEPS9_S9_NSD_9__find_if7functorIS9_EEEE10hipError_tPvRmT1_T2_T3_mT4_P12ihipStream_tbEUlT_E1_NS1_11comp_targetILNS1_3genE8ELNS1_11target_archE1030ELNS1_3gpuE2ELNS1_3repE0EEENS1_30default_config_static_selectorELNS0_4arch9wavefront6targetE0EEEvS14_ ; -- Begin function _ZN7rocprim17ROCPRIM_400000_NS6detail17trampoline_kernelINS0_14default_configENS1_22reduce_config_selectorIN6thrust23THRUST_200600_302600_NS5tupleIblNS6_9null_typeES8_S8_S8_S8_S8_S8_S8_EEEEZNS1_11reduce_implILb1ES3_NS6_12zip_iteratorINS7_INS6_11hip_rocprim26transform_input_iterator_tIbNSD_35transform_pair_of_input_iterators_tIbNS6_6detail15normal_iteratorINS6_10device_ptrIKjEEEESL_NS6_8equal_toIjEEEENSG_9not_fun_tINSD_8identityEEEEENSD_19counting_iterator_tIlEES8_S8_S8_S8_S8_S8_S8_S8_EEEEPS9_S9_NSD_9__find_if7functorIS9_EEEE10hipError_tPvRmT1_T2_T3_mT4_P12ihipStream_tbEUlT_E1_NS1_11comp_targetILNS1_3genE8ELNS1_11target_archE1030ELNS1_3gpuE2ELNS1_3repE0EEENS1_30default_config_static_selectorELNS0_4arch9wavefront6targetE0EEEvS14_
	.globl	_ZN7rocprim17ROCPRIM_400000_NS6detail17trampoline_kernelINS0_14default_configENS1_22reduce_config_selectorIN6thrust23THRUST_200600_302600_NS5tupleIblNS6_9null_typeES8_S8_S8_S8_S8_S8_S8_EEEEZNS1_11reduce_implILb1ES3_NS6_12zip_iteratorINS7_INS6_11hip_rocprim26transform_input_iterator_tIbNSD_35transform_pair_of_input_iterators_tIbNS6_6detail15normal_iteratorINS6_10device_ptrIKjEEEESL_NS6_8equal_toIjEEEENSG_9not_fun_tINSD_8identityEEEEENSD_19counting_iterator_tIlEES8_S8_S8_S8_S8_S8_S8_S8_EEEEPS9_S9_NSD_9__find_if7functorIS9_EEEE10hipError_tPvRmT1_T2_T3_mT4_P12ihipStream_tbEUlT_E1_NS1_11comp_targetILNS1_3genE8ELNS1_11target_archE1030ELNS1_3gpuE2ELNS1_3repE0EEENS1_30default_config_static_selectorELNS0_4arch9wavefront6targetE0EEEvS14_
	.p2align	8
	.type	_ZN7rocprim17ROCPRIM_400000_NS6detail17trampoline_kernelINS0_14default_configENS1_22reduce_config_selectorIN6thrust23THRUST_200600_302600_NS5tupleIblNS6_9null_typeES8_S8_S8_S8_S8_S8_S8_EEEEZNS1_11reduce_implILb1ES3_NS6_12zip_iteratorINS7_INS6_11hip_rocprim26transform_input_iterator_tIbNSD_35transform_pair_of_input_iterators_tIbNS6_6detail15normal_iteratorINS6_10device_ptrIKjEEEESL_NS6_8equal_toIjEEEENSG_9not_fun_tINSD_8identityEEEEENSD_19counting_iterator_tIlEES8_S8_S8_S8_S8_S8_S8_S8_EEEEPS9_S9_NSD_9__find_if7functorIS9_EEEE10hipError_tPvRmT1_T2_T3_mT4_P12ihipStream_tbEUlT_E1_NS1_11comp_targetILNS1_3genE8ELNS1_11target_archE1030ELNS1_3gpuE2ELNS1_3repE0EEENS1_30default_config_static_selectorELNS0_4arch9wavefront6targetE0EEEvS14_,@function
_ZN7rocprim17ROCPRIM_400000_NS6detail17trampoline_kernelINS0_14default_configENS1_22reduce_config_selectorIN6thrust23THRUST_200600_302600_NS5tupleIblNS6_9null_typeES8_S8_S8_S8_S8_S8_S8_EEEEZNS1_11reduce_implILb1ES3_NS6_12zip_iteratorINS7_INS6_11hip_rocprim26transform_input_iterator_tIbNSD_35transform_pair_of_input_iterators_tIbNS6_6detail15normal_iteratorINS6_10device_ptrIKjEEEESL_NS6_8equal_toIjEEEENSG_9not_fun_tINSD_8identityEEEEENSD_19counting_iterator_tIlEES8_S8_S8_S8_S8_S8_S8_S8_EEEEPS9_S9_NSD_9__find_if7functorIS9_EEEE10hipError_tPvRmT1_T2_T3_mT4_P12ihipStream_tbEUlT_E1_NS1_11comp_targetILNS1_3genE8ELNS1_11target_archE1030ELNS1_3gpuE2ELNS1_3repE0EEENS1_30default_config_static_selectorELNS0_4arch9wavefront6targetE0EEEvS14_: ; @_ZN7rocprim17ROCPRIM_400000_NS6detail17trampoline_kernelINS0_14default_configENS1_22reduce_config_selectorIN6thrust23THRUST_200600_302600_NS5tupleIblNS6_9null_typeES8_S8_S8_S8_S8_S8_S8_EEEEZNS1_11reduce_implILb1ES3_NS6_12zip_iteratorINS7_INS6_11hip_rocprim26transform_input_iterator_tIbNSD_35transform_pair_of_input_iterators_tIbNS6_6detail15normal_iteratorINS6_10device_ptrIKjEEEESL_NS6_8equal_toIjEEEENSG_9not_fun_tINSD_8identityEEEEENSD_19counting_iterator_tIlEES8_S8_S8_S8_S8_S8_S8_S8_EEEEPS9_S9_NSD_9__find_if7functorIS9_EEEE10hipError_tPvRmT1_T2_T3_mT4_P12ihipStream_tbEUlT_E1_NS1_11comp_targetILNS1_3genE8ELNS1_11target_archE1030ELNS1_3gpuE2ELNS1_3repE0EEENS1_30default_config_static_selectorELNS0_4arch9wavefront6targetE0EEEvS14_
; %bb.0:
	.section	.rodata,"a",@progbits
	.p2align	6, 0x0
	.amdhsa_kernel _ZN7rocprim17ROCPRIM_400000_NS6detail17trampoline_kernelINS0_14default_configENS1_22reduce_config_selectorIN6thrust23THRUST_200600_302600_NS5tupleIblNS6_9null_typeES8_S8_S8_S8_S8_S8_S8_EEEEZNS1_11reduce_implILb1ES3_NS6_12zip_iteratorINS7_INS6_11hip_rocprim26transform_input_iterator_tIbNSD_35transform_pair_of_input_iterators_tIbNS6_6detail15normal_iteratorINS6_10device_ptrIKjEEEESL_NS6_8equal_toIjEEEENSG_9not_fun_tINSD_8identityEEEEENSD_19counting_iterator_tIlEES8_S8_S8_S8_S8_S8_S8_S8_EEEEPS9_S9_NSD_9__find_if7functorIS9_EEEE10hipError_tPvRmT1_T2_T3_mT4_P12ihipStream_tbEUlT_E1_NS1_11comp_targetILNS1_3genE8ELNS1_11target_archE1030ELNS1_3gpuE2ELNS1_3repE0EEENS1_30default_config_static_selectorELNS0_4arch9wavefront6targetE0EEEvS14_
		.amdhsa_group_segment_fixed_size 0
		.amdhsa_private_segment_fixed_size 0
		.amdhsa_kernarg_size 88
		.amdhsa_user_sgpr_count 15
		.amdhsa_user_sgpr_dispatch_ptr 0
		.amdhsa_user_sgpr_queue_ptr 0
		.amdhsa_user_sgpr_kernarg_segment_ptr 1
		.amdhsa_user_sgpr_dispatch_id 0
		.amdhsa_user_sgpr_private_segment_size 0
		.amdhsa_wavefront_size32 1
		.amdhsa_uses_dynamic_stack 0
		.amdhsa_enable_private_segment 0
		.amdhsa_system_sgpr_workgroup_id_x 1
		.amdhsa_system_sgpr_workgroup_id_y 0
		.amdhsa_system_sgpr_workgroup_id_z 0
		.amdhsa_system_sgpr_workgroup_info 0
		.amdhsa_system_vgpr_workitem_id 0
		.amdhsa_next_free_vgpr 1
		.amdhsa_next_free_sgpr 1
		.amdhsa_reserve_vcc 0
		.amdhsa_float_round_mode_32 0
		.amdhsa_float_round_mode_16_64 0
		.amdhsa_float_denorm_mode_32 3
		.amdhsa_float_denorm_mode_16_64 3
		.amdhsa_dx10_clamp 1
		.amdhsa_ieee_mode 1
		.amdhsa_fp16_overflow 0
		.amdhsa_workgroup_processor_mode 1
		.amdhsa_memory_ordered 1
		.amdhsa_forward_progress 0
		.amdhsa_shared_vgpr_count 0
		.amdhsa_exception_fp_ieee_invalid_op 0
		.amdhsa_exception_fp_denorm_src 0
		.amdhsa_exception_fp_ieee_div_zero 0
		.amdhsa_exception_fp_ieee_overflow 0
		.amdhsa_exception_fp_ieee_underflow 0
		.amdhsa_exception_fp_ieee_inexact 0
		.amdhsa_exception_int_div_zero 0
	.end_amdhsa_kernel
	.section	.text._ZN7rocprim17ROCPRIM_400000_NS6detail17trampoline_kernelINS0_14default_configENS1_22reduce_config_selectorIN6thrust23THRUST_200600_302600_NS5tupleIblNS6_9null_typeES8_S8_S8_S8_S8_S8_S8_EEEEZNS1_11reduce_implILb1ES3_NS6_12zip_iteratorINS7_INS6_11hip_rocprim26transform_input_iterator_tIbNSD_35transform_pair_of_input_iterators_tIbNS6_6detail15normal_iteratorINS6_10device_ptrIKjEEEESL_NS6_8equal_toIjEEEENSG_9not_fun_tINSD_8identityEEEEENSD_19counting_iterator_tIlEES8_S8_S8_S8_S8_S8_S8_S8_EEEEPS9_S9_NSD_9__find_if7functorIS9_EEEE10hipError_tPvRmT1_T2_T3_mT4_P12ihipStream_tbEUlT_E1_NS1_11comp_targetILNS1_3genE8ELNS1_11target_archE1030ELNS1_3gpuE2ELNS1_3repE0EEENS1_30default_config_static_selectorELNS0_4arch9wavefront6targetE0EEEvS14_,"axG",@progbits,_ZN7rocprim17ROCPRIM_400000_NS6detail17trampoline_kernelINS0_14default_configENS1_22reduce_config_selectorIN6thrust23THRUST_200600_302600_NS5tupleIblNS6_9null_typeES8_S8_S8_S8_S8_S8_S8_EEEEZNS1_11reduce_implILb1ES3_NS6_12zip_iteratorINS7_INS6_11hip_rocprim26transform_input_iterator_tIbNSD_35transform_pair_of_input_iterators_tIbNS6_6detail15normal_iteratorINS6_10device_ptrIKjEEEESL_NS6_8equal_toIjEEEENSG_9not_fun_tINSD_8identityEEEEENSD_19counting_iterator_tIlEES8_S8_S8_S8_S8_S8_S8_S8_EEEEPS9_S9_NSD_9__find_if7functorIS9_EEEE10hipError_tPvRmT1_T2_T3_mT4_P12ihipStream_tbEUlT_E1_NS1_11comp_targetILNS1_3genE8ELNS1_11target_archE1030ELNS1_3gpuE2ELNS1_3repE0EEENS1_30default_config_static_selectorELNS0_4arch9wavefront6targetE0EEEvS14_,comdat
.Lfunc_end500:
	.size	_ZN7rocprim17ROCPRIM_400000_NS6detail17trampoline_kernelINS0_14default_configENS1_22reduce_config_selectorIN6thrust23THRUST_200600_302600_NS5tupleIblNS6_9null_typeES8_S8_S8_S8_S8_S8_S8_EEEEZNS1_11reduce_implILb1ES3_NS6_12zip_iteratorINS7_INS6_11hip_rocprim26transform_input_iterator_tIbNSD_35transform_pair_of_input_iterators_tIbNS6_6detail15normal_iteratorINS6_10device_ptrIKjEEEESL_NS6_8equal_toIjEEEENSG_9not_fun_tINSD_8identityEEEEENSD_19counting_iterator_tIlEES8_S8_S8_S8_S8_S8_S8_S8_EEEEPS9_S9_NSD_9__find_if7functorIS9_EEEE10hipError_tPvRmT1_T2_T3_mT4_P12ihipStream_tbEUlT_E1_NS1_11comp_targetILNS1_3genE8ELNS1_11target_archE1030ELNS1_3gpuE2ELNS1_3repE0EEENS1_30default_config_static_selectorELNS0_4arch9wavefront6targetE0EEEvS14_, .Lfunc_end500-_ZN7rocprim17ROCPRIM_400000_NS6detail17trampoline_kernelINS0_14default_configENS1_22reduce_config_selectorIN6thrust23THRUST_200600_302600_NS5tupleIblNS6_9null_typeES8_S8_S8_S8_S8_S8_S8_EEEEZNS1_11reduce_implILb1ES3_NS6_12zip_iteratorINS7_INS6_11hip_rocprim26transform_input_iterator_tIbNSD_35transform_pair_of_input_iterators_tIbNS6_6detail15normal_iteratorINS6_10device_ptrIKjEEEESL_NS6_8equal_toIjEEEENSG_9not_fun_tINSD_8identityEEEEENSD_19counting_iterator_tIlEES8_S8_S8_S8_S8_S8_S8_S8_EEEEPS9_S9_NSD_9__find_if7functorIS9_EEEE10hipError_tPvRmT1_T2_T3_mT4_P12ihipStream_tbEUlT_E1_NS1_11comp_targetILNS1_3genE8ELNS1_11target_archE1030ELNS1_3gpuE2ELNS1_3repE0EEENS1_30default_config_static_selectorELNS0_4arch9wavefront6targetE0EEEvS14_
                                        ; -- End function
	.section	.AMDGPU.csdata,"",@progbits
; Kernel info:
; codeLenInByte = 0
; NumSgprs: 0
; NumVgprs: 0
; ScratchSize: 0
; MemoryBound: 0
; FloatMode: 240
; IeeeMode: 1
; LDSByteSize: 0 bytes/workgroup (compile time only)
; SGPRBlocks: 0
; VGPRBlocks: 0
; NumSGPRsForWavesPerEU: 1
; NumVGPRsForWavesPerEU: 1
; Occupancy: 16
; WaveLimiterHint : 0
; COMPUTE_PGM_RSRC2:SCRATCH_EN: 0
; COMPUTE_PGM_RSRC2:USER_SGPR: 15
; COMPUTE_PGM_RSRC2:TRAP_HANDLER: 0
; COMPUTE_PGM_RSRC2:TGID_X_EN: 1
; COMPUTE_PGM_RSRC2:TGID_Y_EN: 0
; COMPUTE_PGM_RSRC2:TGID_Z_EN: 0
; COMPUTE_PGM_RSRC2:TIDIG_COMP_CNT: 0
	.section	.text._ZN7rocprim17ROCPRIM_400000_NS6detail17trampoline_kernelINS0_14default_configENS1_22reduce_config_selectorIN6thrust23THRUST_200600_302600_NS5tupleIblNS6_9null_typeES8_S8_S8_S8_S8_S8_S8_EEEEZNS1_11reduce_implILb1ES3_NS6_12zip_iteratorINS7_INS6_11hip_rocprim26transform_input_iterator_tIbNSD_35transform_pair_of_input_iterators_tIbNS6_6detail15normal_iteratorINS6_10device_ptrIKtEEEESL_NS6_8equal_toItEEEENSG_9not_fun_tINSD_8identityEEEEENSD_19counting_iterator_tIlEES8_S8_S8_S8_S8_S8_S8_S8_EEEEPS9_S9_NSD_9__find_if7functorIS9_EEEE10hipError_tPvRmT1_T2_T3_mT4_P12ihipStream_tbEUlT_E0_NS1_11comp_targetILNS1_3genE0ELNS1_11target_archE4294967295ELNS1_3gpuE0ELNS1_3repE0EEENS1_30default_config_static_selectorELNS0_4arch9wavefront6targetE0EEEvS14_,"axG",@progbits,_ZN7rocprim17ROCPRIM_400000_NS6detail17trampoline_kernelINS0_14default_configENS1_22reduce_config_selectorIN6thrust23THRUST_200600_302600_NS5tupleIblNS6_9null_typeES8_S8_S8_S8_S8_S8_S8_EEEEZNS1_11reduce_implILb1ES3_NS6_12zip_iteratorINS7_INS6_11hip_rocprim26transform_input_iterator_tIbNSD_35transform_pair_of_input_iterators_tIbNS6_6detail15normal_iteratorINS6_10device_ptrIKtEEEESL_NS6_8equal_toItEEEENSG_9not_fun_tINSD_8identityEEEEENSD_19counting_iterator_tIlEES8_S8_S8_S8_S8_S8_S8_S8_EEEEPS9_S9_NSD_9__find_if7functorIS9_EEEE10hipError_tPvRmT1_T2_T3_mT4_P12ihipStream_tbEUlT_E0_NS1_11comp_targetILNS1_3genE0ELNS1_11target_archE4294967295ELNS1_3gpuE0ELNS1_3repE0EEENS1_30default_config_static_selectorELNS0_4arch9wavefront6targetE0EEEvS14_,comdat
	.protected	_ZN7rocprim17ROCPRIM_400000_NS6detail17trampoline_kernelINS0_14default_configENS1_22reduce_config_selectorIN6thrust23THRUST_200600_302600_NS5tupleIblNS6_9null_typeES8_S8_S8_S8_S8_S8_S8_EEEEZNS1_11reduce_implILb1ES3_NS6_12zip_iteratorINS7_INS6_11hip_rocprim26transform_input_iterator_tIbNSD_35transform_pair_of_input_iterators_tIbNS6_6detail15normal_iteratorINS6_10device_ptrIKtEEEESL_NS6_8equal_toItEEEENSG_9not_fun_tINSD_8identityEEEEENSD_19counting_iterator_tIlEES8_S8_S8_S8_S8_S8_S8_S8_EEEEPS9_S9_NSD_9__find_if7functorIS9_EEEE10hipError_tPvRmT1_T2_T3_mT4_P12ihipStream_tbEUlT_E0_NS1_11comp_targetILNS1_3genE0ELNS1_11target_archE4294967295ELNS1_3gpuE0ELNS1_3repE0EEENS1_30default_config_static_selectorELNS0_4arch9wavefront6targetE0EEEvS14_ ; -- Begin function _ZN7rocprim17ROCPRIM_400000_NS6detail17trampoline_kernelINS0_14default_configENS1_22reduce_config_selectorIN6thrust23THRUST_200600_302600_NS5tupleIblNS6_9null_typeES8_S8_S8_S8_S8_S8_S8_EEEEZNS1_11reduce_implILb1ES3_NS6_12zip_iteratorINS7_INS6_11hip_rocprim26transform_input_iterator_tIbNSD_35transform_pair_of_input_iterators_tIbNS6_6detail15normal_iteratorINS6_10device_ptrIKtEEEESL_NS6_8equal_toItEEEENSG_9not_fun_tINSD_8identityEEEEENSD_19counting_iterator_tIlEES8_S8_S8_S8_S8_S8_S8_S8_EEEEPS9_S9_NSD_9__find_if7functorIS9_EEEE10hipError_tPvRmT1_T2_T3_mT4_P12ihipStream_tbEUlT_E0_NS1_11comp_targetILNS1_3genE0ELNS1_11target_archE4294967295ELNS1_3gpuE0ELNS1_3repE0EEENS1_30default_config_static_selectorELNS0_4arch9wavefront6targetE0EEEvS14_
	.globl	_ZN7rocprim17ROCPRIM_400000_NS6detail17trampoline_kernelINS0_14default_configENS1_22reduce_config_selectorIN6thrust23THRUST_200600_302600_NS5tupleIblNS6_9null_typeES8_S8_S8_S8_S8_S8_S8_EEEEZNS1_11reduce_implILb1ES3_NS6_12zip_iteratorINS7_INS6_11hip_rocprim26transform_input_iterator_tIbNSD_35transform_pair_of_input_iterators_tIbNS6_6detail15normal_iteratorINS6_10device_ptrIKtEEEESL_NS6_8equal_toItEEEENSG_9not_fun_tINSD_8identityEEEEENSD_19counting_iterator_tIlEES8_S8_S8_S8_S8_S8_S8_S8_EEEEPS9_S9_NSD_9__find_if7functorIS9_EEEE10hipError_tPvRmT1_T2_T3_mT4_P12ihipStream_tbEUlT_E0_NS1_11comp_targetILNS1_3genE0ELNS1_11target_archE4294967295ELNS1_3gpuE0ELNS1_3repE0EEENS1_30default_config_static_selectorELNS0_4arch9wavefront6targetE0EEEvS14_
	.p2align	8
	.type	_ZN7rocprim17ROCPRIM_400000_NS6detail17trampoline_kernelINS0_14default_configENS1_22reduce_config_selectorIN6thrust23THRUST_200600_302600_NS5tupleIblNS6_9null_typeES8_S8_S8_S8_S8_S8_S8_EEEEZNS1_11reduce_implILb1ES3_NS6_12zip_iteratorINS7_INS6_11hip_rocprim26transform_input_iterator_tIbNSD_35transform_pair_of_input_iterators_tIbNS6_6detail15normal_iteratorINS6_10device_ptrIKtEEEESL_NS6_8equal_toItEEEENSG_9not_fun_tINSD_8identityEEEEENSD_19counting_iterator_tIlEES8_S8_S8_S8_S8_S8_S8_S8_EEEEPS9_S9_NSD_9__find_if7functorIS9_EEEE10hipError_tPvRmT1_T2_T3_mT4_P12ihipStream_tbEUlT_E0_NS1_11comp_targetILNS1_3genE0ELNS1_11target_archE4294967295ELNS1_3gpuE0ELNS1_3repE0EEENS1_30default_config_static_selectorELNS0_4arch9wavefront6targetE0EEEvS14_,@function
_ZN7rocprim17ROCPRIM_400000_NS6detail17trampoline_kernelINS0_14default_configENS1_22reduce_config_selectorIN6thrust23THRUST_200600_302600_NS5tupleIblNS6_9null_typeES8_S8_S8_S8_S8_S8_S8_EEEEZNS1_11reduce_implILb1ES3_NS6_12zip_iteratorINS7_INS6_11hip_rocprim26transform_input_iterator_tIbNSD_35transform_pair_of_input_iterators_tIbNS6_6detail15normal_iteratorINS6_10device_ptrIKtEEEESL_NS6_8equal_toItEEEENSG_9not_fun_tINSD_8identityEEEEENSD_19counting_iterator_tIlEES8_S8_S8_S8_S8_S8_S8_S8_EEEEPS9_S9_NSD_9__find_if7functorIS9_EEEE10hipError_tPvRmT1_T2_T3_mT4_P12ihipStream_tbEUlT_E0_NS1_11comp_targetILNS1_3genE0ELNS1_11target_archE4294967295ELNS1_3gpuE0ELNS1_3repE0EEENS1_30default_config_static_selectorELNS0_4arch9wavefront6targetE0EEEvS14_: ; @_ZN7rocprim17ROCPRIM_400000_NS6detail17trampoline_kernelINS0_14default_configENS1_22reduce_config_selectorIN6thrust23THRUST_200600_302600_NS5tupleIblNS6_9null_typeES8_S8_S8_S8_S8_S8_S8_EEEEZNS1_11reduce_implILb1ES3_NS6_12zip_iteratorINS7_INS6_11hip_rocprim26transform_input_iterator_tIbNSD_35transform_pair_of_input_iterators_tIbNS6_6detail15normal_iteratorINS6_10device_ptrIKtEEEESL_NS6_8equal_toItEEEENSG_9not_fun_tINSD_8identityEEEEENSD_19counting_iterator_tIlEES8_S8_S8_S8_S8_S8_S8_S8_EEEEPS9_S9_NSD_9__find_if7functorIS9_EEEE10hipError_tPvRmT1_T2_T3_mT4_P12ihipStream_tbEUlT_E0_NS1_11comp_targetILNS1_3genE0ELNS1_11target_archE4294967295ELNS1_3gpuE0ELNS1_3repE0EEENS1_30default_config_static_selectorELNS0_4arch9wavefront6targetE0EEEvS14_
; %bb.0:
	.section	.rodata,"a",@progbits
	.p2align	6, 0x0
	.amdhsa_kernel _ZN7rocprim17ROCPRIM_400000_NS6detail17trampoline_kernelINS0_14default_configENS1_22reduce_config_selectorIN6thrust23THRUST_200600_302600_NS5tupleIblNS6_9null_typeES8_S8_S8_S8_S8_S8_S8_EEEEZNS1_11reduce_implILb1ES3_NS6_12zip_iteratorINS7_INS6_11hip_rocprim26transform_input_iterator_tIbNSD_35transform_pair_of_input_iterators_tIbNS6_6detail15normal_iteratorINS6_10device_ptrIKtEEEESL_NS6_8equal_toItEEEENSG_9not_fun_tINSD_8identityEEEEENSD_19counting_iterator_tIlEES8_S8_S8_S8_S8_S8_S8_S8_EEEEPS9_S9_NSD_9__find_if7functorIS9_EEEE10hipError_tPvRmT1_T2_T3_mT4_P12ihipStream_tbEUlT_E0_NS1_11comp_targetILNS1_3genE0ELNS1_11target_archE4294967295ELNS1_3gpuE0ELNS1_3repE0EEENS1_30default_config_static_selectorELNS0_4arch9wavefront6targetE0EEEvS14_
		.amdhsa_group_segment_fixed_size 0
		.amdhsa_private_segment_fixed_size 0
		.amdhsa_kernarg_size 104
		.amdhsa_user_sgpr_count 15
		.amdhsa_user_sgpr_dispatch_ptr 0
		.amdhsa_user_sgpr_queue_ptr 0
		.amdhsa_user_sgpr_kernarg_segment_ptr 1
		.amdhsa_user_sgpr_dispatch_id 0
		.amdhsa_user_sgpr_private_segment_size 0
		.amdhsa_wavefront_size32 1
		.amdhsa_uses_dynamic_stack 0
		.amdhsa_enable_private_segment 0
		.amdhsa_system_sgpr_workgroup_id_x 1
		.amdhsa_system_sgpr_workgroup_id_y 0
		.amdhsa_system_sgpr_workgroup_id_z 0
		.amdhsa_system_sgpr_workgroup_info 0
		.amdhsa_system_vgpr_workitem_id 0
		.amdhsa_next_free_vgpr 1
		.amdhsa_next_free_sgpr 1
		.amdhsa_reserve_vcc 0
		.amdhsa_float_round_mode_32 0
		.amdhsa_float_round_mode_16_64 0
		.amdhsa_float_denorm_mode_32 3
		.amdhsa_float_denorm_mode_16_64 3
		.amdhsa_dx10_clamp 1
		.amdhsa_ieee_mode 1
		.amdhsa_fp16_overflow 0
		.amdhsa_workgroup_processor_mode 1
		.amdhsa_memory_ordered 1
		.amdhsa_forward_progress 0
		.amdhsa_shared_vgpr_count 0
		.amdhsa_exception_fp_ieee_invalid_op 0
		.amdhsa_exception_fp_denorm_src 0
		.amdhsa_exception_fp_ieee_div_zero 0
		.amdhsa_exception_fp_ieee_overflow 0
		.amdhsa_exception_fp_ieee_underflow 0
		.amdhsa_exception_fp_ieee_inexact 0
		.amdhsa_exception_int_div_zero 0
	.end_amdhsa_kernel
	.section	.text._ZN7rocprim17ROCPRIM_400000_NS6detail17trampoline_kernelINS0_14default_configENS1_22reduce_config_selectorIN6thrust23THRUST_200600_302600_NS5tupleIblNS6_9null_typeES8_S8_S8_S8_S8_S8_S8_EEEEZNS1_11reduce_implILb1ES3_NS6_12zip_iteratorINS7_INS6_11hip_rocprim26transform_input_iterator_tIbNSD_35transform_pair_of_input_iterators_tIbNS6_6detail15normal_iteratorINS6_10device_ptrIKtEEEESL_NS6_8equal_toItEEEENSG_9not_fun_tINSD_8identityEEEEENSD_19counting_iterator_tIlEES8_S8_S8_S8_S8_S8_S8_S8_EEEEPS9_S9_NSD_9__find_if7functorIS9_EEEE10hipError_tPvRmT1_T2_T3_mT4_P12ihipStream_tbEUlT_E0_NS1_11comp_targetILNS1_3genE0ELNS1_11target_archE4294967295ELNS1_3gpuE0ELNS1_3repE0EEENS1_30default_config_static_selectorELNS0_4arch9wavefront6targetE0EEEvS14_,"axG",@progbits,_ZN7rocprim17ROCPRIM_400000_NS6detail17trampoline_kernelINS0_14default_configENS1_22reduce_config_selectorIN6thrust23THRUST_200600_302600_NS5tupleIblNS6_9null_typeES8_S8_S8_S8_S8_S8_S8_EEEEZNS1_11reduce_implILb1ES3_NS6_12zip_iteratorINS7_INS6_11hip_rocprim26transform_input_iterator_tIbNSD_35transform_pair_of_input_iterators_tIbNS6_6detail15normal_iteratorINS6_10device_ptrIKtEEEESL_NS6_8equal_toItEEEENSG_9not_fun_tINSD_8identityEEEEENSD_19counting_iterator_tIlEES8_S8_S8_S8_S8_S8_S8_S8_EEEEPS9_S9_NSD_9__find_if7functorIS9_EEEE10hipError_tPvRmT1_T2_T3_mT4_P12ihipStream_tbEUlT_E0_NS1_11comp_targetILNS1_3genE0ELNS1_11target_archE4294967295ELNS1_3gpuE0ELNS1_3repE0EEENS1_30default_config_static_selectorELNS0_4arch9wavefront6targetE0EEEvS14_,comdat
.Lfunc_end501:
	.size	_ZN7rocprim17ROCPRIM_400000_NS6detail17trampoline_kernelINS0_14default_configENS1_22reduce_config_selectorIN6thrust23THRUST_200600_302600_NS5tupleIblNS6_9null_typeES8_S8_S8_S8_S8_S8_S8_EEEEZNS1_11reduce_implILb1ES3_NS6_12zip_iteratorINS7_INS6_11hip_rocprim26transform_input_iterator_tIbNSD_35transform_pair_of_input_iterators_tIbNS6_6detail15normal_iteratorINS6_10device_ptrIKtEEEESL_NS6_8equal_toItEEEENSG_9not_fun_tINSD_8identityEEEEENSD_19counting_iterator_tIlEES8_S8_S8_S8_S8_S8_S8_S8_EEEEPS9_S9_NSD_9__find_if7functorIS9_EEEE10hipError_tPvRmT1_T2_T3_mT4_P12ihipStream_tbEUlT_E0_NS1_11comp_targetILNS1_3genE0ELNS1_11target_archE4294967295ELNS1_3gpuE0ELNS1_3repE0EEENS1_30default_config_static_selectorELNS0_4arch9wavefront6targetE0EEEvS14_, .Lfunc_end501-_ZN7rocprim17ROCPRIM_400000_NS6detail17trampoline_kernelINS0_14default_configENS1_22reduce_config_selectorIN6thrust23THRUST_200600_302600_NS5tupleIblNS6_9null_typeES8_S8_S8_S8_S8_S8_S8_EEEEZNS1_11reduce_implILb1ES3_NS6_12zip_iteratorINS7_INS6_11hip_rocprim26transform_input_iterator_tIbNSD_35transform_pair_of_input_iterators_tIbNS6_6detail15normal_iteratorINS6_10device_ptrIKtEEEESL_NS6_8equal_toItEEEENSG_9not_fun_tINSD_8identityEEEEENSD_19counting_iterator_tIlEES8_S8_S8_S8_S8_S8_S8_S8_EEEEPS9_S9_NSD_9__find_if7functorIS9_EEEE10hipError_tPvRmT1_T2_T3_mT4_P12ihipStream_tbEUlT_E0_NS1_11comp_targetILNS1_3genE0ELNS1_11target_archE4294967295ELNS1_3gpuE0ELNS1_3repE0EEENS1_30default_config_static_selectorELNS0_4arch9wavefront6targetE0EEEvS14_
                                        ; -- End function
	.section	.AMDGPU.csdata,"",@progbits
; Kernel info:
; codeLenInByte = 0
; NumSgprs: 0
; NumVgprs: 0
; ScratchSize: 0
; MemoryBound: 0
; FloatMode: 240
; IeeeMode: 1
; LDSByteSize: 0 bytes/workgroup (compile time only)
; SGPRBlocks: 0
; VGPRBlocks: 0
; NumSGPRsForWavesPerEU: 1
; NumVGPRsForWavesPerEU: 1
; Occupancy: 16
; WaveLimiterHint : 0
; COMPUTE_PGM_RSRC2:SCRATCH_EN: 0
; COMPUTE_PGM_RSRC2:USER_SGPR: 15
; COMPUTE_PGM_RSRC2:TRAP_HANDLER: 0
; COMPUTE_PGM_RSRC2:TGID_X_EN: 1
; COMPUTE_PGM_RSRC2:TGID_Y_EN: 0
; COMPUTE_PGM_RSRC2:TGID_Z_EN: 0
; COMPUTE_PGM_RSRC2:TIDIG_COMP_CNT: 0
	.section	.text._ZN7rocprim17ROCPRIM_400000_NS6detail17trampoline_kernelINS0_14default_configENS1_22reduce_config_selectorIN6thrust23THRUST_200600_302600_NS5tupleIblNS6_9null_typeES8_S8_S8_S8_S8_S8_S8_EEEEZNS1_11reduce_implILb1ES3_NS6_12zip_iteratorINS7_INS6_11hip_rocprim26transform_input_iterator_tIbNSD_35transform_pair_of_input_iterators_tIbNS6_6detail15normal_iteratorINS6_10device_ptrIKtEEEESL_NS6_8equal_toItEEEENSG_9not_fun_tINSD_8identityEEEEENSD_19counting_iterator_tIlEES8_S8_S8_S8_S8_S8_S8_S8_EEEEPS9_S9_NSD_9__find_if7functorIS9_EEEE10hipError_tPvRmT1_T2_T3_mT4_P12ihipStream_tbEUlT_E0_NS1_11comp_targetILNS1_3genE5ELNS1_11target_archE942ELNS1_3gpuE9ELNS1_3repE0EEENS1_30default_config_static_selectorELNS0_4arch9wavefront6targetE0EEEvS14_,"axG",@progbits,_ZN7rocprim17ROCPRIM_400000_NS6detail17trampoline_kernelINS0_14default_configENS1_22reduce_config_selectorIN6thrust23THRUST_200600_302600_NS5tupleIblNS6_9null_typeES8_S8_S8_S8_S8_S8_S8_EEEEZNS1_11reduce_implILb1ES3_NS6_12zip_iteratorINS7_INS6_11hip_rocprim26transform_input_iterator_tIbNSD_35transform_pair_of_input_iterators_tIbNS6_6detail15normal_iteratorINS6_10device_ptrIKtEEEESL_NS6_8equal_toItEEEENSG_9not_fun_tINSD_8identityEEEEENSD_19counting_iterator_tIlEES8_S8_S8_S8_S8_S8_S8_S8_EEEEPS9_S9_NSD_9__find_if7functorIS9_EEEE10hipError_tPvRmT1_T2_T3_mT4_P12ihipStream_tbEUlT_E0_NS1_11comp_targetILNS1_3genE5ELNS1_11target_archE942ELNS1_3gpuE9ELNS1_3repE0EEENS1_30default_config_static_selectorELNS0_4arch9wavefront6targetE0EEEvS14_,comdat
	.protected	_ZN7rocprim17ROCPRIM_400000_NS6detail17trampoline_kernelINS0_14default_configENS1_22reduce_config_selectorIN6thrust23THRUST_200600_302600_NS5tupleIblNS6_9null_typeES8_S8_S8_S8_S8_S8_S8_EEEEZNS1_11reduce_implILb1ES3_NS6_12zip_iteratorINS7_INS6_11hip_rocprim26transform_input_iterator_tIbNSD_35transform_pair_of_input_iterators_tIbNS6_6detail15normal_iteratorINS6_10device_ptrIKtEEEESL_NS6_8equal_toItEEEENSG_9not_fun_tINSD_8identityEEEEENSD_19counting_iterator_tIlEES8_S8_S8_S8_S8_S8_S8_S8_EEEEPS9_S9_NSD_9__find_if7functorIS9_EEEE10hipError_tPvRmT1_T2_T3_mT4_P12ihipStream_tbEUlT_E0_NS1_11comp_targetILNS1_3genE5ELNS1_11target_archE942ELNS1_3gpuE9ELNS1_3repE0EEENS1_30default_config_static_selectorELNS0_4arch9wavefront6targetE0EEEvS14_ ; -- Begin function _ZN7rocprim17ROCPRIM_400000_NS6detail17trampoline_kernelINS0_14default_configENS1_22reduce_config_selectorIN6thrust23THRUST_200600_302600_NS5tupleIblNS6_9null_typeES8_S8_S8_S8_S8_S8_S8_EEEEZNS1_11reduce_implILb1ES3_NS6_12zip_iteratorINS7_INS6_11hip_rocprim26transform_input_iterator_tIbNSD_35transform_pair_of_input_iterators_tIbNS6_6detail15normal_iteratorINS6_10device_ptrIKtEEEESL_NS6_8equal_toItEEEENSG_9not_fun_tINSD_8identityEEEEENSD_19counting_iterator_tIlEES8_S8_S8_S8_S8_S8_S8_S8_EEEEPS9_S9_NSD_9__find_if7functorIS9_EEEE10hipError_tPvRmT1_T2_T3_mT4_P12ihipStream_tbEUlT_E0_NS1_11comp_targetILNS1_3genE5ELNS1_11target_archE942ELNS1_3gpuE9ELNS1_3repE0EEENS1_30default_config_static_selectorELNS0_4arch9wavefront6targetE0EEEvS14_
	.globl	_ZN7rocprim17ROCPRIM_400000_NS6detail17trampoline_kernelINS0_14default_configENS1_22reduce_config_selectorIN6thrust23THRUST_200600_302600_NS5tupleIblNS6_9null_typeES8_S8_S8_S8_S8_S8_S8_EEEEZNS1_11reduce_implILb1ES3_NS6_12zip_iteratorINS7_INS6_11hip_rocprim26transform_input_iterator_tIbNSD_35transform_pair_of_input_iterators_tIbNS6_6detail15normal_iteratorINS6_10device_ptrIKtEEEESL_NS6_8equal_toItEEEENSG_9not_fun_tINSD_8identityEEEEENSD_19counting_iterator_tIlEES8_S8_S8_S8_S8_S8_S8_S8_EEEEPS9_S9_NSD_9__find_if7functorIS9_EEEE10hipError_tPvRmT1_T2_T3_mT4_P12ihipStream_tbEUlT_E0_NS1_11comp_targetILNS1_3genE5ELNS1_11target_archE942ELNS1_3gpuE9ELNS1_3repE0EEENS1_30default_config_static_selectorELNS0_4arch9wavefront6targetE0EEEvS14_
	.p2align	8
	.type	_ZN7rocprim17ROCPRIM_400000_NS6detail17trampoline_kernelINS0_14default_configENS1_22reduce_config_selectorIN6thrust23THRUST_200600_302600_NS5tupleIblNS6_9null_typeES8_S8_S8_S8_S8_S8_S8_EEEEZNS1_11reduce_implILb1ES3_NS6_12zip_iteratorINS7_INS6_11hip_rocprim26transform_input_iterator_tIbNSD_35transform_pair_of_input_iterators_tIbNS6_6detail15normal_iteratorINS6_10device_ptrIKtEEEESL_NS6_8equal_toItEEEENSG_9not_fun_tINSD_8identityEEEEENSD_19counting_iterator_tIlEES8_S8_S8_S8_S8_S8_S8_S8_EEEEPS9_S9_NSD_9__find_if7functorIS9_EEEE10hipError_tPvRmT1_T2_T3_mT4_P12ihipStream_tbEUlT_E0_NS1_11comp_targetILNS1_3genE5ELNS1_11target_archE942ELNS1_3gpuE9ELNS1_3repE0EEENS1_30default_config_static_selectorELNS0_4arch9wavefront6targetE0EEEvS14_,@function
_ZN7rocprim17ROCPRIM_400000_NS6detail17trampoline_kernelINS0_14default_configENS1_22reduce_config_selectorIN6thrust23THRUST_200600_302600_NS5tupleIblNS6_9null_typeES8_S8_S8_S8_S8_S8_S8_EEEEZNS1_11reduce_implILb1ES3_NS6_12zip_iteratorINS7_INS6_11hip_rocprim26transform_input_iterator_tIbNSD_35transform_pair_of_input_iterators_tIbNS6_6detail15normal_iteratorINS6_10device_ptrIKtEEEESL_NS6_8equal_toItEEEENSG_9not_fun_tINSD_8identityEEEEENSD_19counting_iterator_tIlEES8_S8_S8_S8_S8_S8_S8_S8_EEEEPS9_S9_NSD_9__find_if7functorIS9_EEEE10hipError_tPvRmT1_T2_T3_mT4_P12ihipStream_tbEUlT_E0_NS1_11comp_targetILNS1_3genE5ELNS1_11target_archE942ELNS1_3gpuE9ELNS1_3repE0EEENS1_30default_config_static_selectorELNS0_4arch9wavefront6targetE0EEEvS14_: ; @_ZN7rocprim17ROCPRIM_400000_NS6detail17trampoline_kernelINS0_14default_configENS1_22reduce_config_selectorIN6thrust23THRUST_200600_302600_NS5tupleIblNS6_9null_typeES8_S8_S8_S8_S8_S8_S8_EEEEZNS1_11reduce_implILb1ES3_NS6_12zip_iteratorINS7_INS6_11hip_rocprim26transform_input_iterator_tIbNSD_35transform_pair_of_input_iterators_tIbNS6_6detail15normal_iteratorINS6_10device_ptrIKtEEEESL_NS6_8equal_toItEEEENSG_9not_fun_tINSD_8identityEEEEENSD_19counting_iterator_tIlEES8_S8_S8_S8_S8_S8_S8_S8_EEEEPS9_S9_NSD_9__find_if7functorIS9_EEEE10hipError_tPvRmT1_T2_T3_mT4_P12ihipStream_tbEUlT_E0_NS1_11comp_targetILNS1_3genE5ELNS1_11target_archE942ELNS1_3gpuE9ELNS1_3repE0EEENS1_30default_config_static_selectorELNS0_4arch9wavefront6targetE0EEEvS14_
; %bb.0:
	.section	.rodata,"a",@progbits
	.p2align	6, 0x0
	.amdhsa_kernel _ZN7rocprim17ROCPRIM_400000_NS6detail17trampoline_kernelINS0_14default_configENS1_22reduce_config_selectorIN6thrust23THRUST_200600_302600_NS5tupleIblNS6_9null_typeES8_S8_S8_S8_S8_S8_S8_EEEEZNS1_11reduce_implILb1ES3_NS6_12zip_iteratorINS7_INS6_11hip_rocprim26transform_input_iterator_tIbNSD_35transform_pair_of_input_iterators_tIbNS6_6detail15normal_iteratorINS6_10device_ptrIKtEEEESL_NS6_8equal_toItEEEENSG_9not_fun_tINSD_8identityEEEEENSD_19counting_iterator_tIlEES8_S8_S8_S8_S8_S8_S8_S8_EEEEPS9_S9_NSD_9__find_if7functorIS9_EEEE10hipError_tPvRmT1_T2_T3_mT4_P12ihipStream_tbEUlT_E0_NS1_11comp_targetILNS1_3genE5ELNS1_11target_archE942ELNS1_3gpuE9ELNS1_3repE0EEENS1_30default_config_static_selectorELNS0_4arch9wavefront6targetE0EEEvS14_
		.amdhsa_group_segment_fixed_size 0
		.amdhsa_private_segment_fixed_size 0
		.amdhsa_kernarg_size 104
		.amdhsa_user_sgpr_count 15
		.amdhsa_user_sgpr_dispatch_ptr 0
		.amdhsa_user_sgpr_queue_ptr 0
		.amdhsa_user_sgpr_kernarg_segment_ptr 1
		.amdhsa_user_sgpr_dispatch_id 0
		.amdhsa_user_sgpr_private_segment_size 0
		.amdhsa_wavefront_size32 1
		.amdhsa_uses_dynamic_stack 0
		.amdhsa_enable_private_segment 0
		.amdhsa_system_sgpr_workgroup_id_x 1
		.amdhsa_system_sgpr_workgroup_id_y 0
		.amdhsa_system_sgpr_workgroup_id_z 0
		.amdhsa_system_sgpr_workgroup_info 0
		.amdhsa_system_vgpr_workitem_id 0
		.amdhsa_next_free_vgpr 1
		.amdhsa_next_free_sgpr 1
		.amdhsa_reserve_vcc 0
		.amdhsa_float_round_mode_32 0
		.amdhsa_float_round_mode_16_64 0
		.amdhsa_float_denorm_mode_32 3
		.amdhsa_float_denorm_mode_16_64 3
		.amdhsa_dx10_clamp 1
		.amdhsa_ieee_mode 1
		.amdhsa_fp16_overflow 0
		.amdhsa_workgroup_processor_mode 1
		.amdhsa_memory_ordered 1
		.amdhsa_forward_progress 0
		.amdhsa_shared_vgpr_count 0
		.amdhsa_exception_fp_ieee_invalid_op 0
		.amdhsa_exception_fp_denorm_src 0
		.amdhsa_exception_fp_ieee_div_zero 0
		.amdhsa_exception_fp_ieee_overflow 0
		.amdhsa_exception_fp_ieee_underflow 0
		.amdhsa_exception_fp_ieee_inexact 0
		.amdhsa_exception_int_div_zero 0
	.end_amdhsa_kernel
	.section	.text._ZN7rocprim17ROCPRIM_400000_NS6detail17trampoline_kernelINS0_14default_configENS1_22reduce_config_selectorIN6thrust23THRUST_200600_302600_NS5tupleIblNS6_9null_typeES8_S8_S8_S8_S8_S8_S8_EEEEZNS1_11reduce_implILb1ES3_NS6_12zip_iteratorINS7_INS6_11hip_rocprim26transform_input_iterator_tIbNSD_35transform_pair_of_input_iterators_tIbNS6_6detail15normal_iteratorINS6_10device_ptrIKtEEEESL_NS6_8equal_toItEEEENSG_9not_fun_tINSD_8identityEEEEENSD_19counting_iterator_tIlEES8_S8_S8_S8_S8_S8_S8_S8_EEEEPS9_S9_NSD_9__find_if7functorIS9_EEEE10hipError_tPvRmT1_T2_T3_mT4_P12ihipStream_tbEUlT_E0_NS1_11comp_targetILNS1_3genE5ELNS1_11target_archE942ELNS1_3gpuE9ELNS1_3repE0EEENS1_30default_config_static_selectorELNS0_4arch9wavefront6targetE0EEEvS14_,"axG",@progbits,_ZN7rocprim17ROCPRIM_400000_NS6detail17trampoline_kernelINS0_14default_configENS1_22reduce_config_selectorIN6thrust23THRUST_200600_302600_NS5tupleIblNS6_9null_typeES8_S8_S8_S8_S8_S8_S8_EEEEZNS1_11reduce_implILb1ES3_NS6_12zip_iteratorINS7_INS6_11hip_rocprim26transform_input_iterator_tIbNSD_35transform_pair_of_input_iterators_tIbNS6_6detail15normal_iteratorINS6_10device_ptrIKtEEEESL_NS6_8equal_toItEEEENSG_9not_fun_tINSD_8identityEEEEENSD_19counting_iterator_tIlEES8_S8_S8_S8_S8_S8_S8_S8_EEEEPS9_S9_NSD_9__find_if7functorIS9_EEEE10hipError_tPvRmT1_T2_T3_mT4_P12ihipStream_tbEUlT_E0_NS1_11comp_targetILNS1_3genE5ELNS1_11target_archE942ELNS1_3gpuE9ELNS1_3repE0EEENS1_30default_config_static_selectorELNS0_4arch9wavefront6targetE0EEEvS14_,comdat
.Lfunc_end502:
	.size	_ZN7rocprim17ROCPRIM_400000_NS6detail17trampoline_kernelINS0_14default_configENS1_22reduce_config_selectorIN6thrust23THRUST_200600_302600_NS5tupleIblNS6_9null_typeES8_S8_S8_S8_S8_S8_S8_EEEEZNS1_11reduce_implILb1ES3_NS6_12zip_iteratorINS7_INS6_11hip_rocprim26transform_input_iterator_tIbNSD_35transform_pair_of_input_iterators_tIbNS6_6detail15normal_iteratorINS6_10device_ptrIKtEEEESL_NS6_8equal_toItEEEENSG_9not_fun_tINSD_8identityEEEEENSD_19counting_iterator_tIlEES8_S8_S8_S8_S8_S8_S8_S8_EEEEPS9_S9_NSD_9__find_if7functorIS9_EEEE10hipError_tPvRmT1_T2_T3_mT4_P12ihipStream_tbEUlT_E0_NS1_11comp_targetILNS1_3genE5ELNS1_11target_archE942ELNS1_3gpuE9ELNS1_3repE0EEENS1_30default_config_static_selectorELNS0_4arch9wavefront6targetE0EEEvS14_, .Lfunc_end502-_ZN7rocprim17ROCPRIM_400000_NS6detail17trampoline_kernelINS0_14default_configENS1_22reduce_config_selectorIN6thrust23THRUST_200600_302600_NS5tupleIblNS6_9null_typeES8_S8_S8_S8_S8_S8_S8_EEEEZNS1_11reduce_implILb1ES3_NS6_12zip_iteratorINS7_INS6_11hip_rocprim26transform_input_iterator_tIbNSD_35transform_pair_of_input_iterators_tIbNS6_6detail15normal_iteratorINS6_10device_ptrIKtEEEESL_NS6_8equal_toItEEEENSG_9not_fun_tINSD_8identityEEEEENSD_19counting_iterator_tIlEES8_S8_S8_S8_S8_S8_S8_S8_EEEEPS9_S9_NSD_9__find_if7functorIS9_EEEE10hipError_tPvRmT1_T2_T3_mT4_P12ihipStream_tbEUlT_E0_NS1_11comp_targetILNS1_3genE5ELNS1_11target_archE942ELNS1_3gpuE9ELNS1_3repE0EEENS1_30default_config_static_selectorELNS0_4arch9wavefront6targetE0EEEvS14_
                                        ; -- End function
	.section	.AMDGPU.csdata,"",@progbits
; Kernel info:
; codeLenInByte = 0
; NumSgprs: 0
; NumVgprs: 0
; ScratchSize: 0
; MemoryBound: 0
; FloatMode: 240
; IeeeMode: 1
; LDSByteSize: 0 bytes/workgroup (compile time only)
; SGPRBlocks: 0
; VGPRBlocks: 0
; NumSGPRsForWavesPerEU: 1
; NumVGPRsForWavesPerEU: 1
; Occupancy: 16
; WaveLimiterHint : 0
; COMPUTE_PGM_RSRC2:SCRATCH_EN: 0
; COMPUTE_PGM_RSRC2:USER_SGPR: 15
; COMPUTE_PGM_RSRC2:TRAP_HANDLER: 0
; COMPUTE_PGM_RSRC2:TGID_X_EN: 1
; COMPUTE_PGM_RSRC2:TGID_Y_EN: 0
; COMPUTE_PGM_RSRC2:TGID_Z_EN: 0
; COMPUTE_PGM_RSRC2:TIDIG_COMP_CNT: 0
	.section	.text._ZN7rocprim17ROCPRIM_400000_NS6detail17trampoline_kernelINS0_14default_configENS1_22reduce_config_selectorIN6thrust23THRUST_200600_302600_NS5tupleIblNS6_9null_typeES8_S8_S8_S8_S8_S8_S8_EEEEZNS1_11reduce_implILb1ES3_NS6_12zip_iteratorINS7_INS6_11hip_rocprim26transform_input_iterator_tIbNSD_35transform_pair_of_input_iterators_tIbNS6_6detail15normal_iteratorINS6_10device_ptrIKtEEEESL_NS6_8equal_toItEEEENSG_9not_fun_tINSD_8identityEEEEENSD_19counting_iterator_tIlEES8_S8_S8_S8_S8_S8_S8_S8_EEEEPS9_S9_NSD_9__find_if7functorIS9_EEEE10hipError_tPvRmT1_T2_T3_mT4_P12ihipStream_tbEUlT_E0_NS1_11comp_targetILNS1_3genE4ELNS1_11target_archE910ELNS1_3gpuE8ELNS1_3repE0EEENS1_30default_config_static_selectorELNS0_4arch9wavefront6targetE0EEEvS14_,"axG",@progbits,_ZN7rocprim17ROCPRIM_400000_NS6detail17trampoline_kernelINS0_14default_configENS1_22reduce_config_selectorIN6thrust23THRUST_200600_302600_NS5tupleIblNS6_9null_typeES8_S8_S8_S8_S8_S8_S8_EEEEZNS1_11reduce_implILb1ES3_NS6_12zip_iteratorINS7_INS6_11hip_rocprim26transform_input_iterator_tIbNSD_35transform_pair_of_input_iterators_tIbNS6_6detail15normal_iteratorINS6_10device_ptrIKtEEEESL_NS6_8equal_toItEEEENSG_9not_fun_tINSD_8identityEEEEENSD_19counting_iterator_tIlEES8_S8_S8_S8_S8_S8_S8_S8_EEEEPS9_S9_NSD_9__find_if7functorIS9_EEEE10hipError_tPvRmT1_T2_T3_mT4_P12ihipStream_tbEUlT_E0_NS1_11comp_targetILNS1_3genE4ELNS1_11target_archE910ELNS1_3gpuE8ELNS1_3repE0EEENS1_30default_config_static_selectorELNS0_4arch9wavefront6targetE0EEEvS14_,comdat
	.protected	_ZN7rocprim17ROCPRIM_400000_NS6detail17trampoline_kernelINS0_14default_configENS1_22reduce_config_selectorIN6thrust23THRUST_200600_302600_NS5tupleIblNS6_9null_typeES8_S8_S8_S8_S8_S8_S8_EEEEZNS1_11reduce_implILb1ES3_NS6_12zip_iteratorINS7_INS6_11hip_rocprim26transform_input_iterator_tIbNSD_35transform_pair_of_input_iterators_tIbNS6_6detail15normal_iteratorINS6_10device_ptrIKtEEEESL_NS6_8equal_toItEEEENSG_9not_fun_tINSD_8identityEEEEENSD_19counting_iterator_tIlEES8_S8_S8_S8_S8_S8_S8_S8_EEEEPS9_S9_NSD_9__find_if7functorIS9_EEEE10hipError_tPvRmT1_T2_T3_mT4_P12ihipStream_tbEUlT_E0_NS1_11comp_targetILNS1_3genE4ELNS1_11target_archE910ELNS1_3gpuE8ELNS1_3repE0EEENS1_30default_config_static_selectorELNS0_4arch9wavefront6targetE0EEEvS14_ ; -- Begin function _ZN7rocprim17ROCPRIM_400000_NS6detail17trampoline_kernelINS0_14default_configENS1_22reduce_config_selectorIN6thrust23THRUST_200600_302600_NS5tupleIblNS6_9null_typeES8_S8_S8_S8_S8_S8_S8_EEEEZNS1_11reduce_implILb1ES3_NS6_12zip_iteratorINS7_INS6_11hip_rocprim26transform_input_iterator_tIbNSD_35transform_pair_of_input_iterators_tIbNS6_6detail15normal_iteratorINS6_10device_ptrIKtEEEESL_NS6_8equal_toItEEEENSG_9not_fun_tINSD_8identityEEEEENSD_19counting_iterator_tIlEES8_S8_S8_S8_S8_S8_S8_S8_EEEEPS9_S9_NSD_9__find_if7functorIS9_EEEE10hipError_tPvRmT1_T2_T3_mT4_P12ihipStream_tbEUlT_E0_NS1_11comp_targetILNS1_3genE4ELNS1_11target_archE910ELNS1_3gpuE8ELNS1_3repE0EEENS1_30default_config_static_selectorELNS0_4arch9wavefront6targetE0EEEvS14_
	.globl	_ZN7rocprim17ROCPRIM_400000_NS6detail17trampoline_kernelINS0_14default_configENS1_22reduce_config_selectorIN6thrust23THRUST_200600_302600_NS5tupleIblNS6_9null_typeES8_S8_S8_S8_S8_S8_S8_EEEEZNS1_11reduce_implILb1ES3_NS6_12zip_iteratorINS7_INS6_11hip_rocprim26transform_input_iterator_tIbNSD_35transform_pair_of_input_iterators_tIbNS6_6detail15normal_iteratorINS6_10device_ptrIKtEEEESL_NS6_8equal_toItEEEENSG_9not_fun_tINSD_8identityEEEEENSD_19counting_iterator_tIlEES8_S8_S8_S8_S8_S8_S8_S8_EEEEPS9_S9_NSD_9__find_if7functorIS9_EEEE10hipError_tPvRmT1_T2_T3_mT4_P12ihipStream_tbEUlT_E0_NS1_11comp_targetILNS1_3genE4ELNS1_11target_archE910ELNS1_3gpuE8ELNS1_3repE0EEENS1_30default_config_static_selectorELNS0_4arch9wavefront6targetE0EEEvS14_
	.p2align	8
	.type	_ZN7rocprim17ROCPRIM_400000_NS6detail17trampoline_kernelINS0_14default_configENS1_22reduce_config_selectorIN6thrust23THRUST_200600_302600_NS5tupleIblNS6_9null_typeES8_S8_S8_S8_S8_S8_S8_EEEEZNS1_11reduce_implILb1ES3_NS6_12zip_iteratorINS7_INS6_11hip_rocprim26transform_input_iterator_tIbNSD_35transform_pair_of_input_iterators_tIbNS6_6detail15normal_iteratorINS6_10device_ptrIKtEEEESL_NS6_8equal_toItEEEENSG_9not_fun_tINSD_8identityEEEEENSD_19counting_iterator_tIlEES8_S8_S8_S8_S8_S8_S8_S8_EEEEPS9_S9_NSD_9__find_if7functorIS9_EEEE10hipError_tPvRmT1_T2_T3_mT4_P12ihipStream_tbEUlT_E0_NS1_11comp_targetILNS1_3genE4ELNS1_11target_archE910ELNS1_3gpuE8ELNS1_3repE0EEENS1_30default_config_static_selectorELNS0_4arch9wavefront6targetE0EEEvS14_,@function
_ZN7rocprim17ROCPRIM_400000_NS6detail17trampoline_kernelINS0_14default_configENS1_22reduce_config_selectorIN6thrust23THRUST_200600_302600_NS5tupleIblNS6_9null_typeES8_S8_S8_S8_S8_S8_S8_EEEEZNS1_11reduce_implILb1ES3_NS6_12zip_iteratorINS7_INS6_11hip_rocprim26transform_input_iterator_tIbNSD_35transform_pair_of_input_iterators_tIbNS6_6detail15normal_iteratorINS6_10device_ptrIKtEEEESL_NS6_8equal_toItEEEENSG_9not_fun_tINSD_8identityEEEEENSD_19counting_iterator_tIlEES8_S8_S8_S8_S8_S8_S8_S8_EEEEPS9_S9_NSD_9__find_if7functorIS9_EEEE10hipError_tPvRmT1_T2_T3_mT4_P12ihipStream_tbEUlT_E0_NS1_11comp_targetILNS1_3genE4ELNS1_11target_archE910ELNS1_3gpuE8ELNS1_3repE0EEENS1_30default_config_static_selectorELNS0_4arch9wavefront6targetE0EEEvS14_: ; @_ZN7rocprim17ROCPRIM_400000_NS6detail17trampoline_kernelINS0_14default_configENS1_22reduce_config_selectorIN6thrust23THRUST_200600_302600_NS5tupleIblNS6_9null_typeES8_S8_S8_S8_S8_S8_S8_EEEEZNS1_11reduce_implILb1ES3_NS6_12zip_iteratorINS7_INS6_11hip_rocprim26transform_input_iterator_tIbNSD_35transform_pair_of_input_iterators_tIbNS6_6detail15normal_iteratorINS6_10device_ptrIKtEEEESL_NS6_8equal_toItEEEENSG_9not_fun_tINSD_8identityEEEEENSD_19counting_iterator_tIlEES8_S8_S8_S8_S8_S8_S8_S8_EEEEPS9_S9_NSD_9__find_if7functorIS9_EEEE10hipError_tPvRmT1_T2_T3_mT4_P12ihipStream_tbEUlT_E0_NS1_11comp_targetILNS1_3genE4ELNS1_11target_archE910ELNS1_3gpuE8ELNS1_3repE0EEENS1_30default_config_static_selectorELNS0_4arch9wavefront6targetE0EEEvS14_
; %bb.0:
	.section	.rodata,"a",@progbits
	.p2align	6, 0x0
	.amdhsa_kernel _ZN7rocprim17ROCPRIM_400000_NS6detail17trampoline_kernelINS0_14default_configENS1_22reduce_config_selectorIN6thrust23THRUST_200600_302600_NS5tupleIblNS6_9null_typeES8_S8_S8_S8_S8_S8_S8_EEEEZNS1_11reduce_implILb1ES3_NS6_12zip_iteratorINS7_INS6_11hip_rocprim26transform_input_iterator_tIbNSD_35transform_pair_of_input_iterators_tIbNS6_6detail15normal_iteratorINS6_10device_ptrIKtEEEESL_NS6_8equal_toItEEEENSG_9not_fun_tINSD_8identityEEEEENSD_19counting_iterator_tIlEES8_S8_S8_S8_S8_S8_S8_S8_EEEEPS9_S9_NSD_9__find_if7functorIS9_EEEE10hipError_tPvRmT1_T2_T3_mT4_P12ihipStream_tbEUlT_E0_NS1_11comp_targetILNS1_3genE4ELNS1_11target_archE910ELNS1_3gpuE8ELNS1_3repE0EEENS1_30default_config_static_selectorELNS0_4arch9wavefront6targetE0EEEvS14_
		.amdhsa_group_segment_fixed_size 0
		.amdhsa_private_segment_fixed_size 0
		.amdhsa_kernarg_size 104
		.amdhsa_user_sgpr_count 15
		.amdhsa_user_sgpr_dispatch_ptr 0
		.amdhsa_user_sgpr_queue_ptr 0
		.amdhsa_user_sgpr_kernarg_segment_ptr 1
		.amdhsa_user_sgpr_dispatch_id 0
		.amdhsa_user_sgpr_private_segment_size 0
		.amdhsa_wavefront_size32 1
		.amdhsa_uses_dynamic_stack 0
		.amdhsa_enable_private_segment 0
		.amdhsa_system_sgpr_workgroup_id_x 1
		.amdhsa_system_sgpr_workgroup_id_y 0
		.amdhsa_system_sgpr_workgroup_id_z 0
		.amdhsa_system_sgpr_workgroup_info 0
		.amdhsa_system_vgpr_workitem_id 0
		.amdhsa_next_free_vgpr 1
		.amdhsa_next_free_sgpr 1
		.amdhsa_reserve_vcc 0
		.amdhsa_float_round_mode_32 0
		.amdhsa_float_round_mode_16_64 0
		.amdhsa_float_denorm_mode_32 3
		.amdhsa_float_denorm_mode_16_64 3
		.amdhsa_dx10_clamp 1
		.amdhsa_ieee_mode 1
		.amdhsa_fp16_overflow 0
		.amdhsa_workgroup_processor_mode 1
		.amdhsa_memory_ordered 1
		.amdhsa_forward_progress 0
		.amdhsa_shared_vgpr_count 0
		.amdhsa_exception_fp_ieee_invalid_op 0
		.amdhsa_exception_fp_denorm_src 0
		.amdhsa_exception_fp_ieee_div_zero 0
		.amdhsa_exception_fp_ieee_overflow 0
		.amdhsa_exception_fp_ieee_underflow 0
		.amdhsa_exception_fp_ieee_inexact 0
		.amdhsa_exception_int_div_zero 0
	.end_amdhsa_kernel
	.section	.text._ZN7rocprim17ROCPRIM_400000_NS6detail17trampoline_kernelINS0_14default_configENS1_22reduce_config_selectorIN6thrust23THRUST_200600_302600_NS5tupleIblNS6_9null_typeES8_S8_S8_S8_S8_S8_S8_EEEEZNS1_11reduce_implILb1ES3_NS6_12zip_iteratorINS7_INS6_11hip_rocprim26transform_input_iterator_tIbNSD_35transform_pair_of_input_iterators_tIbNS6_6detail15normal_iteratorINS6_10device_ptrIKtEEEESL_NS6_8equal_toItEEEENSG_9not_fun_tINSD_8identityEEEEENSD_19counting_iterator_tIlEES8_S8_S8_S8_S8_S8_S8_S8_EEEEPS9_S9_NSD_9__find_if7functorIS9_EEEE10hipError_tPvRmT1_T2_T3_mT4_P12ihipStream_tbEUlT_E0_NS1_11comp_targetILNS1_3genE4ELNS1_11target_archE910ELNS1_3gpuE8ELNS1_3repE0EEENS1_30default_config_static_selectorELNS0_4arch9wavefront6targetE0EEEvS14_,"axG",@progbits,_ZN7rocprim17ROCPRIM_400000_NS6detail17trampoline_kernelINS0_14default_configENS1_22reduce_config_selectorIN6thrust23THRUST_200600_302600_NS5tupleIblNS6_9null_typeES8_S8_S8_S8_S8_S8_S8_EEEEZNS1_11reduce_implILb1ES3_NS6_12zip_iteratorINS7_INS6_11hip_rocprim26transform_input_iterator_tIbNSD_35transform_pair_of_input_iterators_tIbNS6_6detail15normal_iteratorINS6_10device_ptrIKtEEEESL_NS6_8equal_toItEEEENSG_9not_fun_tINSD_8identityEEEEENSD_19counting_iterator_tIlEES8_S8_S8_S8_S8_S8_S8_S8_EEEEPS9_S9_NSD_9__find_if7functorIS9_EEEE10hipError_tPvRmT1_T2_T3_mT4_P12ihipStream_tbEUlT_E0_NS1_11comp_targetILNS1_3genE4ELNS1_11target_archE910ELNS1_3gpuE8ELNS1_3repE0EEENS1_30default_config_static_selectorELNS0_4arch9wavefront6targetE0EEEvS14_,comdat
.Lfunc_end503:
	.size	_ZN7rocprim17ROCPRIM_400000_NS6detail17trampoline_kernelINS0_14default_configENS1_22reduce_config_selectorIN6thrust23THRUST_200600_302600_NS5tupleIblNS6_9null_typeES8_S8_S8_S8_S8_S8_S8_EEEEZNS1_11reduce_implILb1ES3_NS6_12zip_iteratorINS7_INS6_11hip_rocprim26transform_input_iterator_tIbNSD_35transform_pair_of_input_iterators_tIbNS6_6detail15normal_iteratorINS6_10device_ptrIKtEEEESL_NS6_8equal_toItEEEENSG_9not_fun_tINSD_8identityEEEEENSD_19counting_iterator_tIlEES8_S8_S8_S8_S8_S8_S8_S8_EEEEPS9_S9_NSD_9__find_if7functorIS9_EEEE10hipError_tPvRmT1_T2_T3_mT4_P12ihipStream_tbEUlT_E0_NS1_11comp_targetILNS1_3genE4ELNS1_11target_archE910ELNS1_3gpuE8ELNS1_3repE0EEENS1_30default_config_static_selectorELNS0_4arch9wavefront6targetE0EEEvS14_, .Lfunc_end503-_ZN7rocprim17ROCPRIM_400000_NS6detail17trampoline_kernelINS0_14default_configENS1_22reduce_config_selectorIN6thrust23THRUST_200600_302600_NS5tupleIblNS6_9null_typeES8_S8_S8_S8_S8_S8_S8_EEEEZNS1_11reduce_implILb1ES3_NS6_12zip_iteratorINS7_INS6_11hip_rocprim26transform_input_iterator_tIbNSD_35transform_pair_of_input_iterators_tIbNS6_6detail15normal_iteratorINS6_10device_ptrIKtEEEESL_NS6_8equal_toItEEEENSG_9not_fun_tINSD_8identityEEEEENSD_19counting_iterator_tIlEES8_S8_S8_S8_S8_S8_S8_S8_EEEEPS9_S9_NSD_9__find_if7functorIS9_EEEE10hipError_tPvRmT1_T2_T3_mT4_P12ihipStream_tbEUlT_E0_NS1_11comp_targetILNS1_3genE4ELNS1_11target_archE910ELNS1_3gpuE8ELNS1_3repE0EEENS1_30default_config_static_selectorELNS0_4arch9wavefront6targetE0EEEvS14_
                                        ; -- End function
	.section	.AMDGPU.csdata,"",@progbits
; Kernel info:
; codeLenInByte = 0
; NumSgprs: 0
; NumVgprs: 0
; ScratchSize: 0
; MemoryBound: 0
; FloatMode: 240
; IeeeMode: 1
; LDSByteSize: 0 bytes/workgroup (compile time only)
; SGPRBlocks: 0
; VGPRBlocks: 0
; NumSGPRsForWavesPerEU: 1
; NumVGPRsForWavesPerEU: 1
; Occupancy: 16
; WaveLimiterHint : 0
; COMPUTE_PGM_RSRC2:SCRATCH_EN: 0
; COMPUTE_PGM_RSRC2:USER_SGPR: 15
; COMPUTE_PGM_RSRC2:TRAP_HANDLER: 0
; COMPUTE_PGM_RSRC2:TGID_X_EN: 1
; COMPUTE_PGM_RSRC2:TGID_Y_EN: 0
; COMPUTE_PGM_RSRC2:TGID_Z_EN: 0
; COMPUTE_PGM_RSRC2:TIDIG_COMP_CNT: 0
	.section	.text._ZN7rocprim17ROCPRIM_400000_NS6detail17trampoline_kernelINS0_14default_configENS1_22reduce_config_selectorIN6thrust23THRUST_200600_302600_NS5tupleIblNS6_9null_typeES8_S8_S8_S8_S8_S8_S8_EEEEZNS1_11reduce_implILb1ES3_NS6_12zip_iteratorINS7_INS6_11hip_rocprim26transform_input_iterator_tIbNSD_35transform_pair_of_input_iterators_tIbNS6_6detail15normal_iteratorINS6_10device_ptrIKtEEEESL_NS6_8equal_toItEEEENSG_9not_fun_tINSD_8identityEEEEENSD_19counting_iterator_tIlEES8_S8_S8_S8_S8_S8_S8_S8_EEEEPS9_S9_NSD_9__find_if7functorIS9_EEEE10hipError_tPvRmT1_T2_T3_mT4_P12ihipStream_tbEUlT_E0_NS1_11comp_targetILNS1_3genE3ELNS1_11target_archE908ELNS1_3gpuE7ELNS1_3repE0EEENS1_30default_config_static_selectorELNS0_4arch9wavefront6targetE0EEEvS14_,"axG",@progbits,_ZN7rocprim17ROCPRIM_400000_NS6detail17trampoline_kernelINS0_14default_configENS1_22reduce_config_selectorIN6thrust23THRUST_200600_302600_NS5tupleIblNS6_9null_typeES8_S8_S8_S8_S8_S8_S8_EEEEZNS1_11reduce_implILb1ES3_NS6_12zip_iteratorINS7_INS6_11hip_rocprim26transform_input_iterator_tIbNSD_35transform_pair_of_input_iterators_tIbNS6_6detail15normal_iteratorINS6_10device_ptrIKtEEEESL_NS6_8equal_toItEEEENSG_9not_fun_tINSD_8identityEEEEENSD_19counting_iterator_tIlEES8_S8_S8_S8_S8_S8_S8_S8_EEEEPS9_S9_NSD_9__find_if7functorIS9_EEEE10hipError_tPvRmT1_T2_T3_mT4_P12ihipStream_tbEUlT_E0_NS1_11comp_targetILNS1_3genE3ELNS1_11target_archE908ELNS1_3gpuE7ELNS1_3repE0EEENS1_30default_config_static_selectorELNS0_4arch9wavefront6targetE0EEEvS14_,comdat
	.protected	_ZN7rocprim17ROCPRIM_400000_NS6detail17trampoline_kernelINS0_14default_configENS1_22reduce_config_selectorIN6thrust23THRUST_200600_302600_NS5tupleIblNS6_9null_typeES8_S8_S8_S8_S8_S8_S8_EEEEZNS1_11reduce_implILb1ES3_NS6_12zip_iteratorINS7_INS6_11hip_rocprim26transform_input_iterator_tIbNSD_35transform_pair_of_input_iterators_tIbNS6_6detail15normal_iteratorINS6_10device_ptrIKtEEEESL_NS6_8equal_toItEEEENSG_9not_fun_tINSD_8identityEEEEENSD_19counting_iterator_tIlEES8_S8_S8_S8_S8_S8_S8_S8_EEEEPS9_S9_NSD_9__find_if7functorIS9_EEEE10hipError_tPvRmT1_T2_T3_mT4_P12ihipStream_tbEUlT_E0_NS1_11comp_targetILNS1_3genE3ELNS1_11target_archE908ELNS1_3gpuE7ELNS1_3repE0EEENS1_30default_config_static_selectorELNS0_4arch9wavefront6targetE0EEEvS14_ ; -- Begin function _ZN7rocprim17ROCPRIM_400000_NS6detail17trampoline_kernelINS0_14default_configENS1_22reduce_config_selectorIN6thrust23THRUST_200600_302600_NS5tupleIblNS6_9null_typeES8_S8_S8_S8_S8_S8_S8_EEEEZNS1_11reduce_implILb1ES3_NS6_12zip_iteratorINS7_INS6_11hip_rocprim26transform_input_iterator_tIbNSD_35transform_pair_of_input_iterators_tIbNS6_6detail15normal_iteratorINS6_10device_ptrIKtEEEESL_NS6_8equal_toItEEEENSG_9not_fun_tINSD_8identityEEEEENSD_19counting_iterator_tIlEES8_S8_S8_S8_S8_S8_S8_S8_EEEEPS9_S9_NSD_9__find_if7functorIS9_EEEE10hipError_tPvRmT1_T2_T3_mT4_P12ihipStream_tbEUlT_E0_NS1_11comp_targetILNS1_3genE3ELNS1_11target_archE908ELNS1_3gpuE7ELNS1_3repE0EEENS1_30default_config_static_selectorELNS0_4arch9wavefront6targetE0EEEvS14_
	.globl	_ZN7rocprim17ROCPRIM_400000_NS6detail17trampoline_kernelINS0_14default_configENS1_22reduce_config_selectorIN6thrust23THRUST_200600_302600_NS5tupleIblNS6_9null_typeES8_S8_S8_S8_S8_S8_S8_EEEEZNS1_11reduce_implILb1ES3_NS6_12zip_iteratorINS7_INS6_11hip_rocprim26transform_input_iterator_tIbNSD_35transform_pair_of_input_iterators_tIbNS6_6detail15normal_iteratorINS6_10device_ptrIKtEEEESL_NS6_8equal_toItEEEENSG_9not_fun_tINSD_8identityEEEEENSD_19counting_iterator_tIlEES8_S8_S8_S8_S8_S8_S8_S8_EEEEPS9_S9_NSD_9__find_if7functorIS9_EEEE10hipError_tPvRmT1_T2_T3_mT4_P12ihipStream_tbEUlT_E0_NS1_11comp_targetILNS1_3genE3ELNS1_11target_archE908ELNS1_3gpuE7ELNS1_3repE0EEENS1_30default_config_static_selectorELNS0_4arch9wavefront6targetE0EEEvS14_
	.p2align	8
	.type	_ZN7rocprim17ROCPRIM_400000_NS6detail17trampoline_kernelINS0_14default_configENS1_22reduce_config_selectorIN6thrust23THRUST_200600_302600_NS5tupleIblNS6_9null_typeES8_S8_S8_S8_S8_S8_S8_EEEEZNS1_11reduce_implILb1ES3_NS6_12zip_iteratorINS7_INS6_11hip_rocprim26transform_input_iterator_tIbNSD_35transform_pair_of_input_iterators_tIbNS6_6detail15normal_iteratorINS6_10device_ptrIKtEEEESL_NS6_8equal_toItEEEENSG_9not_fun_tINSD_8identityEEEEENSD_19counting_iterator_tIlEES8_S8_S8_S8_S8_S8_S8_S8_EEEEPS9_S9_NSD_9__find_if7functorIS9_EEEE10hipError_tPvRmT1_T2_T3_mT4_P12ihipStream_tbEUlT_E0_NS1_11comp_targetILNS1_3genE3ELNS1_11target_archE908ELNS1_3gpuE7ELNS1_3repE0EEENS1_30default_config_static_selectorELNS0_4arch9wavefront6targetE0EEEvS14_,@function
_ZN7rocprim17ROCPRIM_400000_NS6detail17trampoline_kernelINS0_14default_configENS1_22reduce_config_selectorIN6thrust23THRUST_200600_302600_NS5tupleIblNS6_9null_typeES8_S8_S8_S8_S8_S8_S8_EEEEZNS1_11reduce_implILb1ES3_NS6_12zip_iteratorINS7_INS6_11hip_rocprim26transform_input_iterator_tIbNSD_35transform_pair_of_input_iterators_tIbNS6_6detail15normal_iteratorINS6_10device_ptrIKtEEEESL_NS6_8equal_toItEEEENSG_9not_fun_tINSD_8identityEEEEENSD_19counting_iterator_tIlEES8_S8_S8_S8_S8_S8_S8_S8_EEEEPS9_S9_NSD_9__find_if7functorIS9_EEEE10hipError_tPvRmT1_T2_T3_mT4_P12ihipStream_tbEUlT_E0_NS1_11comp_targetILNS1_3genE3ELNS1_11target_archE908ELNS1_3gpuE7ELNS1_3repE0EEENS1_30default_config_static_selectorELNS0_4arch9wavefront6targetE0EEEvS14_: ; @_ZN7rocprim17ROCPRIM_400000_NS6detail17trampoline_kernelINS0_14default_configENS1_22reduce_config_selectorIN6thrust23THRUST_200600_302600_NS5tupleIblNS6_9null_typeES8_S8_S8_S8_S8_S8_S8_EEEEZNS1_11reduce_implILb1ES3_NS6_12zip_iteratorINS7_INS6_11hip_rocprim26transform_input_iterator_tIbNSD_35transform_pair_of_input_iterators_tIbNS6_6detail15normal_iteratorINS6_10device_ptrIKtEEEESL_NS6_8equal_toItEEEENSG_9not_fun_tINSD_8identityEEEEENSD_19counting_iterator_tIlEES8_S8_S8_S8_S8_S8_S8_S8_EEEEPS9_S9_NSD_9__find_if7functorIS9_EEEE10hipError_tPvRmT1_T2_T3_mT4_P12ihipStream_tbEUlT_E0_NS1_11comp_targetILNS1_3genE3ELNS1_11target_archE908ELNS1_3gpuE7ELNS1_3repE0EEENS1_30default_config_static_selectorELNS0_4arch9wavefront6targetE0EEEvS14_
; %bb.0:
	.section	.rodata,"a",@progbits
	.p2align	6, 0x0
	.amdhsa_kernel _ZN7rocprim17ROCPRIM_400000_NS6detail17trampoline_kernelINS0_14default_configENS1_22reduce_config_selectorIN6thrust23THRUST_200600_302600_NS5tupleIblNS6_9null_typeES8_S8_S8_S8_S8_S8_S8_EEEEZNS1_11reduce_implILb1ES3_NS6_12zip_iteratorINS7_INS6_11hip_rocprim26transform_input_iterator_tIbNSD_35transform_pair_of_input_iterators_tIbNS6_6detail15normal_iteratorINS6_10device_ptrIKtEEEESL_NS6_8equal_toItEEEENSG_9not_fun_tINSD_8identityEEEEENSD_19counting_iterator_tIlEES8_S8_S8_S8_S8_S8_S8_S8_EEEEPS9_S9_NSD_9__find_if7functorIS9_EEEE10hipError_tPvRmT1_T2_T3_mT4_P12ihipStream_tbEUlT_E0_NS1_11comp_targetILNS1_3genE3ELNS1_11target_archE908ELNS1_3gpuE7ELNS1_3repE0EEENS1_30default_config_static_selectorELNS0_4arch9wavefront6targetE0EEEvS14_
		.amdhsa_group_segment_fixed_size 0
		.amdhsa_private_segment_fixed_size 0
		.amdhsa_kernarg_size 104
		.amdhsa_user_sgpr_count 15
		.amdhsa_user_sgpr_dispatch_ptr 0
		.amdhsa_user_sgpr_queue_ptr 0
		.amdhsa_user_sgpr_kernarg_segment_ptr 1
		.amdhsa_user_sgpr_dispatch_id 0
		.amdhsa_user_sgpr_private_segment_size 0
		.amdhsa_wavefront_size32 1
		.amdhsa_uses_dynamic_stack 0
		.amdhsa_enable_private_segment 0
		.amdhsa_system_sgpr_workgroup_id_x 1
		.amdhsa_system_sgpr_workgroup_id_y 0
		.amdhsa_system_sgpr_workgroup_id_z 0
		.amdhsa_system_sgpr_workgroup_info 0
		.amdhsa_system_vgpr_workitem_id 0
		.amdhsa_next_free_vgpr 1
		.amdhsa_next_free_sgpr 1
		.amdhsa_reserve_vcc 0
		.amdhsa_float_round_mode_32 0
		.amdhsa_float_round_mode_16_64 0
		.amdhsa_float_denorm_mode_32 3
		.amdhsa_float_denorm_mode_16_64 3
		.amdhsa_dx10_clamp 1
		.amdhsa_ieee_mode 1
		.amdhsa_fp16_overflow 0
		.amdhsa_workgroup_processor_mode 1
		.amdhsa_memory_ordered 1
		.amdhsa_forward_progress 0
		.amdhsa_shared_vgpr_count 0
		.amdhsa_exception_fp_ieee_invalid_op 0
		.amdhsa_exception_fp_denorm_src 0
		.amdhsa_exception_fp_ieee_div_zero 0
		.amdhsa_exception_fp_ieee_overflow 0
		.amdhsa_exception_fp_ieee_underflow 0
		.amdhsa_exception_fp_ieee_inexact 0
		.amdhsa_exception_int_div_zero 0
	.end_amdhsa_kernel
	.section	.text._ZN7rocprim17ROCPRIM_400000_NS6detail17trampoline_kernelINS0_14default_configENS1_22reduce_config_selectorIN6thrust23THRUST_200600_302600_NS5tupleIblNS6_9null_typeES8_S8_S8_S8_S8_S8_S8_EEEEZNS1_11reduce_implILb1ES3_NS6_12zip_iteratorINS7_INS6_11hip_rocprim26transform_input_iterator_tIbNSD_35transform_pair_of_input_iterators_tIbNS6_6detail15normal_iteratorINS6_10device_ptrIKtEEEESL_NS6_8equal_toItEEEENSG_9not_fun_tINSD_8identityEEEEENSD_19counting_iterator_tIlEES8_S8_S8_S8_S8_S8_S8_S8_EEEEPS9_S9_NSD_9__find_if7functorIS9_EEEE10hipError_tPvRmT1_T2_T3_mT4_P12ihipStream_tbEUlT_E0_NS1_11comp_targetILNS1_3genE3ELNS1_11target_archE908ELNS1_3gpuE7ELNS1_3repE0EEENS1_30default_config_static_selectorELNS0_4arch9wavefront6targetE0EEEvS14_,"axG",@progbits,_ZN7rocprim17ROCPRIM_400000_NS6detail17trampoline_kernelINS0_14default_configENS1_22reduce_config_selectorIN6thrust23THRUST_200600_302600_NS5tupleIblNS6_9null_typeES8_S8_S8_S8_S8_S8_S8_EEEEZNS1_11reduce_implILb1ES3_NS6_12zip_iteratorINS7_INS6_11hip_rocprim26transform_input_iterator_tIbNSD_35transform_pair_of_input_iterators_tIbNS6_6detail15normal_iteratorINS6_10device_ptrIKtEEEESL_NS6_8equal_toItEEEENSG_9not_fun_tINSD_8identityEEEEENSD_19counting_iterator_tIlEES8_S8_S8_S8_S8_S8_S8_S8_EEEEPS9_S9_NSD_9__find_if7functorIS9_EEEE10hipError_tPvRmT1_T2_T3_mT4_P12ihipStream_tbEUlT_E0_NS1_11comp_targetILNS1_3genE3ELNS1_11target_archE908ELNS1_3gpuE7ELNS1_3repE0EEENS1_30default_config_static_selectorELNS0_4arch9wavefront6targetE0EEEvS14_,comdat
.Lfunc_end504:
	.size	_ZN7rocprim17ROCPRIM_400000_NS6detail17trampoline_kernelINS0_14default_configENS1_22reduce_config_selectorIN6thrust23THRUST_200600_302600_NS5tupleIblNS6_9null_typeES8_S8_S8_S8_S8_S8_S8_EEEEZNS1_11reduce_implILb1ES3_NS6_12zip_iteratorINS7_INS6_11hip_rocprim26transform_input_iterator_tIbNSD_35transform_pair_of_input_iterators_tIbNS6_6detail15normal_iteratorINS6_10device_ptrIKtEEEESL_NS6_8equal_toItEEEENSG_9not_fun_tINSD_8identityEEEEENSD_19counting_iterator_tIlEES8_S8_S8_S8_S8_S8_S8_S8_EEEEPS9_S9_NSD_9__find_if7functorIS9_EEEE10hipError_tPvRmT1_T2_T3_mT4_P12ihipStream_tbEUlT_E0_NS1_11comp_targetILNS1_3genE3ELNS1_11target_archE908ELNS1_3gpuE7ELNS1_3repE0EEENS1_30default_config_static_selectorELNS0_4arch9wavefront6targetE0EEEvS14_, .Lfunc_end504-_ZN7rocprim17ROCPRIM_400000_NS6detail17trampoline_kernelINS0_14default_configENS1_22reduce_config_selectorIN6thrust23THRUST_200600_302600_NS5tupleIblNS6_9null_typeES8_S8_S8_S8_S8_S8_S8_EEEEZNS1_11reduce_implILb1ES3_NS6_12zip_iteratorINS7_INS6_11hip_rocprim26transform_input_iterator_tIbNSD_35transform_pair_of_input_iterators_tIbNS6_6detail15normal_iteratorINS6_10device_ptrIKtEEEESL_NS6_8equal_toItEEEENSG_9not_fun_tINSD_8identityEEEEENSD_19counting_iterator_tIlEES8_S8_S8_S8_S8_S8_S8_S8_EEEEPS9_S9_NSD_9__find_if7functorIS9_EEEE10hipError_tPvRmT1_T2_T3_mT4_P12ihipStream_tbEUlT_E0_NS1_11comp_targetILNS1_3genE3ELNS1_11target_archE908ELNS1_3gpuE7ELNS1_3repE0EEENS1_30default_config_static_selectorELNS0_4arch9wavefront6targetE0EEEvS14_
                                        ; -- End function
	.section	.AMDGPU.csdata,"",@progbits
; Kernel info:
; codeLenInByte = 0
; NumSgprs: 0
; NumVgprs: 0
; ScratchSize: 0
; MemoryBound: 0
; FloatMode: 240
; IeeeMode: 1
; LDSByteSize: 0 bytes/workgroup (compile time only)
; SGPRBlocks: 0
; VGPRBlocks: 0
; NumSGPRsForWavesPerEU: 1
; NumVGPRsForWavesPerEU: 1
; Occupancy: 16
; WaveLimiterHint : 0
; COMPUTE_PGM_RSRC2:SCRATCH_EN: 0
; COMPUTE_PGM_RSRC2:USER_SGPR: 15
; COMPUTE_PGM_RSRC2:TRAP_HANDLER: 0
; COMPUTE_PGM_RSRC2:TGID_X_EN: 1
; COMPUTE_PGM_RSRC2:TGID_Y_EN: 0
; COMPUTE_PGM_RSRC2:TGID_Z_EN: 0
; COMPUTE_PGM_RSRC2:TIDIG_COMP_CNT: 0
	.section	.text._ZN7rocprim17ROCPRIM_400000_NS6detail17trampoline_kernelINS0_14default_configENS1_22reduce_config_selectorIN6thrust23THRUST_200600_302600_NS5tupleIblNS6_9null_typeES8_S8_S8_S8_S8_S8_S8_EEEEZNS1_11reduce_implILb1ES3_NS6_12zip_iteratorINS7_INS6_11hip_rocprim26transform_input_iterator_tIbNSD_35transform_pair_of_input_iterators_tIbNS6_6detail15normal_iteratorINS6_10device_ptrIKtEEEESL_NS6_8equal_toItEEEENSG_9not_fun_tINSD_8identityEEEEENSD_19counting_iterator_tIlEES8_S8_S8_S8_S8_S8_S8_S8_EEEEPS9_S9_NSD_9__find_if7functorIS9_EEEE10hipError_tPvRmT1_T2_T3_mT4_P12ihipStream_tbEUlT_E0_NS1_11comp_targetILNS1_3genE2ELNS1_11target_archE906ELNS1_3gpuE6ELNS1_3repE0EEENS1_30default_config_static_selectorELNS0_4arch9wavefront6targetE0EEEvS14_,"axG",@progbits,_ZN7rocprim17ROCPRIM_400000_NS6detail17trampoline_kernelINS0_14default_configENS1_22reduce_config_selectorIN6thrust23THRUST_200600_302600_NS5tupleIblNS6_9null_typeES8_S8_S8_S8_S8_S8_S8_EEEEZNS1_11reduce_implILb1ES3_NS6_12zip_iteratorINS7_INS6_11hip_rocprim26transform_input_iterator_tIbNSD_35transform_pair_of_input_iterators_tIbNS6_6detail15normal_iteratorINS6_10device_ptrIKtEEEESL_NS6_8equal_toItEEEENSG_9not_fun_tINSD_8identityEEEEENSD_19counting_iterator_tIlEES8_S8_S8_S8_S8_S8_S8_S8_EEEEPS9_S9_NSD_9__find_if7functorIS9_EEEE10hipError_tPvRmT1_T2_T3_mT4_P12ihipStream_tbEUlT_E0_NS1_11comp_targetILNS1_3genE2ELNS1_11target_archE906ELNS1_3gpuE6ELNS1_3repE0EEENS1_30default_config_static_selectorELNS0_4arch9wavefront6targetE0EEEvS14_,comdat
	.protected	_ZN7rocprim17ROCPRIM_400000_NS6detail17trampoline_kernelINS0_14default_configENS1_22reduce_config_selectorIN6thrust23THRUST_200600_302600_NS5tupleIblNS6_9null_typeES8_S8_S8_S8_S8_S8_S8_EEEEZNS1_11reduce_implILb1ES3_NS6_12zip_iteratorINS7_INS6_11hip_rocprim26transform_input_iterator_tIbNSD_35transform_pair_of_input_iterators_tIbNS6_6detail15normal_iteratorINS6_10device_ptrIKtEEEESL_NS6_8equal_toItEEEENSG_9not_fun_tINSD_8identityEEEEENSD_19counting_iterator_tIlEES8_S8_S8_S8_S8_S8_S8_S8_EEEEPS9_S9_NSD_9__find_if7functorIS9_EEEE10hipError_tPvRmT1_T2_T3_mT4_P12ihipStream_tbEUlT_E0_NS1_11comp_targetILNS1_3genE2ELNS1_11target_archE906ELNS1_3gpuE6ELNS1_3repE0EEENS1_30default_config_static_selectorELNS0_4arch9wavefront6targetE0EEEvS14_ ; -- Begin function _ZN7rocprim17ROCPRIM_400000_NS6detail17trampoline_kernelINS0_14default_configENS1_22reduce_config_selectorIN6thrust23THRUST_200600_302600_NS5tupleIblNS6_9null_typeES8_S8_S8_S8_S8_S8_S8_EEEEZNS1_11reduce_implILb1ES3_NS6_12zip_iteratorINS7_INS6_11hip_rocprim26transform_input_iterator_tIbNSD_35transform_pair_of_input_iterators_tIbNS6_6detail15normal_iteratorINS6_10device_ptrIKtEEEESL_NS6_8equal_toItEEEENSG_9not_fun_tINSD_8identityEEEEENSD_19counting_iterator_tIlEES8_S8_S8_S8_S8_S8_S8_S8_EEEEPS9_S9_NSD_9__find_if7functorIS9_EEEE10hipError_tPvRmT1_T2_T3_mT4_P12ihipStream_tbEUlT_E0_NS1_11comp_targetILNS1_3genE2ELNS1_11target_archE906ELNS1_3gpuE6ELNS1_3repE0EEENS1_30default_config_static_selectorELNS0_4arch9wavefront6targetE0EEEvS14_
	.globl	_ZN7rocprim17ROCPRIM_400000_NS6detail17trampoline_kernelINS0_14default_configENS1_22reduce_config_selectorIN6thrust23THRUST_200600_302600_NS5tupleIblNS6_9null_typeES8_S8_S8_S8_S8_S8_S8_EEEEZNS1_11reduce_implILb1ES3_NS6_12zip_iteratorINS7_INS6_11hip_rocprim26transform_input_iterator_tIbNSD_35transform_pair_of_input_iterators_tIbNS6_6detail15normal_iteratorINS6_10device_ptrIKtEEEESL_NS6_8equal_toItEEEENSG_9not_fun_tINSD_8identityEEEEENSD_19counting_iterator_tIlEES8_S8_S8_S8_S8_S8_S8_S8_EEEEPS9_S9_NSD_9__find_if7functorIS9_EEEE10hipError_tPvRmT1_T2_T3_mT4_P12ihipStream_tbEUlT_E0_NS1_11comp_targetILNS1_3genE2ELNS1_11target_archE906ELNS1_3gpuE6ELNS1_3repE0EEENS1_30default_config_static_selectorELNS0_4arch9wavefront6targetE0EEEvS14_
	.p2align	8
	.type	_ZN7rocprim17ROCPRIM_400000_NS6detail17trampoline_kernelINS0_14default_configENS1_22reduce_config_selectorIN6thrust23THRUST_200600_302600_NS5tupleIblNS6_9null_typeES8_S8_S8_S8_S8_S8_S8_EEEEZNS1_11reduce_implILb1ES3_NS6_12zip_iteratorINS7_INS6_11hip_rocprim26transform_input_iterator_tIbNSD_35transform_pair_of_input_iterators_tIbNS6_6detail15normal_iteratorINS6_10device_ptrIKtEEEESL_NS6_8equal_toItEEEENSG_9not_fun_tINSD_8identityEEEEENSD_19counting_iterator_tIlEES8_S8_S8_S8_S8_S8_S8_S8_EEEEPS9_S9_NSD_9__find_if7functorIS9_EEEE10hipError_tPvRmT1_T2_T3_mT4_P12ihipStream_tbEUlT_E0_NS1_11comp_targetILNS1_3genE2ELNS1_11target_archE906ELNS1_3gpuE6ELNS1_3repE0EEENS1_30default_config_static_selectorELNS0_4arch9wavefront6targetE0EEEvS14_,@function
_ZN7rocprim17ROCPRIM_400000_NS6detail17trampoline_kernelINS0_14default_configENS1_22reduce_config_selectorIN6thrust23THRUST_200600_302600_NS5tupleIblNS6_9null_typeES8_S8_S8_S8_S8_S8_S8_EEEEZNS1_11reduce_implILb1ES3_NS6_12zip_iteratorINS7_INS6_11hip_rocprim26transform_input_iterator_tIbNSD_35transform_pair_of_input_iterators_tIbNS6_6detail15normal_iteratorINS6_10device_ptrIKtEEEESL_NS6_8equal_toItEEEENSG_9not_fun_tINSD_8identityEEEEENSD_19counting_iterator_tIlEES8_S8_S8_S8_S8_S8_S8_S8_EEEEPS9_S9_NSD_9__find_if7functorIS9_EEEE10hipError_tPvRmT1_T2_T3_mT4_P12ihipStream_tbEUlT_E0_NS1_11comp_targetILNS1_3genE2ELNS1_11target_archE906ELNS1_3gpuE6ELNS1_3repE0EEENS1_30default_config_static_selectorELNS0_4arch9wavefront6targetE0EEEvS14_: ; @_ZN7rocprim17ROCPRIM_400000_NS6detail17trampoline_kernelINS0_14default_configENS1_22reduce_config_selectorIN6thrust23THRUST_200600_302600_NS5tupleIblNS6_9null_typeES8_S8_S8_S8_S8_S8_S8_EEEEZNS1_11reduce_implILb1ES3_NS6_12zip_iteratorINS7_INS6_11hip_rocprim26transform_input_iterator_tIbNSD_35transform_pair_of_input_iterators_tIbNS6_6detail15normal_iteratorINS6_10device_ptrIKtEEEESL_NS6_8equal_toItEEEENSG_9not_fun_tINSD_8identityEEEEENSD_19counting_iterator_tIlEES8_S8_S8_S8_S8_S8_S8_S8_EEEEPS9_S9_NSD_9__find_if7functorIS9_EEEE10hipError_tPvRmT1_T2_T3_mT4_P12ihipStream_tbEUlT_E0_NS1_11comp_targetILNS1_3genE2ELNS1_11target_archE906ELNS1_3gpuE6ELNS1_3repE0EEENS1_30default_config_static_selectorELNS0_4arch9wavefront6targetE0EEEvS14_
; %bb.0:
	.section	.rodata,"a",@progbits
	.p2align	6, 0x0
	.amdhsa_kernel _ZN7rocprim17ROCPRIM_400000_NS6detail17trampoline_kernelINS0_14default_configENS1_22reduce_config_selectorIN6thrust23THRUST_200600_302600_NS5tupleIblNS6_9null_typeES8_S8_S8_S8_S8_S8_S8_EEEEZNS1_11reduce_implILb1ES3_NS6_12zip_iteratorINS7_INS6_11hip_rocprim26transform_input_iterator_tIbNSD_35transform_pair_of_input_iterators_tIbNS6_6detail15normal_iteratorINS6_10device_ptrIKtEEEESL_NS6_8equal_toItEEEENSG_9not_fun_tINSD_8identityEEEEENSD_19counting_iterator_tIlEES8_S8_S8_S8_S8_S8_S8_S8_EEEEPS9_S9_NSD_9__find_if7functorIS9_EEEE10hipError_tPvRmT1_T2_T3_mT4_P12ihipStream_tbEUlT_E0_NS1_11comp_targetILNS1_3genE2ELNS1_11target_archE906ELNS1_3gpuE6ELNS1_3repE0EEENS1_30default_config_static_selectorELNS0_4arch9wavefront6targetE0EEEvS14_
		.amdhsa_group_segment_fixed_size 0
		.amdhsa_private_segment_fixed_size 0
		.amdhsa_kernarg_size 104
		.amdhsa_user_sgpr_count 15
		.amdhsa_user_sgpr_dispatch_ptr 0
		.amdhsa_user_sgpr_queue_ptr 0
		.amdhsa_user_sgpr_kernarg_segment_ptr 1
		.amdhsa_user_sgpr_dispatch_id 0
		.amdhsa_user_sgpr_private_segment_size 0
		.amdhsa_wavefront_size32 1
		.amdhsa_uses_dynamic_stack 0
		.amdhsa_enable_private_segment 0
		.amdhsa_system_sgpr_workgroup_id_x 1
		.amdhsa_system_sgpr_workgroup_id_y 0
		.amdhsa_system_sgpr_workgroup_id_z 0
		.amdhsa_system_sgpr_workgroup_info 0
		.amdhsa_system_vgpr_workitem_id 0
		.amdhsa_next_free_vgpr 1
		.amdhsa_next_free_sgpr 1
		.amdhsa_reserve_vcc 0
		.amdhsa_float_round_mode_32 0
		.amdhsa_float_round_mode_16_64 0
		.amdhsa_float_denorm_mode_32 3
		.amdhsa_float_denorm_mode_16_64 3
		.amdhsa_dx10_clamp 1
		.amdhsa_ieee_mode 1
		.amdhsa_fp16_overflow 0
		.amdhsa_workgroup_processor_mode 1
		.amdhsa_memory_ordered 1
		.amdhsa_forward_progress 0
		.amdhsa_shared_vgpr_count 0
		.amdhsa_exception_fp_ieee_invalid_op 0
		.amdhsa_exception_fp_denorm_src 0
		.amdhsa_exception_fp_ieee_div_zero 0
		.amdhsa_exception_fp_ieee_overflow 0
		.amdhsa_exception_fp_ieee_underflow 0
		.amdhsa_exception_fp_ieee_inexact 0
		.amdhsa_exception_int_div_zero 0
	.end_amdhsa_kernel
	.section	.text._ZN7rocprim17ROCPRIM_400000_NS6detail17trampoline_kernelINS0_14default_configENS1_22reduce_config_selectorIN6thrust23THRUST_200600_302600_NS5tupleIblNS6_9null_typeES8_S8_S8_S8_S8_S8_S8_EEEEZNS1_11reduce_implILb1ES3_NS6_12zip_iteratorINS7_INS6_11hip_rocprim26transform_input_iterator_tIbNSD_35transform_pair_of_input_iterators_tIbNS6_6detail15normal_iteratorINS6_10device_ptrIKtEEEESL_NS6_8equal_toItEEEENSG_9not_fun_tINSD_8identityEEEEENSD_19counting_iterator_tIlEES8_S8_S8_S8_S8_S8_S8_S8_EEEEPS9_S9_NSD_9__find_if7functorIS9_EEEE10hipError_tPvRmT1_T2_T3_mT4_P12ihipStream_tbEUlT_E0_NS1_11comp_targetILNS1_3genE2ELNS1_11target_archE906ELNS1_3gpuE6ELNS1_3repE0EEENS1_30default_config_static_selectorELNS0_4arch9wavefront6targetE0EEEvS14_,"axG",@progbits,_ZN7rocprim17ROCPRIM_400000_NS6detail17trampoline_kernelINS0_14default_configENS1_22reduce_config_selectorIN6thrust23THRUST_200600_302600_NS5tupleIblNS6_9null_typeES8_S8_S8_S8_S8_S8_S8_EEEEZNS1_11reduce_implILb1ES3_NS6_12zip_iteratorINS7_INS6_11hip_rocprim26transform_input_iterator_tIbNSD_35transform_pair_of_input_iterators_tIbNS6_6detail15normal_iteratorINS6_10device_ptrIKtEEEESL_NS6_8equal_toItEEEENSG_9not_fun_tINSD_8identityEEEEENSD_19counting_iterator_tIlEES8_S8_S8_S8_S8_S8_S8_S8_EEEEPS9_S9_NSD_9__find_if7functorIS9_EEEE10hipError_tPvRmT1_T2_T3_mT4_P12ihipStream_tbEUlT_E0_NS1_11comp_targetILNS1_3genE2ELNS1_11target_archE906ELNS1_3gpuE6ELNS1_3repE0EEENS1_30default_config_static_selectorELNS0_4arch9wavefront6targetE0EEEvS14_,comdat
.Lfunc_end505:
	.size	_ZN7rocprim17ROCPRIM_400000_NS6detail17trampoline_kernelINS0_14default_configENS1_22reduce_config_selectorIN6thrust23THRUST_200600_302600_NS5tupleIblNS6_9null_typeES8_S8_S8_S8_S8_S8_S8_EEEEZNS1_11reduce_implILb1ES3_NS6_12zip_iteratorINS7_INS6_11hip_rocprim26transform_input_iterator_tIbNSD_35transform_pair_of_input_iterators_tIbNS6_6detail15normal_iteratorINS6_10device_ptrIKtEEEESL_NS6_8equal_toItEEEENSG_9not_fun_tINSD_8identityEEEEENSD_19counting_iterator_tIlEES8_S8_S8_S8_S8_S8_S8_S8_EEEEPS9_S9_NSD_9__find_if7functorIS9_EEEE10hipError_tPvRmT1_T2_T3_mT4_P12ihipStream_tbEUlT_E0_NS1_11comp_targetILNS1_3genE2ELNS1_11target_archE906ELNS1_3gpuE6ELNS1_3repE0EEENS1_30default_config_static_selectorELNS0_4arch9wavefront6targetE0EEEvS14_, .Lfunc_end505-_ZN7rocprim17ROCPRIM_400000_NS6detail17trampoline_kernelINS0_14default_configENS1_22reduce_config_selectorIN6thrust23THRUST_200600_302600_NS5tupleIblNS6_9null_typeES8_S8_S8_S8_S8_S8_S8_EEEEZNS1_11reduce_implILb1ES3_NS6_12zip_iteratorINS7_INS6_11hip_rocprim26transform_input_iterator_tIbNSD_35transform_pair_of_input_iterators_tIbNS6_6detail15normal_iteratorINS6_10device_ptrIKtEEEESL_NS6_8equal_toItEEEENSG_9not_fun_tINSD_8identityEEEEENSD_19counting_iterator_tIlEES8_S8_S8_S8_S8_S8_S8_S8_EEEEPS9_S9_NSD_9__find_if7functorIS9_EEEE10hipError_tPvRmT1_T2_T3_mT4_P12ihipStream_tbEUlT_E0_NS1_11comp_targetILNS1_3genE2ELNS1_11target_archE906ELNS1_3gpuE6ELNS1_3repE0EEENS1_30default_config_static_selectorELNS0_4arch9wavefront6targetE0EEEvS14_
                                        ; -- End function
	.section	.AMDGPU.csdata,"",@progbits
; Kernel info:
; codeLenInByte = 0
; NumSgprs: 0
; NumVgprs: 0
; ScratchSize: 0
; MemoryBound: 0
; FloatMode: 240
; IeeeMode: 1
; LDSByteSize: 0 bytes/workgroup (compile time only)
; SGPRBlocks: 0
; VGPRBlocks: 0
; NumSGPRsForWavesPerEU: 1
; NumVGPRsForWavesPerEU: 1
; Occupancy: 16
; WaveLimiterHint : 0
; COMPUTE_PGM_RSRC2:SCRATCH_EN: 0
; COMPUTE_PGM_RSRC2:USER_SGPR: 15
; COMPUTE_PGM_RSRC2:TRAP_HANDLER: 0
; COMPUTE_PGM_RSRC2:TGID_X_EN: 1
; COMPUTE_PGM_RSRC2:TGID_Y_EN: 0
; COMPUTE_PGM_RSRC2:TGID_Z_EN: 0
; COMPUTE_PGM_RSRC2:TIDIG_COMP_CNT: 0
	.section	.text._ZN7rocprim17ROCPRIM_400000_NS6detail17trampoline_kernelINS0_14default_configENS1_22reduce_config_selectorIN6thrust23THRUST_200600_302600_NS5tupleIblNS6_9null_typeES8_S8_S8_S8_S8_S8_S8_EEEEZNS1_11reduce_implILb1ES3_NS6_12zip_iteratorINS7_INS6_11hip_rocprim26transform_input_iterator_tIbNSD_35transform_pair_of_input_iterators_tIbNS6_6detail15normal_iteratorINS6_10device_ptrIKtEEEESL_NS6_8equal_toItEEEENSG_9not_fun_tINSD_8identityEEEEENSD_19counting_iterator_tIlEES8_S8_S8_S8_S8_S8_S8_S8_EEEEPS9_S9_NSD_9__find_if7functorIS9_EEEE10hipError_tPvRmT1_T2_T3_mT4_P12ihipStream_tbEUlT_E0_NS1_11comp_targetILNS1_3genE10ELNS1_11target_archE1201ELNS1_3gpuE5ELNS1_3repE0EEENS1_30default_config_static_selectorELNS0_4arch9wavefront6targetE0EEEvS14_,"axG",@progbits,_ZN7rocprim17ROCPRIM_400000_NS6detail17trampoline_kernelINS0_14default_configENS1_22reduce_config_selectorIN6thrust23THRUST_200600_302600_NS5tupleIblNS6_9null_typeES8_S8_S8_S8_S8_S8_S8_EEEEZNS1_11reduce_implILb1ES3_NS6_12zip_iteratorINS7_INS6_11hip_rocprim26transform_input_iterator_tIbNSD_35transform_pair_of_input_iterators_tIbNS6_6detail15normal_iteratorINS6_10device_ptrIKtEEEESL_NS6_8equal_toItEEEENSG_9not_fun_tINSD_8identityEEEEENSD_19counting_iterator_tIlEES8_S8_S8_S8_S8_S8_S8_S8_EEEEPS9_S9_NSD_9__find_if7functorIS9_EEEE10hipError_tPvRmT1_T2_T3_mT4_P12ihipStream_tbEUlT_E0_NS1_11comp_targetILNS1_3genE10ELNS1_11target_archE1201ELNS1_3gpuE5ELNS1_3repE0EEENS1_30default_config_static_selectorELNS0_4arch9wavefront6targetE0EEEvS14_,comdat
	.protected	_ZN7rocprim17ROCPRIM_400000_NS6detail17trampoline_kernelINS0_14default_configENS1_22reduce_config_selectorIN6thrust23THRUST_200600_302600_NS5tupleIblNS6_9null_typeES8_S8_S8_S8_S8_S8_S8_EEEEZNS1_11reduce_implILb1ES3_NS6_12zip_iteratorINS7_INS6_11hip_rocprim26transform_input_iterator_tIbNSD_35transform_pair_of_input_iterators_tIbNS6_6detail15normal_iteratorINS6_10device_ptrIKtEEEESL_NS6_8equal_toItEEEENSG_9not_fun_tINSD_8identityEEEEENSD_19counting_iterator_tIlEES8_S8_S8_S8_S8_S8_S8_S8_EEEEPS9_S9_NSD_9__find_if7functorIS9_EEEE10hipError_tPvRmT1_T2_T3_mT4_P12ihipStream_tbEUlT_E0_NS1_11comp_targetILNS1_3genE10ELNS1_11target_archE1201ELNS1_3gpuE5ELNS1_3repE0EEENS1_30default_config_static_selectorELNS0_4arch9wavefront6targetE0EEEvS14_ ; -- Begin function _ZN7rocprim17ROCPRIM_400000_NS6detail17trampoline_kernelINS0_14default_configENS1_22reduce_config_selectorIN6thrust23THRUST_200600_302600_NS5tupleIblNS6_9null_typeES8_S8_S8_S8_S8_S8_S8_EEEEZNS1_11reduce_implILb1ES3_NS6_12zip_iteratorINS7_INS6_11hip_rocprim26transform_input_iterator_tIbNSD_35transform_pair_of_input_iterators_tIbNS6_6detail15normal_iteratorINS6_10device_ptrIKtEEEESL_NS6_8equal_toItEEEENSG_9not_fun_tINSD_8identityEEEEENSD_19counting_iterator_tIlEES8_S8_S8_S8_S8_S8_S8_S8_EEEEPS9_S9_NSD_9__find_if7functorIS9_EEEE10hipError_tPvRmT1_T2_T3_mT4_P12ihipStream_tbEUlT_E0_NS1_11comp_targetILNS1_3genE10ELNS1_11target_archE1201ELNS1_3gpuE5ELNS1_3repE0EEENS1_30default_config_static_selectorELNS0_4arch9wavefront6targetE0EEEvS14_
	.globl	_ZN7rocprim17ROCPRIM_400000_NS6detail17trampoline_kernelINS0_14default_configENS1_22reduce_config_selectorIN6thrust23THRUST_200600_302600_NS5tupleIblNS6_9null_typeES8_S8_S8_S8_S8_S8_S8_EEEEZNS1_11reduce_implILb1ES3_NS6_12zip_iteratorINS7_INS6_11hip_rocprim26transform_input_iterator_tIbNSD_35transform_pair_of_input_iterators_tIbNS6_6detail15normal_iteratorINS6_10device_ptrIKtEEEESL_NS6_8equal_toItEEEENSG_9not_fun_tINSD_8identityEEEEENSD_19counting_iterator_tIlEES8_S8_S8_S8_S8_S8_S8_S8_EEEEPS9_S9_NSD_9__find_if7functorIS9_EEEE10hipError_tPvRmT1_T2_T3_mT4_P12ihipStream_tbEUlT_E0_NS1_11comp_targetILNS1_3genE10ELNS1_11target_archE1201ELNS1_3gpuE5ELNS1_3repE0EEENS1_30default_config_static_selectorELNS0_4arch9wavefront6targetE0EEEvS14_
	.p2align	8
	.type	_ZN7rocprim17ROCPRIM_400000_NS6detail17trampoline_kernelINS0_14default_configENS1_22reduce_config_selectorIN6thrust23THRUST_200600_302600_NS5tupleIblNS6_9null_typeES8_S8_S8_S8_S8_S8_S8_EEEEZNS1_11reduce_implILb1ES3_NS6_12zip_iteratorINS7_INS6_11hip_rocprim26transform_input_iterator_tIbNSD_35transform_pair_of_input_iterators_tIbNS6_6detail15normal_iteratorINS6_10device_ptrIKtEEEESL_NS6_8equal_toItEEEENSG_9not_fun_tINSD_8identityEEEEENSD_19counting_iterator_tIlEES8_S8_S8_S8_S8_S8_S8_S8_EEEEPS9_S9_NSD_9__find_if7functorIS9_EEEE10hipError_tPvRmT1_T2_T3_mT4_P12ihipStream_tbEUlT_E0_NS1_11comp_targetILNS1_3genE10ELNS1_11target_archE1201ELNS1_3gpuE5ELNS1_3repE0EEENS1_30default_config_static_selectorELNS0_4arch9wavefront6targetE0EEEvS14_,@function
_ZN7rocprim17ROCPRIM_400000_NS6detail17trampoline_kernelINS0_14default_configENS1_22reduce_config_selectorIN6thrust23THRUST_200600_302600_NS5tupleIblNS6_9null_typeES8_S8_S8_S8_S8_S8_S8_EEEEZNS1_11reduce_implILb1ES3_NS6_12zip_iteratorINS7_INS6_11hip_rocprim26transform_input_iterator_tIbNSD_35transform_pair_of_input_iterators_tIbNS6_6detail15normal_iteratorINS6_10device_ptrIKtEEEESL_NS6_8equal_toItEEEENSG_9not_fun_tINSD_8identityEEEEENSD_19counting_iterator_tIlEES8_S8_S8_S8_S8_S8_S8_S8_EEEEPS9_S9_NSD_9__find_if7functorIS9_EEEE10hipError_tPvRmT1_T2_T3_mT4_P12ihipStream_tbEUlT_E0_NS1_11comp_targetILNS1_3genE10ELNS1_11target_archE1201ELNS1_3gpuE5ELNS1_3repE0EEENS1_30default_config_static_selectorELNS0_4arch9wavefront6targetE0EEEvS14_: ; @_ZN7rocprim17ROCPRIM_400000_NS6detail17trampoline_kernelINS0_14default_configENS1_22reduce_config_selectorIN6thrust23THRUST_200600_302600_NS5tupleIblNS6_9null_typeES8_S8_S8_S8_S8_S8_S8_EEEEZNS1_11reduce_implILb1ES3_NS6_12zip_iteratorINS7_INS6_11hip_rocprim26transform_input_iterator_tIbNSD_35transform_pair_of_input_iterators_tIbNS6_6detail15normal_iteratorINS6_10device_ptrIKtEEEESL_NS6_8equal_toItEEEENSG_9not_fun_tINSD_8identityEEEEENSD_19counting_iterator_tIlEES8_S8_S8_S8_S8_S8_S8_S8_EEEEPS9_S9_NSD_9__find_if7functorIS9_EEEE10hipError_tPvRmT1_T2_T3_mT4_P12ihipStream_tbEUlT_E0_NS1_11comp_targetILNS1_3genE10ELNS1_11target_archE1201ELNS1_3gpuE5ELNS1_3repE0EEENS1_30default_config_static_selectorELNS0_4arch9wavefront6targetE0EEEvS14_
; %bb.0:
	.section	.rodata,"a",@progbits
	.p2align	6, 0x0
	.amdhsa_kernel _ZN7rocprim17ROCPRIM_400000_NS6detail17trampoline_kernelINS0_14default_configENS1_22reduce_config_selectorIN6thrust23THRUST_200600_302600_NS5tupleIblNS6_9null_typeES8_S8_S8_S8_S8_S8_S8_EEEEZNS1_11reduce_implILb1ES3_NS6_12zip_iteratorINS7_INS6_11hip_rocprim26transform_input_iterator_tIbNSD_35transform_pair_of_input_iterators_tIbNS6_6detail15normal_iteratorINS6_10device_ptrIKtEEEESL_NS6_8equal_toItEEEENSG_9not_fun_tINSD_8identityEEEEENSD_19counting_iterator_tIlEES8_S8_S8_S8_S8_S8_S8_S8_EEEEPS9_S9_NSD_9__find_if7functorIS9_EEEE10hipError_tPvRmT1_T2_T3_mT4_P12ihipStream_tbEUlT_E0_NS1_11comp_targetILNS1_3genE10ELNS1_11target_archE1201ELNS1_3gpuE5ELNS1_3repE0EEENS1_30default_config_static_selectorELNS0_4arch9wavefront6targetE0EEEvS14_
		.amdhsa_group_segment_fixed_size 0
		.amdhsa_private_segment_fixed_size 0
		.amdhsa_kernarg_size 104
		.amdhsa_user_sgpr_count 15
		.amdhsa_user_sgpr_dispatch_ptr 0
		.amdhsa_user_sgpr_queue_ptr 0
		.amdhsa_user_sgpr_kernarg_segment_ptr 1
		.amdhsa_user_sgpr_dispatch_id 0
		.amdhsa_user_sgpr_private_segment_size 0
		.amdhsa_wavefront_size32 1
		.amdhsa_uses_dynamic_stack 0
		.amdhsa_enable_private_segment 0
		.amdhsa_system_sgpr_workgroup_id_x 1
		.amdhsa_system_sgpr_workgroup_id_y 0
		.amdhsa_system_sgpr_workgroup_id_z 0
		.amdhsa_system_sgpr_workgroup_info 0
		.amdhsa_system_vgpr_workitem_id 0
		.amdhsa_next_free_vgpr 1
		.amdhsa_next_free_sgpr 1
		.amdhsa_reserve_vcc 0
		.amdhsa_float_round_mode_32 0
		.amdhsa_float_round_mode_16_64 0
		.amdhsa_float_denorm_mode_32 3
		.amdhsa_float_denorm_mode_16_64 3
		.amdhsa_dx10_clamp 1
		.amdhsa_ieee_mode 1
		.amdhsa_fp16_overflow 0
		.amdhsa_workgroup_processor_mode 1
		.amdhsa_memory_ordered 1
		.amdhsa_forward_progress 0
		.amdhsa_shared_vgpr_count 0
		.amdhsa_exception_fp_ieee_invalid_op 0
		.amdhsa_exception_fp_denorm_src 0
		.amdhsa_exception_fp_ieee_div_zero 0
		.amdhsa_exception_fp_ieee_overflow 0
		.amdhsa_exception_fp_ieee_underflow 0
		.amdhsa_exception_fp_ieee_inexact 0
		.amdhsa_exception_int_div_zero 0
	.end_amdhsa_kernel
	.section	.text._ZN7rocprim17ROCPRIM_400000_NS6detail17trampoline_kernelINS0_14default_configENS1_22reduce_config_selectorIN6thrust23THRUST_200600_302600_NS5tupleIblNS6_9null_typeES8_S8_S8_S8_S8_S8_S8_EEEEZNS1_11reduce_implILb1ES3_NS6_12zip_iteratorINS7_INS6_11hip_rocprim26transform_input_iterator_tIbNSD_35transform_pair_of_input_iterators_tIbNS6_6detail15normal_iteratorINS6_10device_ptrIKtEEEESL_NS6_8equal_toItEEEENSG_9not_fun_tINSD_8identityEEEEENSD_19counting_iterator_tIlEES8_S8_S8_S8_S8_S8_S8_S8_EEEEPS9_S9_NSD_9__find_if7functorIS9_EEEE10hipError_tPvRmT1_T2_T3_mT4_P12ihipStream_tbEUlT_E0_NS1_11comp_targetILNS1_3genE10ELNS1_11target_archE1201ELNS1_3gpuE5ELNS1_3repE0EEENS1_30default_config_static_selectorELNS0_4arch9wavefront6targetE0EEEvS14_,"axG",@progbits,_ZN7rocprim17ROCPRIM_400000_NS6detail17trampoline_kernelINS0_14default_configENS1_22reduce_config_selectorIN6thrust23THRUST_200600_302600_NS5tupleIblNS6_9null_typeES8_S8_S8_S8_S8_S8_S8_EEEEZNS1_11reduce_implILb1ES3_NS6_12zip_iteratorINS7_INS6_11hip_rocprim26transform_input_iterator_tIbNSD_35transform_pair_of_input_iterators_tIbNS6_6detail15normal_iteratorINS6_10device_ptrIKtEEEESL_NS6_8equal_toItEEEENSG_9not_fun_tINSD_8identityEEEEENSD_19counting_iterator_tIlEES8_S8_S8_S8_S8_S8_S8_S8_EEEEPS9_S9_NSD_9__find_if7functorIS9_EEEE10hipError_tPvRmT1_T2_T3_mT4_P12ihipStream_tbEUlT_E0_NS1_11comp_targetILNS1_3genE10ELNS1_11target_archE1201ELNS1_3gpuE5ELNS1_3repE0EEENS1_30default_config_static_selectorELNS0_4arch9wavefront6targetE0EEEvS14_,comdat
.Lfunc_end506:
	.size	_ZN7rocprim17ROCPRIM_400000_NS6detail17trampoline_kernelINS0_14default_configENS1_22reduce_config_selectorIN6thrust23THRUST_200600_302600_NS5tupleIblNS6_9null_typeES8_S8_S8_S8_S8_S8_S8_EEEEZNS1_11reduce_implILb1ES3_NS6_12zip_iteratorINS7_INS6_11hip_rocprim26transform_input_iterator_tIbNSD_35transform_pair_of_input_iterators_tIbNS6_6detail15normal_iteratorINS6_10device_ptrIKtEEEESL_NS6_8equal_toItEEEENSG_9not_fun_tINSD_8identityEEEEENSD_19counting_iterator_tIlEES8_S8_S8_S8_S8_S8_S8_S8_EEEEPS9_S9_NSD_9__find_if7functorIS9_EEEE10hipError_tPvRmT1_T2_T3_mT4_P12ihipStream_tbEUlT_E0_NS1_11comp_targetILNS1_3genE10ELNS1_11target_archE1201ELNS1_3gpuE5ELNS1_3repE0EEENS1_30default_config_static_selectorELNS0_4arch9wavefront6targetE0EEEvS14_, .Lfunc_end506-_ZN7rocprim17ROCPRIM_400000_NS6detail17trampoline_kernelINS0_14default_configENS1_22reduce_config_selectorIN6thrust23THRUST_200600_302600_NS5tupleIblNS6_9null_typeES8_S8_S8_S8_S8_S8_S8_EEEEZNS1_11reduce_implILb1ES3_NS6_12zip_iteratorINS7_INS6_11hip_rocprim26transform_input_iterator_tIbNSD_35transform_pair_of_input_iterators_tIbNS6_6detail15normal_iteratorINS6_10device_ptrIKtEEEESL_NS6_8equal_toItEEEENSG_9not_fun_tINSD_8identityEEEEENSD_19counting_iterator_tIlEES8_S8_S8_S8_S8_S8_S8_S8_EEEEPS9_S9_NSD_9__find_if7functorIS9_EEEE10hipError_tPvRmT1_T2_T3_mT4_P12ihipStream_tbEUlT_E0_NS1_11comp_targetILNS1_3genE10ELNS1_11target_archE1201ELNS1_3gpuE5ELNS1_3repE0EEENS1_30default_config_static_selectorELNS0_4arch9wavefront6targetE0EEEvS14_
                                        ; -- End function
	.section	.AMDGPU.csdata,"",@progbits
; Kernel info:
; codeLenInByte = 0
; NumSgprs: 0
; NumVgprs: 0
; ScratchSize: 0
; MemoryBound: 0
; FloatMode: 240
; IeeeMode: 1
; LDSByteSize: 0 bytes/workgroup (compile time only)
; SGPRBlocks: 0
; VGPRBlocks: 0
; NumSGPRsForWavesPerEU: 1
; NumVGPRsForWavesPerEU: 1
; Occupancy: 16
; WaveLimiterHint : 0
; COMPUTE_PGM_RSRC2:SCRATCH_EN: 0
; COMPUTE_PGM_RSRC2:USER_SGPR: 15
; COMPUTE_PGM_RSRC2:TRAP_HANDLER: 0
; COMPUTE_PGM_RSRC2:TGID_X_EN: 1
; COMPUTE_PGM_RSRC2:TGID_Y_EN: 0
; COMPUTE_PGM_RSRC2:TGID_Z_EN: 0
; COMPUTE_PGM_RSRC2:TIDIG_COMP_CNT: 0
	.section	.text._ZN7rocprim17ROCPRIM_400000_NS6detail17trampoline_kernelINS0_14default_configENS1_22reduce_config_selectorIN6thrust23THRUST_200600_302600_NS5tupleIblNS6_9null_typeES8_S8_S8_S8_S8_S8_S8_EEEEZNS1_11reduce_implILb1ES3_NS6_12zip_iteratorINS7_INS6_11hip_rocprim26transform_input_iterator_tIbNSD_35transform_pair_of_input_iterators_tIbNS6_6detail15normal_iteratorINS6_10device_ptrIKtEEEESL_NS6_8equal_toItEEEENSG_9not_fun_tINSD_8identityEEEEENSD_19counting_iterator_tIlEES8_S8_S8_S8_S8_S8_S8_S8_EEEEPS9_S9_NSD_9__find_if7functorIS9_EEEE10hipError_tPvRmT1_T2_T3_mT4_P12ihipStream_tbEUlT_E0_NS1_11comp_targetILNS1_3genE10ELNS1_11target_archE1200ELNS1_3gpuE4ELNS1_3repE0EEENS1_30default_config_static_selectorELNS0_4arch9wavefront6targetE0EEEvS14_,"axG",@progbits,_ZN7rocprim17ROCPRIM_400000_NS6detail17trampoline_kernelINS0_14default_configENS1_22reduce_config_selectorIN6thrust23THRUST_200600_302600_NS5tupleIblNS6_9null_typeES8_S8_S8_S8_S8_S8_S8_EEEEZNS1_11reduce_implILb1ES3_NS6_12zip_iteratorINS7_INS6_11hip_rocprim26transform_input_iterator_tIbNSD_35transform_pair_of_input_iterators_tIbNS6_6detail15normal_iteratorINS6_10device_ptrIKtEEEESL_NS6_8equal_toItEEEENSG_9not_fun_tINSD_8identityEEEEENSD_19counting_iterator_tIlEES8_S8_S8_S8_S8_S8_S8_S8_EEEEPS9_S9_NSD_9__find_if7functorIS9_EEEE10hipError_tPvRmT1_T2_T3_mT4_P12ihipStream_tbEUlT_E0_NS1_11comp_targetILNS1_3genE10ELNS1_11target_archE1200ELNS1_3gpuE4ELNS1_3repE0EEENS1_30default_config_static_selectorELNS0_4arch9wavefront6targetE0EEEvS14_,comdat
	.protected	_ZN7rocprim17ROCPRIM_400000_NS6detail17trampoline_kernelINS0_14default_configENS1_22reduce_config_selectorIN6thrust23THRUST_200600_302600_NS5tupleIblNS6_9null_typeES8_S8_S8_S8_S8_S8_S8_EEEEZNS1_11reduce_implILb1ES3_NS6_12zip_iteratorINS7_INS6_11hip_rocprim26transform_input_iterator_tIbNSD_35transform_pair_of_input_iterators_tIbNS6_6detail15normal_iteratorINS6_10device_ptrIKtEEEESL_NS6_8equal_toItEEEENSG_9not_fun_tINSD_8identityEEEEENSD_19counting_iterator_tIlEES8_S8_S8_S8_S8_S8_S8_S8_EEEEPS9_S9_NSD_9__find_if7functorIS9_EEEE10hipError_tPvRmT1_T2_T3_mT4_P12ihipStream_tbEUlT_E0_NS1_11comp_targetILNS1_3genE10ELNS1_11target_archE1200ELNS1_3gpuE4ELNS1_3repE0EEENS1_30default_config_static_selectorELNS0_4arch9wavefront6targetE0EEEvS14_ ; -- Begin function _ZN7rocprim17ROCPRIM_400000_NS6detail17trampoline_kernelINS0_14default_configENS1_22reduce_config_selectorIN6thrust23THRUST_200600_302600_NS5tupleIblNS6_9null_typeES8_S8_S8_S8_S8_S8_S8_EEEEZNS1_11reduce_implILb1ES3_NS6_12zip_iteratorINS7_INS6_11hip_rocprim26transform_input_iterator_tIbNSD_35transform_pair_of_input_iterators_tIbNS6_6detail15normal_iteratorINS6_10device_ptrIKtEEEESL_NS6_8equal_toItEEEENSG_9not_fun_tINSD_8identityEEEEENSD_19counting_iterator_tIlEES8_S8_S8_S8_S8_S8_S8_S8_EEEEPS9_S9_NSD_9__find_if7functorIS9_EEEE10hipError_tPvRmT1_T2_T3_mT4_P12ihipStream_tbEUlT_E0_NS1_11comp_targetILNS1_3genE10ELNS1_11target_archE1200ELNS1_3gpuE4ELNS1_3repE0EEENS1_30default_config_static_selectorELNS0_4arch9wavefront6targetE0EEEvS14_
	.globl	_ZN7rocprim17ROCPRIM_400000_NS6detail17trampoline_kernelINS0_14default_configENS1_22reduce_config_selectorIN6thrust23THRUST_200600_302600_NS5tupleIblNS6_9null_typeES8_S8_S8_S8_S8_S8_S8_EEEEZNS1_11reduce_implILb1ES3_NS6_12zip_iteratorINS7_INS6_11hip_rocprim26transform_input_iterator_tIbNSD_35transform_pair_of_input_iterators_tIbNS6_6detail15normal_iteratorINS6_10device_ptrIKtEEEESL_NS6_8equal_toItEEEENSG_9not_fun_tINSD_8identityEEEEENSD_19counting_iterator_tIlEES8_S8_S8_S8_S8_S8_S8_S8_EEEEPS9_S9_NSD_9__find_if7functorIS9_EEEE10hipError_tPvRmT1_T2_T3_mT4_P12ihipStream_tbEUlT_E0_NS1_11comp_targetILNS1_3genE10ELNS1_11target_archE1200ELNS1_3gpuE4ELNS1_3repE0EEENS1_30default_config_static_selectorELNS0_4arch9wavefront6targetE0EEEvS14_
	.p2align	8
	.type	_ZN7rocprim17ROCPRIM_400000_NS6detail17trampoline_kernelINS0_14default_configENS1_22reduce_config_selectorIN6thrust23THRUST_200600_302600_NS5tupleIblNS6_9null_typeES8_S8_S8_S8_S8_S8_S8_EEEEZNS1_11reduce_implILb1ES3_NS6_12zip_iteratorINS7_INS6_11hip_rocprim26transform_input_iterator_tIbNSD_35transform_pair_of_input_iterators_tIbNS6_6detail15normal_iteratorINS6_10device_ptrIKtEEEESL_NS6_8equal_toItEEEENSG_9not_fun_tINSD_8identityEEEEENSD_19counting_iterator_tIlEES8_S8_S8_S8_S8_S8_S8_S8_EEEEPS9_S9_NSD_9__find_if7functorIS9_EEEE10hipError_tPvRmT1_T2_T3_mT4_P12ihipStream_tbEUlT_E0_NS1_11comp_targetILNS1_3genE10ELNS1_11target_archE1200ELNS1_3gpuE4ELNS1_3repE0EEENS1_30default_config_static_selectorELNS0_4arch9wavefront6targetE0EEEvS14_,@function
_ZN7rocprim17ROCPRIM_400000_NS6detail17trampoline_kernelINS0_14default_configENS1_22reduce_config_selectorIN6thrust23THRUST_200600_302600_NS5tupleIblNS6_9null_typeES8_S8_S8_S8_S8_S8_S8_EEEEZNS1_11reduce_implILb1ES3_NS6_12zip_iteratorINS7_INS6_11hip_rocprim26transform_input_iterator_tIbNSD_35transform_pair_of_input_iterators_tIbNS6_6detail15normal_iteratorINS6_10device_ptrIKtEEEESL_NS6_8equal_toItEEEENSG_9not_fun_tINSD_8identityEEEEENSD_19counting_iterator_tIlEES8_S8_S8_S8_S8_S8_S8_S8_EEEEPS9_S9_NSD_9__find_if7functorIS9_EEEE10hipError_tPvRmT1_T2_T3_mT4_P12ihipStream_tbEUlT_E0_NS1_11comp_targetILNS1_3genE10ELNS1_11target_archE1200ELNS1_3gpuE4ELNS1_3repE0EEENS1_30default_config_static_selectorELNS0_4arch9wavefront6targetE0EEEvS14_: ; @_ZN7rocprim17ROCPRIM_400000_NS6detail17trampoline_kernelINS0_14default_configENS1_22reduce_config_selectorIN6thrust23THRUST_200600_302600_NS5tupleIblNS6_9null_typeES8_S8_S8_S8_S8_S8_S8_EEEEZNS1_11reduce_implILb1ES3_NS6_12zip_iteratorINS7_INS6_11hip_rocprim26transform_input_iterator_tIbNSD_35transform_pair_of_input_iterators_tIbNS6_6detail15normal_iteratorINS6_10device_ptrIKtEEEESL_NS6_8equal_toItEEEENSG_9not_fun_tINSD_8identityEEEEENSD_19counting_iterator_tIlEES8_S8_S8_S8_S8_S8_S8_S8_EEEEPS9_S9_NSD_9__find_if7functorIS9_EEEE10hipError_tPvRmT1_T2_T3_mT4_P12ihipStream_tbEUlT_E0_NS1_11comp_targetILNS1_3genE10ELNS1_11target_archE1200ELNS1_3gpuE4ELNS1_3repE0EEENS1_30default_config_static_selectorELNS0_4arch9wavefront6targetE0EEEvS14_
; %bb.0:
	.section	.rodata,"a",@progbits
	.p2align	6, 0x0
	.amdhsa_kernel _ZN7rocprim17ROCPRIM_400000_NS6detail17trampoline_kernelINS0_14default_configENS1_22reduce_config_selectorIN6thrust23THRUST_200600_302600_NS5tupleIblNS6_9null_typeES8_S8_S8_S8_S8_S8_S8_EEEEZNS1_11reduce_implILb1ES3_NS6_12zip_iteratorINS7_INS6_11hip_rocprim26transform_input_iterator_tIbNSD_35transform_pair_of_input_iterators_tIbNS6_6detail15normal_iteratorINS6_10device_ptrIKtEEEESL_NS6_8equal_toItEEEENSG_9not_fun_tINSD_8identityEEEEENSD_19counting_iterator_tIlEES8_S8_S8_S8_S8_S8_S8_S8_EEEEPS9_S9_NSD_9__find_if7functorIS9_EEEE10hipError_tPvRmT1_T2_T3_mT4_P12ihipStream_tbEUlT_E0_NS1_11comp_targetILNS1_3genE10ELNS1_11target_archE1200ELNS1_3gpuE4ELNS1_3repE0EEENS1_30default_config_static_selectorELNS0_4arch9wavefront6targetE0EEEvS14_
		.amdhsa_group_segment_fixed_size 0
		.amdhsa_private_segment_fixed_size 0
		.amdhsa_kernarg_size 104
		.amdhsa_user_sgpr_count 15
		.amdhsa_user_sgpr_dispatch_ptr 0
		.amdhsa_user_sgpr_queue_ptr 0
		.amdhsa_user_sgpr_kernarg_segment_ptr 1
		.amdhsa_user_sgpr_dispatch_id 0
		.amdhsa_user_sgpr_private_segment_size 0
		.amdhsa_wavefront_size32 1
		.amdhsa_uses_dynamic_stack 0
		.amdhsa_enable_private_segment 0
		.amdhsa_system_sgpr_workgroup_id_x 1
		.amdhsa_system_sgpr_workgroup_id_y 0
		.amdhsa_system_sgpr_workgroup_id_z 0
		.amdhsa_system_sgpr_workgroup_info 0
		.amdhsa_system_vgpr_workitem_id 0
		.amdhsa_next_free_vgpr 1
		.amdhsa_next_free_sgpr 1
		.amdhsa_reserve_vcc 0
		.amdhsa_float_round_mode_32 0
		.amdhsa_float_round_mode_16_64 0
		.amdhsa_float_denorm_mode_32 3
		.amdhsa_float_denorm_mode_16_64 3
		.amdhsa_dx10_clamp 1
		.amdhsa_ieee_mode 1
		.amdhsa_fp16_overflow 0
		.amdhsa_workgroup_processor_mode 1
		.amdhsa_memory_ordered 1
		.amdhsa_forward_progress 0
		.amdhsa_shared_vgpr_count 0
		.amdhsa_exception_fp_ieee_invalid_op 0
		.amdhsa_exception_fp_denorm_src 0
		.amdhsa_exception_fp_ieee_div_zero 0
		.amdhsa_exception_fp_ieee_overflow 0
		.amdhsa_exception_fp_ieee_underflow 0
		.amdhsa_exception_fp_ieee_inexact 0
		.amdhsa_exception_int_div_zero 0
	.end_amdhsa_kernel
	.section	.text._ZN7rocprim17ROCPRIM_400000_NS6detail17trampoline_kernelINS0_14default_configENS1_22reduce_config_selectorIN6thrust23THRUST_200600_302600_NS5tupleIblNS6_9null_typeES8_S8_S8_S8_S8_S8_S8_EEEEZNS1_11reduce_implILb1ES3_NS6_12zip_iteratorINS7_INS6_11hip_rocprim26transform_input_iterator_tIbNSD_35transform_pair_of_input_iterators_tIbNS6_6detail15normal_iteratorINS6_10device_ptrIKtEEEESL_NS6_8equal_toItEEEENSG_9not_fun_tINSD_8identityEEEEENSD_19counting_iterator_tIlEES8_S8_S8_S8_S8_S8_S8_S8_EEEEPS9_S9_NSD_9__find_if7functorIS9_EEEE10hipError_tPvRmT1_T2_T3_mT4_P12ihipStream_tbEUlT_E0_NS1_11comp_targetILNS1_3genE10ELNS1_11target_archE1200ELNS1_3gpuE4ELNS1_3repE0EEENS1_30default_config_static_selectorELNS0_4arch9wavefront6targetE0EEEvS14_,"axG",@progbits,_ZN7rocprim17ROCPRIM_400000_NS6detail17trampoline_kernelINS0_14default_configENS1_22reduce_config_selectorIN6thrust23THRUST_200600_302600_NS5tupleIblNS6_9null_typeES8_S8_S8_S8_S8_S8_S8_EEEEZNS1_11reduce_implILb1ES3_NS6_12zip_iteratorINS7_INS6_11hip_rocprim26transform_input_iterator_tIbNSD_35transform_pair_of_input_iterators_tIbNS6_6detail15normal_iteratorINS6_10device_ptrIKtEEEESL_NS6_8equal_toItEEEENSG_9not_fun_tINSD_8identityEEEEENSD_19counting_iterator_tIlEES8_S8_S8_S8_S8_S8_S8_S8_EEEEPS9_S9_NSD_9__find_if7functorIS9_EEEE10hipError_tPvRmT1_T2_T3_mT4_P12ihipStream_tbEUlT_E0_NS1_11comp_targetILNS1_3genE10ELNS1_11target_archE1200ELNS1_3gpuE4ELNS1_3repE0EEENS1_30default_config_static_selectorELNS0_4arch9wavefront6targetE0EEEvS14_,comdat
.Lfunc_end507:
	.size	_ZN7rocprim17ROCPRIM_400000_NS6detail17trampoline_kernelINS0_14default_configENS1_22reduce_config_selectorIN6thrust23THRUST_200600_302600_NS5tupleIblNS6_9null_typeES8_S8_S8_S8_S8_S8_S8_EEEEZNS1_11reduce_implILb1ES3_NS6_12zip_iteratorINS7_INS6_11hip_rocprim26transform_input_iterator_tIbNSD_35transform_pair_of_input_iterators_tIbNS6_6detail15normal_iteratorINS6_10device_ptrIKtEEEESL_NS6_8equal_toItEEEENSG_9not_fun_tINSD_8identityEEEEENSD_19counting_iterator_tIlEES8_S8_S8_S8_S8_S8_S8_S8_EEEEPS9_S9_NSD_9__find_if7functorIS9_EEEE10hipError_tPvRmT1_T2_T3_mT4_P12ihipStream_tbEUlT_E0_NS1_11comp_targetILNS1_3genE10ELNS1_11target_archE1200ELNS1_3gpuE4ELNS1_3repE0EEENS1_30default_config_static_selectorELNS0_4arch9wavefront6targetE0EEEvS14_, .Lfunc_end507-_ZN7rocprim17ROCPRIM_400000_NS6detail17trampoline_kernelINS0_14default_configENS1_22reduce_config_selectorIN6thrust23THRUST_200600_302600_NS5tupleIblNS6_9null_typeES8_S8_S8_S8_S8_S8_S8_EEEEZNS1_11reduce_implILb1ES3_NS6_12zip_iteratorINS7_INS6_11hip_rocprim26transform_input_iterator_tIbNSD_35transform_pair_of_input_iterators_tIbNS6_6detail15normal_iteratorINS6_10device_ptrIKtEEEESL_NS6_8equal_toItEEEENSG_9not_fun_tINSD_8identityEEEEENSD_19counting_iterator_tIlEES8_S8_S8_S8_S8_S8_S8_S8_EEEEPS9_S9_NSD_9__find_if7functorIS9_EEEE10hipError_tPvRmT1_T2_T3_mT4_P12ihipStream_tbEUlT_E0_NS1_11comp_targetILNS1_3genE10ELNS1_11target_archE1200ELNS1_3gpuE4ELNS1_3repE0EEENS1_30default_config_static_selectorELNS0_4arch9wavefront6targetE0EEEvS14_
                                        ; -- End function
	.section	.AMDGPU.csdata,"",@progbits
; Kernel info:
; codeLenInByte = 0
; NumSgprs: 0
; NumVgprs: 0
; ScratchSize: 0
; MemoryBound: 0
; FloatMode: 240
; IeeeMode: 1
; LDSByteSize: 0 bytes/workgroup (compile time only)
; SGPRBlocks: 0
; VGPRBlocks: 0
; NumSGPRsForWavesPerEU: 1
; NumVGPRsForWavesPerEU: 1
; Occupancy: 16
; WaveLimiterHint : 0
; COMPUTE_PGM_RSRC2:SCRATCH_EN: 0
; COMPUTE_PGM_RSRC2:USER_SGPR: 15
; COMPUTE_PGM_RSRC2:TRAP_HANDLER: 0
; COMPUTE_PGM_RSRC2:TGID_X_EN: 1
; COMPUTE_PGM_RSRC2:TGID_Y_EN: 0
; COMPUTE_PGM_RSRC2:TGID_Z_EN: 0
; COMPUTE_PGM_RSRC2:TIDIG_COMP_CNT: 0
	.section	.text._ZN7rocprim17ROCPRIM_400000_NS6detail17trampoline_kernelINS0_14default_configENS1_22reduce_config_selectorIN6thrust23THRUST_200600_302600_NS5tupleIblNS6_9null_typeES8_S8_S8_S8_S8_S8_S8_EEEEZNS1_11reduce_implILb1ES3_NS6_12zip_iteratorINS7_INS6_11hip_rocprim26transform_input_iterator_tIbNSD_35transform_pair_of_input_iterators_tIbNS6_6detail15normal_iteratorINS6_10device_ptrIKtEEEESL_NS6_8equal_toItEEEENSG_9not_fun_tINSD_8identityEEEEENSD_19counting_iterator_tIlEES8_S8_S8_S8_S8_S8_S8_S8_EEEEPS9_S9_NSD_9__find_if7functorIS9_EEEE10hipError_tPvRmT1_T2_T3_mT4_P12ihipStream_tbEUlT_E0_NS1_11comp_targetILNS1_3genE9ELNS1_11target_archE1100ELNS1_3gpuE3ELNS1_3repE0EEENS1_30default_config_static_selectorELNS0_4arch9wavefront6targetE0EEEvS14_,"axG",@progbits,_ZN7rocprim17ROCPRIM_400000_NS6detail17trampoline_kernelINS0_14default_configENS1_22reduce_config_selectorIN6thrust23THRUST_200600_302600_NS5tupleIblNS6_9null_typeES8_S8_S8_S8_S8_S8_S8_EEEEZNS1_11reduce_implILb1ES3_NS6_12zip_iteratorINS7_INS6_11hip_rocprim26transform_input_iterator_tIbNSD_35transform_pair_of_input_iterators_tIbNS6_6detail15normal_iteratorINS6_10device_ptrIKtEEEESL_NS6_8equal_toItEEEENSG_9not_fun_tINSD_8identityEEEEENSD_19counting_iterator_tIlEES8_S8_S8_S8_S8_S8_S8_S8_EEEEPS9_S9_NSD_9__find_if7functorIS9_EEEE10hipError_tPvRmT1_T2_T3_mT4_P12ihipStream_tbEUlT_E0_NS1_11comp_targetILNS1_3genE9ELNS1_11target_archE1100ELNS1_3gpuE3ELNS1_3repE0EEENS1_30default_config_static_selectorELNS0_4arch9wavefront6targetE0EEEvS14_,comdat
	.protected	_ZN7rocprim17ROCPRIM_400000_NS6detail17trampoline_kernelINS0_14default_configENS1_22reduce_config_selectorIN6thrust23THRUST_200600_302600_NS5tupleIblNS6_9null_typeES8_S8_S8_S8_S8_S8_S8_EEEEZNS1_11reduce_implILb1ES3_NS6_12zip_iteratorINS7_INS6_11hip_rocprim26transform_input_iterator_tIbNSD_35transform_pair_of_input_iterators_tIbNS6_6detail15normal_iteratorINS6_10device_ptrIKtEEEESL_NS6_8equal_toItEEEENSG_9not_fun_tINSD_8identityEEEEENSD_19counting_iterator_tIlEES8_S8_S8_S8_S8_S8_S8_S8_EEEEPS9_S9_NSD_9__find_if7functorIS9_EEEE10hipError_tPvRmT1_T2_T3_mT4_P12ihipStream_tbEUlT_E0_NS1_11comp_targetILNS1_3genE9ELNS1_11target_archE1100ELNS1_3gpuE3ELNS1_3repE0EEENS1_30default_config_static_selectorELNS0_4arch9wavefront6targetE0EEEvS14_ ; -- Begin function _ZN7rocprim17ROCPRIM_400000_NS6detail17trampoline_kernelINS0_14default_configENS1_22reduce_config_selectorIN6thrust23THRUST_200600_302600_NS5tupleIblNS6_9null_typeES8_S8_S8_S8_S8_S8_S8_EEEEZNS1_11reduce_implILb1ES3_NS6_12zip_iteratorINS7_INS6_11hip_rocprim26transform_input_iterator_tIbNSD_35transform_pair_of_input_iterators_tIbNS6_6detail15normal_iteratorINS6_10device_ptrIKtEEEESL_NS6_8equal_toItEEEENSG_9not_fun_tINSD_8identityEEEEENSD_19counting_iterator_tIlEES8_S8_S8_S8_S8_S8_S8_S8_EEEEPS9_S9_NSD_9__find_if7functorIS9_EEEE10hipError_tPvRmT1_T2_T3_mT4_P12ihipStream_tbEUlT_E0_NS1_11comp_targetILNS1_3genE9ELNS1_11target_archE1100ELNS1_3gpuE3ELNS1_3repE0EEENS1_30default_config_static_selectorELNS0_4arch9wavefront6targetE0EEEvS14_
	.globl	_ZN7rocprim17ROCPRIM_400000_NS6detail17trampoline_kernelINS0_14default_configENS1_22reduce_config_selectorIN6thrust23THRUST_200600_302600_NS5tupleIblNS6_9null_typeES8_S8_S8_S8_S8_S8_S8_EEEEZNS1_11reduce_implILb1ES3_NS6_12zip_iteratorINS7_INS6_11hip_rocprim26transform_input_iterator_tIbNSD_35transform_pair_of_input_iterators_tIbNS6_6detail15normal_iteratorINS6_10device_ptrIKtEEEESL_NS6_8equal_toItEEEENSG_9not_fun_tINSD_8identityEEEEENSD_19counting_iterator_tIlEES8_S8_S8_S8_S8_S8_S8_S8_EEEEPS9_S9_NSD_9__find_if7functorIS9_EEEE10hipError_tPvRmT1_T2_T3_mT4_P12ihipStream_tbEUlT_E0_NS1_11comp_targetILNS1_3genE9ELNS1_11target_archE1100ELNS1_3gpuE3ELNS1_3repE0EEENS1_30default_config_static_selectorELNS0_4arch9wavefront6targetE0EEEvS14_
	.p2align	8
	.type	_ZN7rocprim17ROCPRIM_400000_NS6detail17trampoline_kernelINS0_14default_configENS1_22reduce_config_selectorIN6thrust23THRUST_200600_302600_NS5tupleIblNS6_9null_typeES8_S8_S8_S8_S8_S8_S8_EEEEZNS1_11reduce_implILb1ES3_NS6_12zip_iteratorINS7_INS6_11hip_rocprim26transform_input_iterator_tIbNSD_35transform_pair_of_input_iterators_tIbNS6_6detail15normal_iteratorINS6_10device_ptrIKtEEEESL_NS6_8equal_toItEEEENSG_9not_fun_tINSD_8identityEEEEENSD_19counting_iterator_tIlEES8_S8_S8_S8_S8_S8_S8_S8_EEEEPS9_S9_NSD_9__find_if7functorIS9_EEEE10hipError_tPvRmT1_T2_T3_mT4_P12ihipStream_tbEUlT_E0_NS1_11comp_targetILNS1_3genE9ELNS1_11target_archE1100ELNS1_3gpuE3ELNS1_3repE0EEENS1_30default_config_static_selectorELNS0_4arch9wavefront6targetE0EEEvS14_,@function
_ZN7rocprim17ROCPRIM_400000_NS6detail17trampoline_kernelINS0_14default_configENS1_22reduce_config_selectorIN6thrust23THRUST_200600_302600_NS5tupleIblNS6_9null_typeES8_S8_S8_S8_S8_S8_S8_EEEEZNS1_11reduce_implILb1ES3_NS6_12zip_iteratorINS7_INS6_11hip_rocprim26transform_input_iterator_tIbNSD_35transform_pair_of_input_iterators_tIbNS6_6detail15normal_iteratorINS6_10device_ptrIKtEEEESL_NS6_8equal_toItEEEENSG_9not_fun_tINSD_8identityEEEEENSD_19counting_iterator_tIlEES8_S8_S8_S8_S8_S8_S8_S8_EEEEPS9_S9_NSD_9__find_if7functorIS9_EEEE10hipError_tPvRmT1_T2_T3_mT4_P12ihipStream_tbEUlT_E0_NS1_11comp_targetILNS1_3genE9ELNS1_11target_archE1100ELNS1_3gpuE3ELNS1_3repE0EEENS1_30default_config_static_selectorELNS0_4arch9wavefront6targetE0EEEvS14_: ; @_ZN7rocprim17ROCPRIM_400000_NS6detail17trampoline_kernelINS0_14default_configENS1_22reduce_config_selectorIN6thrust23THRUST_200600_302600_NS5tupleIblNS6_9null_typeES8_S8_S8_S8_S8_S8_S8_EEEEZNS1_11reduce_implILb1ES3_NS6_12zip_iteratorINS7_INS6_11hip_rocprim26transform_input_iterator_tIbNSD_35transform_pair_of_input_iterators_tIbNS6_6detail15normal_iteratorINS6_10device_ptrIKtEEEESL_NS6_8equal_toItEEEENSG_9not_fun_tINSD_8identityEEEEENSD_19counting_iterator_tIlEES8_S8_S8_S8_S8_S8_S8_S8_EEEEPS9_S9_NSD_9__find_if7functorIS9_EEEE10hipError_tPvRmT1_T2_T3_mT4_P12ihipStream_tbEUlT_E0_NS1_11comp_targetILNS1_3genE9ELNS1_11target_archE1100ELNS1_3gpuE3ELNS1_3repE0EEENS1_30default_config_static_selectorELNS0_4arch9wavefront6targetE0EEEvS14_
; %bb.0:
	s_clause 0x1
	s_load_b256 s[4:11], s[0:1], 0x20
	s_load_b128 s[24:27], s[0:1], 0x0
	s_mov_b32 s16, s15
	s_load_b128 s[12:15], s[0:1], 0x40
	s_mov_b32 s23, 0
	v_lshlrev_b32_e32 v9, 1, v0
	s_mov_b32 s17, s23
	s_waitcnt lgkmcnt(0)
	s_lshl_b64 s[2:3], s[6:7], 1
	s_delay_alu instid0(SALU_CYCLE_1)
	s_add_u32 s18, s24, s2
	s_addc_u32 s19, s25, s3
	s_add_u32 s20, s26, s2
	s_addc_u32 s21, s27, s3
	s_lshl_b32 s22, s16, 10
	s_lshr_b64 s[24:25], s[8:9], 10
	s_lshl_b64 s[2:3], s[22:23], 1
	s_delay_alu instid0(SALU_CYCLE_1)
	s_add_u32 s18, s18, s2
	s_addc_u32 s19, s19, s3
	s_add_u32 s20, s20, s2
	s_addc_u32 s21, s21, s3
	;; [unrolled: 2-line block ×4, first 2 shown]
	s_cmp_lg_u64 s[24:25], s[16:17]
	s_cbranch_scc0 .LBB508_16
; %bb.1:
	s_clause 0x7
	global_load_u16 v1, v9, s[20:21] offset:512
	global_load_u16 v2, v9, s[18:19] offset:512
	global_load_u16 v3, v9, s[18:19]
	global_load_u16 v4, v9, s[20:21]
	global_load_u16 v5, v9, s[18:19] offset:1024
	global_load_u16 v6, v9, s[20:21] offset:1024
	;; [unrolled: 1-line block ×4, first 2 shown]
	v_mov_b32_e32 v10, 0x100
	s_waitcnt vmcnt(6)
	v_cmp_ne_u16_e32 vcc_lo, v2, v1
	s_waitcnt vmcnt(4)
	v_cmp_ne_u16_e64 s2, v3, v4
	s_waitcnt vmcnt(2)
	v_cmp_ne_u16_e64 s3, v5, v6
	v_cndmask_b32_e32 v1, 0x200, v10, vcc_lo
	s_waitcnt vmcnt(0)
	v_cmp_ne_u16_e64 s4, v8, v7
	s_delay_alu instid0(VALU_DEP_2) | instskip(SKIP_1) | instid1(SALU_CYCLE_1)
	v_cndmask_b32_e64 v1, v1, 0, s2
	s_or_b32 s2, s2, vcc_lo
	s_or_b32 vcc_lo, s2, s3
	v_add_co_u32 v2, s2, s5, v0
	s_delay_alu instid0(VALU_DEP_2) | instskip(SKIP_3) | instid1(VALU_DEP_3)
	v_cndmask_b32_e32 v1, 0x300, v1, vcc_lo
	s_or_b32 s3, vcc_lo, s4
	v_add_co_ci_u32_e64 v3, null, s23, 0, s2
	v_cndmask_b32_e64 v5, 0, 1, s3
	v_add_co_u32 v1, vcc_lo, v2, v1
	s_delay_alu instid0(VALU_DEP_3) | instskip(NEXT) | instid1(VALU_DEP_3)
	v_add_co_ci_u32_e32 v2, vcc_lo, 0, v3, vcc_lo
	v_mov_b32_dpp v6, v5 quad_perm:[1,0,3,2] row_mask:0xf bank_mask:0xf
	s_delay_alu instid0(VALU_DEP_3) | instskip(SKIP_1) | instid1(VALU_DEP_3)
	v_mov_b32_dpp v3, v1 quad_perm:[1,0,3,2] row_mask:0xf bank_mask:0xf
	s_mov_b32 s4, exec_lo
	v_mov_b32_dpp v4, v2 quad_perm:[1,0,3,2] row_mask:0xf bank_mask:0xf
	s_delay_alu instid0(VALU_DEP_3) | instskip(NEXT) | instid1(VALU_DEP_1)
	v_and_b32_e32 v7, 1, v6
	v_cmpx_eq_u32_e32 1, v7
; %bb.2:
	v_cndmask_b32_e64 v5, v6, 1, s3
	s_delay_alu instid0(VALU_DEP_4) | instskip(NEXT) | instid1(VALU_DEP_2)
	v_cmp_lt_i64_e32 vcc_lo, v[1:2], v[3:4]
	v_and_b32_e32 v6, 1, v5
	v_and_b32_e32 v5, 0xff, v5
	s_and_b32 vcc_lo, s3, vcc_lo
	s_and_not1_b32 s3, s3, exec_lo
	v_dual_cndmask_b32 v2, v4, v2 :: v_dual_cndmask_b32 v1, v3, v1
	v_cmp_eq_u32_e64 s2, 1, v6
	s_delay_alu instid0(VALU_DEP_1) | instskip(NEXT) | instid1(SALU_CYCLE_1)
	s_and_b32 s2, s2, exec_lo
	s_or_b32 s3, s3, s2
; %bb.3:
	s_or_b32 exec_lo, exec_lo, s4
	v_mov_b32_dpp v6, v5 quad_perm:[2,3,0,1] row_mask:0xf bank_mask:0xf
	v_mov_b32_dpp v3, v1 quad_perm:[2,3,0,1] row_mask:0xf bank_mask:0xf
	;; [unrolled: 1-line block ×3, first 2 shown]
	s_mov_b32 s4, exec_lo
	s_delay_alu instid0(VALU_DEP_3) | instskip(NEXT) | instid1(VALU_DEP_1)
	v_and_b32_e32 v7, 1, v6
	v_cmpx_eq_u32_e32 1, v7
; %bb.4:
	v_cndmask_b32_e64 v5, v6, 1, s3
	v_cmp_lt_i64_e32 vcc_lo, v[1:2], v[3:4]
	s_delay_alu instid0(VALU_DEP_2)
	v_and_b32_e32 v6, 1, v5
	v_and_b32_e32 v5, 0xff, v5
	s_and_b32 vcc_lo, s3, vcc_lo
	s_and_not1_b32 s3, s3, exec_lo
	v_dual_cndmask_b32 v2, v4, v2 :: v_dual_cndmask_b32 v1, v3, v1
	v_cmp_eq_u32_e64 s2, 1, v6
	s_delay_alu instid0(VALU_DEP_1) | instskip(NEXT) | instid1(SALU_CYCLE_1)
	s_and_b32 s2, s2, exec_lo
	s_or_b32 s3, s3, s2
; %bb.5:
	s_or_b32 exec_lo, exec_lo, s4
	v_mov_b32_dpp v6, v5 row_ror:4 row_mask:0xf bank_mask:0xf
	v_mov_b32_dpp v3, v1 row_ror:4 row_mask:0xf bank_mask:0xf
	;; [unrolled: 1-line block ×3, first 2 shown]
	s_mov_b32 s4, exec_lo
	s_delay_alu instid0(VALU_DEP_3) | instskip(NEXT) | instid1(VALU_DEP_1)
	v_and_b32_e32 v7, 1, v6
	v_cmpx_eq_u32_e32 1, v7
; %bb.6:
	v_cndmask_b32_e64 v5, v6, 1, s3
	v_cmp_lt_i64_e32 vcc_lo, v[1:2], v[3:4]
	s_delay_alu instid0(VALU_DEP_2)
	v_and_b32_e32 v6, 1, v5
	v_and_b32_e32 v5, 0xff, v5
	s_and_b32 vcc_lo, s3, vcc_lo
	s_and_not1_b32 s3, s3, exec_lo
	v_dual_cndmask_b32 v2, v4, v2 :: v_dual_cndmask_b32 v1, v3, v1
	v_cmp_eq_u32_e64 s2, 1, v6
	s_delay_alu instid0(VALU_DEP_1) | instskip(NEXT) | instid1(SALU_CYCLE_1)
	s_and_b32 s2, s2, exec_lo
	s_or_b32 s3, s3, s2
; %bb.7:
	s_or_b32 exec_lo, exec_lo, s4
	v_mov_b32_dpp v6, v5 row_ror:8 row_mask:0xf bank_mask:0xf
	v_mov_b32_dpp v3, v1 row_ror:8 row_mask:0xf bank_mask:0xf
	;; [unrolled: 1-line block ×3, first 2 shown]
	s_mov_b32 s4, exec_lo
	s_delay_alu instid0(VALU_DEP_3) | instskip(NEXT) | instid1(VALU_DEP_1)
	v_and_b32_e32 v7, 1, v6
	v_cmpx_eq_u32_e32 1, v7
; %bb.8:
	v_cndmask_b32_e64 v5, v6, 1, s3
	v_cmp_lt_i64_e32 vcc_lo, v[1:2], v[3:4]
	s_delay_alu instid0(VALU_DEP_2)
	v_and_b32_e32 v6, 1, v5
	v_and_b32_e32 v5, 0xff, v5
	s_and_b32 vcc_lo, s3, vcc_lo
	s_and_not1_b32 s3, s3, exec_lo
	v_dual_cndmask_b32 v2, v4, v2 :: v_dual_cndmask_b32 v1, v3, v1
	v_cmp_eq_u32_e64 s2, 1, v6
	s_delay_alu instid0(VALU_DEP_1) | instskip(NEXT) | instid1(SALU_CYCLE_1)
	s_and_b32 s2, s2, exec_lo
	s_or_b32 s3, s3, s2
; %bb.9:
	s_or_b32 exec_lo, exec_lo, s4
	ds_swizzle_b32 v6, v5 offset:swizzle(BROADCAST,32,15)
	ds_swizzle_b32 v3, v1 offset:swizzle(BROADCAST,32,15)
	;; [unrolled: 1-line block ×3, first 2 shown]
	s_mov_b32 s2, exec_lo
	s_waitcnt lgkmcnt(2)
	v_and_b32_e32 v7, 1, v6
	s_delay_alu instid0(VALU_DEP_1)
	v_cmpx_eq_u32_e32 1, v7
	s_cbranch_execz .LBB508_11
; %bb.10:
	s_waitcnt lgkmcnt(0)
	v_cmp_lt_i64_e32 vcc_lo, v[1:2], v[3:4]
	v_and_b32_e32 v5, 0xff, v6
	s_delay_alu instid0(VALU_DEP_1)
	v_cndmask_b32_e64 v5, v5, 1, s3
	s_and_b32 vcc_lo, s3, vcc_lo
	v_dual_cndmask_b32 v1, v3, v1 :: v_dual_cndmask_b32 v2, v4, v2
.LBB508_11:
	s_or_b32 exec_lo, exec_lo, s2
	s_waitcnt lgkmcnt(1)
	v_mov_b32_e32 v3, 0
	s_mov_b32 s2, exec_lo
	ds_bpermute_b32 v6, v3, v5 offset:124
	ds_bpermute_b32 v1, v3, v1 offset:124
	;; [unrolled: 1-line block ×3, first 2 shown]
	v_mbcnt_lo_u32_b32 v3, -1, 0
	s_delay_alu instid0(VALU_DEP_1)
	v_cmpx_eq_u32_e32 0, v3
	s_cbranch_execz .LBB508_13
; %bb.12:
	s_waitcnt lgkmcnt(3)
	v_lshrrev_b32_e32 v4, 1, v0
	s_delay_alu instid0(VALU_DEP_1)
	v_and_b32_e32 v4, 0x70, v4
	s_waitcnt lgkmcnt(2)
	ds_store_b8 v4, v6
	s_waitcnt lgkmcnt(1)
	ds_store_b64 v4, v[1:2] offset:8
.LBB508_13:
	s_or_b32 exec_lo, exec_lo, s2
	s_delay_alu instid0(SALU_CYCLE_1)
	s_mov_b32 s4, exec_lo
	s_waitcnt lgkmcnt(0)
	s_barrier
	buffer_gl0_inv
	v_cmpx_gt_u32_e32 32, v0
	s_cbranch_execz .LBB508_15
; %bb.14:
	v_and_b32_e32 v6, 7, v3
	s_delay_alu instid0(VALU_DEP_1)
	v_lshlrev_b32_e32 v1, 4, v6
	v_cmp_ne_u32_e32 vcc_lo, 7, v6
	ds_load_u8 v7, v1
	ds_load_b64 v[1:2], v1 offset:8
	v_add_co_ci_u32_e32 v4, vcc_lo, 0, v3, vcc_lo
	v_cmp_gt_u32_e32 vcc_lo, 6, v6
	s_delay_alu instid0(VALU_DEP_2)
	v_lshlrev_b32_e32 v5, 2, v4
	v_cndmask_b32_e64 v11, 0, 1, vcc_lo
	s_waitcnt lgkmcnt(1)
	v_and_b32_e32 v4, 0xff, v7
	v_and_b32_e32 v12, 1, v7
	ds_bpermute_b32 v8, v5, v4
	s_waitcnt lgkmcnt(1)
	ds_bpermute_b32 v4, v5, v1
	ds_bpermute_b32 v5, v5, v2
	v_cmp_eq_u32_e64 s3, 1, v12
	s_waitcnt lgkmcnt(2)
	v_and_b32_e32 v10, 1, v8
	s_waitcnt lgkmcnt(0)
	v_cmp_lt_i64_e64 s2, v[4:5], v[1:2]
	s_delay_alu instid0(VALU_DEP_2) | instskip(SKIP_2) | instid1(VALU_DEP_4)
	v_cmp_eq_u32_e32 vcc_lo, 1, v10
	v_lshlrev_b32_e32 v10, 1, v11
	v_cndmask_b32_e64 v7, v7, 1, vcc_lo
	s_and_b32 vcc_lo, vcc_lo, s2
	v_dual_cndmask_b32 v1, v1, v4 :: v_dual_cndmask_b32 v2, v2, v5
	s_delay_alu instid0(VALU_DEP_2) | instskip(SKIP_2) | instid1(VALU_DEP_4)
	v_cndmask_b32_e64 v7, v8, v7, s3
	v_add_lshl_u32 v8, v10, v3, 2
	v_cmp_gt_u32_e32 vcc_lo, 4, v6
	v_cndmask_b32_e64 v1, v4, v1, s3
	v_cndmask_b32_e64 v2, v5, v2, s3
	v_and_b32_e32 v10, 0xff, v7
	v_cndmask_b32_e64 v6, 0, 1, vcc_lo
	ds_bpermute_b32 v4, v8, v1
	ds_bpermute_b32 v5, v8, v2
	;; [unrolled: 1-line block ×3, first 2 shown]
	v_and_b32_e32 v11, 1, v7
	v_lshlrev_b32_e32 v6, 2, v6
	s_delay_alu instid0(VALU_DEP_1) | instskip(SKIP_4) | instid1(VALU_DEP_1)
	v_add_lshl_u32 v6, v6, v3, 2
	s_waitcnt lgkmcnt(1)
	v_cmp_lt_i64_e64 s2, v[4:5], v[1:2]
	s_waitcnt lgkmcnt(0)
	v_and_b32_e32 v8, 1, v10
	v_cmp_eq_u32_e32 vcc_lo, 1, v8
	v_cndmask_b32_e64 v7, v7, 1, vcc_lo
	s_delay_alu instid0(VALU_DEP_4) | instskip(SKIP_3) | instid1(VALU_DEP_2)
	s_and_b32 vcc_lo, vcc_lo, s2
	v_cndmask_b32_e32 v2, v2, v5, vcc_lo
	v_cmp_eq_u32_e64 s3, 1, v11
	v_cndmask_b32_e32 v1, v1, v4, vcc_lo
	v_cndmask_b32_e64 v7, v10, v7, s3
	s_delay_alu instid0(VALU_DEP_4) | instskip(NEXT) | instid1(VALU_DEP_3)
	v_cndmask_b32_e64 v2, v5, v2, s3
	v_cndmask_b32_e64 v1, v4, v1, s3
	ds_bpermute_b32 v4, v6, v2
	v_and_b32_e32 v3, 0xff, v7
	ds_bpermute_b32 v5, v6, v3
	ds_bpermute_b32 v3, v6, v1
	s_waitcnt lgkmcnt(1)
	v_and_b32_e32 v6, 1, v5
	s_waitcnt lgkmcnt(0)
	v_cmp_lt_i64_e32 vcc_lo, v[3:4], v[1:2]
	s_delay_alu instid0(VALU_DEP_2) | instskip(SKIP_1) | instid1(VALU_DEP_2)
	v_cmp_eq_u32_e64 s2, 1, v6
	v_and_b32_e32 v6, 1, v7
	v_cndmask_b32_e64 v7, v7, 1, s2
	s_and_b32 vcc_lo, s2, vcc_lo
	s_delay_alu instid0(VALU_DEP_2) | instskip(SKIP_1) | instid1(VALU_DEP_2)
	v_cmp_eq_u32_e64 s2, 1, v6
	v_dual_cndmask_b32 v2, v2, v4 :: v_dual_cndmask_b32 v1, v1, v3
	v_cndmask_b32_e64 v5, v5, v7, s2
	s_delay_alu instid0(VALU_DEP_2) | instskip(NEXT) | instid1(VALU_DEP_3)
	v_cndmask_b32_e64 v2, v4, v2, s2
	v_cndmask_b32_e64 v1, v3, v1, s2
	s_delay_alu instid0(VALU_DEP_3)
	v_and_b32_e32 v6, 0xff, v5
.LBB508_15:
	s_or_b32 exec_lo, exec_lo, s4
	s_load_b64 s[6:7], s[0:1], 0x58
	s_branch .LBB508_49
.LBB508_16:
                                        ; implicit-def: $vgpr1_vgpr2
                                        ; implicit-def: $vgpr6
	s_load_b64 s[6:7], s[0:1], 0x58
	s_cbranch_execz .LBB508_49
; %bb.17:
	v_dual_mov_b32 v5, 0 :: v_dual_mov_b32 v12, 0
	v_mov_b32_e32 v6, 0
	s_delay_alu instid0(VALU_DEP_2) | instskip(SKIP_2) | instid1(VALU_DEP_2)
	v_dual_mov_b32 v1, v5 :: v_dual_mov_b32 v10, 0
	s_sub_i32 s22, s8, s22
	s_mov_b32 s2, exec_lo
	v_mov_b32_e32 v2, v6
	v_cmpx_gt_u32_e64 s22, v0
	s_cbranch_execz .LBB508_19
; %bb.18:
	s_clause 0x1
	global_load_u16 v3, v9, s[18:19]
	global_load_u16 v4, v9, s[20:21]
	v_add_co_u32 v1, s3, s5, v0
	s_delay_alu instid0(VALU_DEP_1)
	v_add_co_ci_u32_e64 v2, null, s23, 0, s3
	s_waitcnt vmcnt(0)
	v_cmp_ne_u16_e32 vcc_lo, v3, v4
	v_cndmask_b32_e64 v10, 0, 1, vcc_lo
.LBB508_19:
	s_or_b32 exec_lo, exec_lo, s2
	v_or_b32_e32 v3, 0x100, v0
	s_delay_alu instid0(VALU_DEP_1) | instskip(NEXT) | instid1(VALU_DEP_1)
	v_cmp_gt_u32_e64 s3, s22, v3
	s_and_saveexec_b32 s2, s3
	s_cbranch_execz .LBB508_21
; %bb.20:
	s_clause 0x1
	global_load_u16 v4, v9, s[18:19] offset:512
	global_load_u16 v7, v9, s[20:21] offset:512
	v_add_co_u32 v5, s4, s5, v3
	s_delay_alu instid0(VALU_DEP_1)
	v_add_co_ci_u32_e64 v6, null, s23, 0, s4
	s_waitcnt vmcnt(0)
	v_cmp_ne_u16_e32 vcc_lo, v4, v7
	v_cndmask_b32_e64 v12, 0, 1, vcc_lo
.LBB508_21:
	s_or_b32 exec_lo, exec_lo, s2
	v_mov_b32_e32 v3, 0
	v_dual_mov_b32 v4, 0 :: v_dual_mov_b32 v11, 0
	v_or_b32_e32 v14, 0x200, v0
	s_delay_alu instid0(VALU_DEP_2) | instskip(NEXT) | instid1(VALU_DEP_4)
	v_dual_mov_b32 v13, 0 :: v_dual_mov_b32 v8, v4
	v_mov_b32_e32 v7, v3
	s_delay_alu instid0(VALU_DEP_3) | instskip(NEXT) | instid1(VALU_DEP_1)
	v_cmp_gt_u32_e64 s2, s22, v14
	s_and_saveexec_b32 s4, s2
	s_cbranch_execz .LBB508_23
; %bb.22:
	s_clause 0x1
	global_load_u16 v13, v9, s[18:19] offset:1024
	global_load_u16 v15, v9, s[20:21] offset:1024
	v_add_co_u32 v7, s24, s5, v14
	s_delay_alu instid0(VALU_DEP_1)
	v_add_co_ci_u32_e64 v8, null, s23, 0, s24
	s_waitcnt vmcnt(0)
	v_cmp_ne_u16_e32 vcc_lo, v13, v15
	v_cndmask_b32_e64 v13, 0, 1, vcc_lo
.LBB508_23:
	s_or_b32 exec_lo, exec_lo, s4
	v_or_b32_e32 v14, 0x300, v0
	s_delay_alu instid0(VALU_DEP_1)
	v_cmp_gt_u32_e32 vcc_lo, s22, v14
	s_and_saveexec_b32 s24, vcc_lo
	s_cbranch_execnz .LBB508_52
; %bb.24:
	s_or_b32 exec_lo, exec_lo, s24
	s_and_saveexec_b32 s5, s3
	s_cbranch_execnz .LBB508_53
.LBB508_25:
	s_or_b32 exec_lo, exec_lo, s5
	s_and_saveexec_b32 s4, s2
	s_cbranch_execnz .LBB508_54
.LBB508_26:
	s_or_b32 exec_lo, exec_lo, s4
	s_and_saveexec_b32 s3, vcc_lo
.LBB508_27:
	v_and_b32_e32 v5, 1, v11
	v_cmp_lt_i64_e32 vcc_lo, v[3:4], v[1:2]
	s_delay_alu instid0(VALU_DEP_2) | instskip(SKIP_1) | instid1(VALU_DEP_2)
	v_cmp_eq_u32_e64 s2, 1, v5
	v_and_b32_e32 v5, 1, v10
	s_and_b32 vcc_lo, s2, vcc_lo
	v_cndmask_b32_e64 v6, v10, 1, s2
	v_dual_cndmask_b32 v2, v2, v4 :: v_dual_cndmask_b32 v1, v1, v3
	s_delay_alu instid0(VALU_DEP_3) | instskip(NEXT) | instid1(VALU_DEP_3)
	v_cmp_eq_u32_e32 vcc_lo, 1, v5
	v_cndmask_b32_e32 v10, v11, v6, vcc_lo
	s_delay_alu instid0(VALU_DEP_3)
	v_dual_cndmask_b32 v2, v4, v2 :: v_dual_cndmask_b32 v1, v3, v1
.LBB508_28:
	s_or_b32 exec_lo, exec_lo, s3
	v_mbcnt_lo_u32_b32 v5, -1, 0
	v_and_b32_e32 v7, 0xe0, v0
	s_min_u32 s3, s22, 0x100
	v_and_b32_e32 v6, 0xffff, v10
	s_delay_alu instid0(VALU_DEP_3) | instskip(NEXT) | instid1(VALU_DEP_3)
	v_cmp_ne_u32_e32 vcc_lo, 31, v5
	v_sub_nc_u32_e64 v8, s3, v7 clamp
	v_add_nc_u32_e32 v7, 1, v5
	v_add_co_ci_u32_e32 v3, vcc_lo, 0, v5, vcc_lo
	s_delay_alu instid0(VALU_DEP_2) | instskip(NEXT) | instid1(VALU_DEP_2)
	v_cmp_lt_u32_e32 vcc_lo, v7, v8
	v_dual_mov_b32 v7, v6 :: v_dual_lshlrev_b32 v4, 2, v3
	ds_bpermute_b32 v9, v4, v6
	ds_bpermute_b32 v3, v4, v1
	;; [unrolled: 1-line block ×3, first 2 shown]
	s_and_saveexec_b32 s2, vcc_lo
	s_delay_alu instid0(SALU_CYCLE_1)
	s_xor_b32 s4, exec_lo, s2
	s_cbranch_execz .LBB508_30
; %bb.29:
	s_waitcnt lgkmcnt(0)
	v_and_b32_e32 v7, 1, v9
	v_cmp_lt_i64_e32 vcc_lo, v[3:4], v[1:2]
	s_delay_alu instid0(VALU_DEP_2) | instskip(SKIP_1) | instid1(VALU_DEP_2)
	v_cmp_eq_u32_e64 s2, 1, v7
	v_and_b32_e32 v7, 1, v10
	v_cndmask_b32_e64 v6, v6, 1, s2
	s_and_b32 vcc_lo, s2, vcc_lo
	s_delay_alu instid0(VALU_DEP_2) | instskip(SKIP_1) | instid1(VALU_DEP_2)
	v_cmp_eq_u32_e64 s2, 1, v7
	v_dual_cndmask_b32 v2, v2, v4 :: v_dual_cndmask_b32 v1, v1, v3
	v_cndmask_b32_e64 v7, v9, v6, s2
	s_delay_alu instid0(VALU_DEP_2) | instskip(NEXT) | instid1(VALU_DEP_3)
	v_cndmask_b32_e64 v2, v4, v2, s2
	v_cndmask_b32_e64 v1, v3, v1, s2
	s_delay_alu instid0(VALU_DEP_3)
	v_and_b32_e32 v6, 0xff, v7
.LBB508_30:
	s_or_b32 exec_lo, exec_lo, s4
	v_cmp_gt_u32_e32 vcc_lo, 30, v5
	v_add_nc_u32_e32 v10, 2, v5
	s_mov_b32 s4, exec_lo
	s_waitcnt lgkmcnt(0)
	v_cndmask_b32_e64 v3, 0, 1, vcc_lo
	s_delay_alu instid0(VALU_DEP_1) | instskip(NEXT) | instid1(VALU_DEP_1)
	v_lshlrev_b32_e32 v3, 1, v3
	v_add_lshl_u32 v4, v3, v5, 2
	ds_bpermute_b32 v9, v4, v6
	ds_bpermute_b32 v3, v4, v1
	ds_bpermute_b32 v4, v4, v2
	v_cmpx_lt_u32_e64 v10, v8
	s_cbranch_execz .LBB508_32
; %bb.31:
	s_waitcnt lgkmcnt(2)
	v_and_b32_e32 v6, 1, v9
	s_waitcnt lgkmcnt(0)
	v_cmp_lt_i64_e32 vcc_lo, v[3:4], v[1:2]
	s_delay_alu instid0(VALU_DEP_2) | instskip(SKIP_1) | instid1(VALU_DEP_2)
	v_cmp_eq_u32_e64 s2, 1, v6
	v_and_b32_e32 v6, 1, v7
	v_cndmask_b32_e64 v7, v7, 1, s2
	s_and_b32 vcc_lo, s2, vcc_lo
	s_delay_alu instid0(VALU_DEP_2) | instskip(SKIP_1) | instid1(VALU_DEP_2)
	v_cmp_eq_u32_e64 s2, 1, v6
	v_dual_cndmask_b32 v1, v1, v3 :: v_dual_cndmask_b32 v2, v2, v4
	v_cndmask_b32_e64 v7, v9, v7, s2
	s_delay_alu instid0(VALU_DEP_2) | instskip(NEXT) | instid1(VALU_DEP_3)
	v_cndmask_b32_e64 v1, v3, v1, s2
	v_cndmask_b32_e64 v2, v4, v2, s2
	s_delay_alu instid0(VALU_DEP_3)
	v_and_b32_e32 v6, 0xff, v7
.LBB508_32:
	s_or_b32 exec_lo, exec_lo, s4
	v_cmp_gt_u32_e32 vcc_lo, 28, v5
	v_add_nc_u32_e32 v10, 4, v5
	s_mov_b32 s4, exec_lo
	s_waitcnt lgkmcnt(1)
	v_cndmask_b32_e64 v3, 0, 1, vcc_lo
	s_delay_alu instid0(VALU_DEP_1) | instskip(SKIP_1) | instid1(VALU_DEP_1)
	v_lshlrev_b32_e32 v3, 2, v3
	s_waitcnt lgkmcnt(0)
	v_add_lshl_u32 v4, v3, v5, 2
	ds_bpermute_b32 v9, v4, v6
	ds_bpermute_b32 v3, v4, v1
	ds_bpermute_b32 v4, v4, v2
	v_cmpx_lt_u32_e64 v10, v8
	s_cbranch_execz .LBB508_34
; %bb.33:
	s_waitcnt lgkmcnt(2)
	v_and_b32_e32 v6, 1, v9
	s_waitcnt lgkmcnt(0)
	v_cmp_lt_i64_e32 vcc_lo, v[3:4], v[1:2]
	s_delay_alu instid0(VALU_DEP_2) | instskip(SKIP_1) | instid1(VALU_DEP_2)
	v_cmp_eq_u32_e64 s2, 1, v6
	v_and_b32_e32 v6, 1, v7
	v_cndmask_b32_e64 v7, v7, 1, s2
	s_and_b32 vcc_lo, s2, vcc_lo
	s_delay_alu instid0(VALU_DEP_2) | instskip(SKIP_1) | instid1(VALU_DEP_2)
	v_cmp_eq_u32_e64 s2, 1, v6
	v_dual_cndmask_b32 v1, v1, v3 :: v_dual_cndmask_b32 v2, v2, v4
	v_cndmask_b32_e64 v7, v9, v7, s2
	s_delay_alu instid0(VALU_DEP_2) | instskip(NEXT) | instid1(VALU_DEP_3)
	v_cndmask_b32_e64 v1, v3, v1, s2
	v_cndmask_b32_e64 v2, v4, v2, s2
	s_delay_alu instid0(VALU_DEP_3)
	v_and_b32_e32 v6, 0xff, v7
.LBB508_34:
	s_or_b32 exec_lo, exec_lo, s4
	v_cmp_gt_u32_e32 vcc_lo, 24, v5
	v_add_nc_u32_e32 v10, 8, v5
	s_mov_b32 s4, exec_lo
	s_waitcnt lgkmcnt(1)
	v_cndmask_b32_e64 v3, 0, 1, vcc_lo
	s_delay_alu instid0(VALU_DEP_1) | instskip(SKIP_1) | instid1(VALU_DEP_1)
	v_lshlrev_b32_e32 v3, 3, v3
	s_waitcnt lgkmcnt(0)
	;; [unrolled: 35-line block ×3, first 2 shown]
	v_add_lshl_u32 v4, v3, v5, 2
	ds_bpermute_b32 v9, v4, v6
	ds_bpermute_b32 v3, v4, v1
	;; [unrolled: 1-line block ×3, first 2 shown]
	v_cmpx_lt_u32_e64 v10, v8
	s_cbranch_execz .LBB508_38
; %bb.37:
	s_waitcnt lgkmcnt(2)
	v_and_b32_e32 v6, 1, v9
	s_waitcnt lgkmcnt(0)
	v_cmp_lt_i64_e32 vcc_lo, v[3:4], v[1:2]
	s_delay_alu instid0(VALU_DEP_2) | instskip(SKIP_1) | instid1(VALU_DEP_2)
	v_cmp_eq_u32_e64 s2, 1, v6
	v_and_b32_e32 v6, 1, v7
	v_cndmask_b32_e64 v7, v7, 1, s2
	s_and_b32 vcc_lo, s2, vcc_lo
	s_delay_alu instid0(VALU_DEP_2) | instskip(SKIP_1) | instid1(VALU_DEP_2)
	v_cmp_eq_u32_e64 s2, 1, v6
	v_dual_cndmask_b32 v1, v1, v3 :: v_dual_cndmask_b32 v2, v2, v4
	v_cndmask_b32_e64 v7, v9, v7, s2
	s_delay_alu instid0(VALU_DEP_2) | instskip(NEXT) | instid1(VALU_DEP_3)
	v_cndmask_b32_e64 v1, v3, v1, s2
	v_cndmask_b32_e64 v2, v4, v2, s2
	s_delay_alu instid0(VALU_DEP_3)
	v_and_b32_e32 v6, 0xff, v7
.LBB508_38:
	s_or_b32 exec_lo, exec_lo, s4
	s_delay_alu instid0(SALU_CYCLE_1)
	s_mov_b32 s2, exec_lo
	v_cmpx_eq_u32_e32 0, v5
	s_cbranch_execz .LBB508_40
; %bb.39:
	s_waitcnt lgkmcnt(1)
	v_lshrrev_b32_e32 v3, 1, v0
	s_delay_alu instid0(VALU_DEP_1)
	v_and_b32_e32 v3, 0x70, v3
	ds_store_b8 v3, v7 offset:128
	ds_store_b64 v3, v[1:2] offset:136
.LBB508_40:
	s_or_b32 exec_lo, exec_lo, s2
	s_delay_alu instid0(SALU_CYCLE_1)
	s_mov_b32 s4, exec_lo
	s_waitcnt lgkmcnt(0)
	s_barrier
	buffer_gl0_inv
	v_cmpx_gt_u32_e32 8, v0
	s_cbranch_execz .LBB508_48
; %bb.41:
	v_lshlrev_b32_e32 v1, 4, v5
	v_and_b32_e32 v8, 7, v5
	s_add_i32 s3, s3, 31
	s_mov_b32 s5, exec_lo
	s_lshr_b32 s3, s3, 5
	ds_load_u8 v7, v1 offset:128
	ds_load_b64 v[1:2], v1 offset:136
	v_cmp_ne_u32_e32 vcc_lo, 7, v8
	v_add_nc_u32_e32 v10, 1, v8
	v_add_co_ci_u32_e32 v3, vcc_lo, 0, v5, vcc_lo
	s_delay_alu instid0(VALU_DEP_1)
	v_lshlrev_b32_e32 v4, 2, v3
	s_waitcnt lgkmcnt(1)
	v_and_b32_e32 v6, 0xff, v7
	s_waitcnt lgkmcnt(0)
	ds_bpermute_b32 v3, v4, v1
	ds_bpermute_b32 v9, v4, v6
	;; [unrolled: 1-line block ×3, first 2 shown]
	v_cmpx_gt_u32_e64 s3, v10
	s_cbranch_execz .LBB508_43
; %bb.42:
	s_waitcnt lgkmcnt(1)
	v_and_b32_e32 v6, 1, v9
	s_waitcnt lgkmcnt(0)
	v_cmp_lt_i64_e32 vcc_lo, v[3:4], v[1:2]
	s_delay_alu instid0(VALU_DEP_2) | instskip(SKIP_1) | instid1(VALU_DEP_2)
	v_cmp_eq_u32_e64 s2, 1, v6
	v_and_b32_e32 v6, 1, v7
	v_cndmask_b32_e64 v7, v7, 1, s2
	s_and_b32 vcc_lo, s2, vcc_lo
	s_delay_alu instid0(VALU_DEP_2) | instskip(SKIP_1) | instid1(VALU_DEP_2)
	v_cmp_eq_u32_e64 s2, 1, v6
	v_dual_cndmask_b32 v1, v1, v3 :: v_dual_cndmask_b32 v2, v2, v4
	v_cndmask_b32_e64 v7, v9, v7, s2
	s_delay_alu instid0(VALU_DEP_2) | instskip(NEXT) | instid1(VALU_DEP_3)
	v_cndmask_b32_e64 v1, v3, v1, s2
	v_cndmask_b32_e64 v2, v4, v2, s2
	s_delay_alu instid0(VALU_DEP_3)
	v_and_b32_e32 v6, 0xff, v7
.LBB508_43:
	s_or_b32 exec_lo, exec_lo, s5
	v_cmp_gt_u32_e32 vcc_lo, 6, v8
	v_add_nc_u32_e32 v10, 2, v8
	s_mov_b32 s5, exec_lo
	s_waitcnt lgkmcnt(2)
	v_cndmask_b32_e64 v3, 0, 1, vcc_lo
	s_delay_alu instid0(VALU_DEP_1) | instskip(SKIP_1) | instid1(VALU_DEP_1)
	v_lshlrev_b32_e32 v3, 1, v3
	s_waitcnt lgkmcnt(0)
	v_add_lshl_u32 v4, v3, v5, 2
	ds_bpermute_b32 v9, v4, v6
	ds_bpermute_b32 v3, v4, v1
	;; [unrolled: 1-line block ×3, first 2 shown]
	v_cmpx_gt_u32_e64 s3, v10
	s_cbranch_execz .LBB508_45
; %bb.44:
	s_waitcnt lgkmcnt(2)
	v_and_b32_e32 v6, 1, v9
	s_waitcnt lgkmcnt(0)
	v_cmp_lt_i64_e32 vcc_lo, v[3:4], v[1:2]
	s_delay_alu instid0(VALU_DEP_2) | instskip(SKIP_1) | instid1(VALU_DEP_2)
	v_cmp_eq_u32_e64 s2, 1, v6
	v_and_b32_e32 v6, 1, v7
	v_cndmask_b32_e64 v7, v7, 1, s2
	s_and_b32 vcc_lo, s2, vcc_lo
	s_delay_alu instid0(VALU_DEP_2) | instskip(SKIP_1) | instid1(VALU_DEP_2)
	v_cmp_eq_u32_e64 s2, 1, v6
	v_dual_cndmask_b32 v1, v1, v3 :: v_dual_cndmask_b32 v2, v2, v4
	v_cndmask_b32_e64 v7, v9, v7, s2
	s_delay_alu instid0(VALU_DEP_2) | instskip(NEXT) | instid1(VALU_DEP_3)
	v_cndmask_b32_e64 v1, v3, v1, s2
	v_cndmask_b32_e64 v2, v4, v2, s2
	s_delay_alu instid0(VALU_DEP_3)
	v_and_b32_e32 v6, 0xff, v7
.LBB508_45:
	s_or_b32 exec_lo, exec_lo, s5
	v_cmp_gt_u32_e32 vcc_lo, 4, v8
	v_add_nc_u32_e32 v8, 4, v8
	s_waitcnt lgkmcnt(1)
	v_cndmask_b32_e64 v3, 0, 1, vcc_lo
	s_delay_alu instid0(VALU_DEP_2) | instskip(NEXT) | instid1(VALU_DEP_2)
	v_cmp_gt_u32_e32 vcc_lo, s3, v8
	v_lshlrev_b32_e32 v3, 2, v3
	s_waitcnt lgkmcnt(0)
	s_delay_alu instid0(VALU_DEP_1)
	v_add_lshl_u32 v4, v3, v5, 2
	ds_bpermute_b32 v5, v4, v6
	ds_bpermute_b32 v3, v4, v1
	;; [unrolled: 1-line block ×3, first 2 shown]
	s_and_saveexec_b32 s3, vcc_lo
	s_cbranch_execz .LBB508_47
; %bb.46:
	s_waitcnt lgkmcnt(2)
	v_and_b32_e32 v6, 1, v5
	s_waitcnt lgkmcnt(0)
	v_cmp_lt_i64_e32 vcc_lo, v[3:4], v[1:2]
	s_delay_alu instid0(VALU_DEP_2) | instskip(SKIP_1) | instid1(VALU_DEP_2)
	v_cmp_eq_u32_e64 s2, 1, v6
	v_and_b32_e32 v6, 1, v7
	v_cndmask_b32_e64 v7, v7, 1, s2
	s_and_b32 vcc_lo, s2, vcc_lo
	s_delay_alu instid0(VALU_DEP_2) | instskip(SKIP_1) | instid1(VALU_DEP_2)
	v_cmp_eq_u32_e64 s2, 1, v6
	v_dual_cndmask_b32 v1, v1, v3 :: v_dual_cndmask_b32 v2, v2, v4
	v_cndmask_b32_e64 v5, v5, v7, s2
	s_delay_alu instid0(VALU_DEP_2) | instskip(NEXT) | instid1(VALU_DEP_3)
	v_cndmask_b32_e64 v1, v3, v1, s2
	v_cndmask_b32_e64 v2, v4, v2, s2
	s_delay_alu instid0(VALU_DEP_3)
	v_and_b32_e32 v6, 0xff, v5
.LBB508_47:
	s_or_b32 exec_lo, exec_lo, s3
.LBB508_48:
	s_delay_alu instid0(SALU_CYCLE_1)
	s_or_b32 exec_lo, exec_lo, s4
.LBB508_49:
	s_load_b32 s0, s[0:1], 0x50
	s_mov_b32 s1, exec_lo
	v_cmpx_eq_u32_e32 0, v0
	s_cbranch_execz .LBB508_51
; %bb.50:
	s_mul_i32 s1, s14, s13
	s_mul_hi_u32 s2, s14, s12
	s_mul_i32 s3, s15, s12
	s_add_i32 s1, s2, s1
	s_mul_i32 s2, s14, s12
	s_add_i32 s3, s1, s3
	v_mov_b32_e32 v0, 0
	s_lshl_b64 s[2:3], s[2:3], 4
	s_delay_alu instid0(SALU_CYCLE_1)
	s_add_u32 s1, s10, s2
	s_addc_u32 s4, s11, s3
	s_cmp_eq_u64 s[8:9], 0
	s_cselect_b32 s5, -1, 0
	s_lshl_b64 s[2:3], s[16:17], 4
	s_waitcnt lgkmcnt(0)
	v_cndmask_b32_e64 v3, v6, s0, s5
	v_cndmask_b32_e64 v2, v2, s7, s5
	;; [unrolled: 1-line block ×3, first 2 shown]
	s_add_u32 s0, s1, s2
	s_addc_u32 s1, s4, s3
	s_clause 0x1
	global_store_b8 v0, v3, s[0:1]
	global_store_b64 v0, v[1:2], s[0:1] offset:8
.LBB508_51:
	s_nop 0
	s_sendmsg sendmsg(MSG_DEALLOC_VGPRS)
	s_endpgm
.LBB508_52:
	s_clause 0x1
	global_load_u16 v11, v9, s[18:19] offset:1536
	global_load_u16 v9, v9, s[20:21] offset:1536
	v_add_co_u32 v3, s4, s5, v14
	s_delay_alu instid0(VALU_DEP_1) | instskip(SKIP_2) | instid1(VALU_DEP_1)
	v_add_co_ci_u32_e64 v4, null, s23, 0, s4
	s_waitcnt vmcnt(0)
	v_cmp_ne_u16_e64 s4, v11, v9
	v_cndmask_b32_e64 v11, 0, 1, s4
	s_or_b32 exec_lo, exec_lo, s24
	s_and_saveexec_b32 s5, s3
	s_cbranch_execz .LBB508_25
.LBB508_53:
	v_and_b32_e32 v9, 1, v12
	v_cmp_lt_i64_e64 s3, v[5:6], v[1:2]
	s_delay_alu instid0(VALU_DEP_2) | instskip(SKIP_1) | instid1(VALU_DEP_2)
	v_cmp_eq_u32_e64 s4, 1, v9
	v_and_b32_e32 v9, 1, v10
	s_and_b32 s3, s4, s3
	v_cndmask_b32_e64 v10, v10, 1, s4
	v_cndmask_b32_e64 v1, v1, v5, s3
	;; [unrolled: 1-line block ×3, first 2 shown]
	v_cmp_eq_u32_e64 s3, 1, v9
	s_delay_alu instid0(VALU_DEP_1) | instskip(NEXT) | instid1(VALU_DEP_3)
	v_cndmask_b32_e64 v10, v12, v10, s3
	v_cndmask_b32_e64 v2, v6, v2, s3
	;; [unrolled: 1-line block ×3, first 2 shown]
	s_or_b32 exec_lo, exec_lo, s5
	s_and_saveexec_b32 s4, s2
	s_cbranch_execz .LBB508_26
.LBB508_54:
	v_and_b32_e32 v5, 1, v13
	v_cmp_lt_i64_e64 s2, v[7:8], v[1:2]
	s_delay_alu instid0(VALU_DEP_2) | instskip(SKIP_1) | instid1(VALU_DEP_2)
	v_cmp_eq_u32_e64 s3, 1, v5
	v_and_b32_e32 v5, 1, v10
	s_and_b32 s2, s3, s2
	v_cndmask_b32_e64 v6, v10, 1, s3
	v_cndmask_b32_e64 v1, v1, v7, s2
	;; [unrolled: 1-line block ×3, first 2 shown]
	v_cmp_eq_u32_e64 s2, 1, v5
	s_delay_alu instid0(VALU_DEP_1) | instskip(NEXT) | instid1(VALU_DEP_3)
	v_cndmask_b32_e64 v10, v13, v6, s2
	v_cndmask_b32_e64 v2, v8, v2, s2
	;; [unrolled: 1-line block ×3, first 2 shown]
	s_or_b32 exec_lo, exec_lo, s4
	s_and_saveexec_b32 s3, vcc_lo
	s_cbranch_execnz .LBB508_27
	s_branch .LBB508_28
	.section	.rodata,"a",@progbits
	.p2align	6, 0x0
	.amdhsa_kernel _ZN7rocprim17ROCPRIM_400000_NS6detail17trampoline_kernelINS0_14default_configENS1_22reduce_config_selectorIN6thrust23THRUST_200600_302600_NS5tupleIblNS6_9null_typeES8_S8_S8_S8_S8_S8_S8_EEEEZNS1_11reduce_implILb1ES3_NS6_12zip_iteratorINS7_INS6_11hip_rocprim26transform_input_iterator_tIbNSD_35transform_pair_of_input_iterators_tIbNS6_6detail15normal_iteratorINS6_10device_ptrIKtEEEESL_NS6_8equal_toItEEEENSG_9not_fun_tINSD_8identityEEEEENSD_19counting_iterator_tIlEES8_S8_S8_S8_S8_S8_S8_S8_EEEEPS9_S9_NSD_9__find_if7functorIS9_EEEE10hipError_tPvRmT1_T2_T3_mT4_P12ihipStream_tbEUlT_E0_NS1_11comp_targetILNS1_3genE9ELNS1_11target_archE1100ELNS1_3gpuE3ELNS1_3repE0EEENS1_30default_config_static_selectorELNS0_4arch9wavefront6targetE0EEEvS14_
		.amdhsa_group_segment_fixed_size 256
		.amdhsa_private_segment_fixed_size 0
		.amdhsa_kernarg_size 104
		.amdhsa_user_sgpr_count 15
		.amdhsa_user_sgpr_dispatch_ptr 0
		.amdhsa_user_sgpr_queue_ptr 0
		.amdhsa_user_sgpr_kernarg_segment_ptr 1
		.amdhsa_user_sgpr_dispatch_id 0
		.amdhsa_user_sgpr_private_segment_size 0
		.amdhsa_wavefront_size32 1
		.amdhsa_uses_dynamic_stack 0
		.amdhsa_enable_private_segment 0
		.amdhsa_system_sgpr_workgroup_id_x 1
		.amdhsa_system_sgpr_workgroup_id_y 0
		.amdhsa_system_sgpr_workgroup_id_z 0
		.amdhsa_system_sgpr_workgroup_info 0
		.amdhsa_system_vgpr_workitem_id 0
		.amdhsa_next_free_vgpr 16
		.amdhsa_next_free_sgpr 28
		.amdhsa_reserve_vcc 1
		.amdhsa_float_round_mode_32 0
		.amdhsa_float_round_mode_16_64 0
		.amdhsa_float_denorm_mode_32 3
		.amdhsa_float_denorm_mode_16_64 3
		.amdhsa_dx10_clamp 1
		.amdhsa_ieee_mode 1
		.amdhsa_fp16_overflow 0
		.amdhsa_workgroup_processor_mode 1
		.amdhsa_memory_ordered 1
		.amdhsa_forward_progress 0
		.amdhsa_shared_vgpr_count 0
		.amdhsa_exception_fp_ieee_invalid_op 0
		.amdhsa_exception_fp_denorm_src 0
		.amdhsa_exception_fp_ieee_div_zero 0
		.amdhsa_exception_fp_ieee_overflow 0
		.amdhsa_exception_fp_ieee_underflow 0
		.amdhsa_exception_fp_ieee_inexact 0
		.amdhsa_exception_int_div_zero 0
	.end_amdhsa_kernel
	.section	.text._ZN7rocprim17ROCPRIM_400000_NS6detail17trampoline_kernelINS0_14default_configENS1_22reduce_config_selectorIN6thrust23THRUST_200600_302600_NS5tupleIblNS6_9null_typeES8_S8_S8_S8_S8_S8_S8_EEEEZNS1_11reduce_implILb1ES3_NS6_12zip_iteratorINS7_INS6_11hip_rocprim26transform_input_iterator_tIbNSD_35transform_pair_of_input_iterators_tIbNS6_6detail15normal_iteratorINS6_10device_ptrIKtEEEESL_NS6_8equal_toItEEEENSG_9not_fun_tINSD_8identityEEEEENSD_19counting_iterator_tIlEES8_S8_S8_S8_S8_S8_S8_S8_EEEEPS9_S9_NSD_9__find_if7functorIS9_EEEE10hipError_tPvRmT1_T2_T3_mT4_P12ihipStream_tbEUlT_E0_NS1_11comp_targetILNS1_3genE9ELNS1_11target_archE1100ELNS1_3gpuE3ELNS1_3repE0EEENS1_30default_config_static_selectorELNS0_4arch9wavefront6targetE0EEEvS14_,"axG",@progbits,_ZN7rocprim17ROCPRIM_400000_NS6detail17trampoline_kernelINS0_14default_configENS1_22reduce_config_selectorIN6thrust23THRUST_200600_302600_NS5tupleIblNS6_9null_typeES8_S8_S8_S8_S8_S8_S8_EEEEZNS1_11reduce_implILb1ES3_NS6_12zip_iteratorINS7_INS6_11hip_rocprim26transform_input_iterator_tIbNSD_35transform_pair_of_input_iterators_tIbNS6_6detail15normal_iteratorINS6_10device_ptrIKtEEEESL_NS6_8equal_toItEEEENSG_9not_fun_tINSD_8identityEEEEENSD_19counting_iterator_tIlEES8_S8_S8_S8_S8_S8_S8_S8_EEEEPS9_S9_NSD_9__find_if7functorIS9_EEEE10hipError_tPvRmT1_T2_T3_mT4_P12ihipStream_tbEUlT_E0_NS1_11comp_targetILNS1_3genE9ELNS1_11target_archE1100ELNS1_3gpuE3ELNS1_3repE0EEENS1_30default_config_static_selectorELNS0_4arch9wavefront6targetE0EEEvS14_,comdat
.Lfunc_end508:
	.size	_ZN7rocprim17ROCPRIM_400000_NS6detail17trampoline_kernelINS0_14default_configENS1_22reduce_config_selectorIN6thrust23THRUST_200600_302600_NS5tupleIblNS6_9null_typeES8_S8_S8_S8_S8_S8_S8_EEEEZNS1_11reduce_implILb1ES3_NS6_12zip_iteratorINS7_INS6_11hip_rocprim26transform_input_iterator_tIbNSD_35transform_pair_of_input_iterators_tIbNS6_6detail15normal_iteratorINS6_10device_ptrIKtEEEESL_NS6_8equal_toItEEEENSG_9not_fun_tINSD_8identityEEEEENSD_19counting_iterator_tIlEES8_S8_S8_S8_S8_S8_S8_S8_EEEEPS9_S9_NSD_9__find_if7functorIS9_EEEE10hipError_tPvRmT1_T2_T3_mT4_P12ihipStream_tbEUlT_E0_NS1_11comp_targetILNS1_3genE9ELNS1_11target_archE1100ELNS1_3gpuE3ELNS1_3repE0EEENS1_30default_config_static_selectorELNS0_4arch9wavefront6targetE0EEEvS14_, .Lfunc_end508-_ZN7rocprim17ROCPRIM_400000_NS6detail17trampoline_kernelINS0_14default_configENS1_22reduce_config_selectorIN6thrust23THRUST_200600_302600_NS5tupleIblNS6_9null_typeES8_S8_S8_S8_S8_S8_S8_EEEEZNS1_11reduce_implILb1ES3_NS6_12zip_iteratorINS7_INS6_11hip_rocprim26transform_input_iterator_tIbNSD_35transform_pair_of_input_iterators_tIbNS6_6detail15normal_iteratorINS6_10device_ptrIKtEEEESL_NS6_8equal_toItEEEENSG_9not_fun_tINSD_8identityEEEEENSD_19counting_iterator_tIlEES8_S8_S8_S8_S8_S8_S8_S8_EEEEPS9_S9_NSD_9__find_if7functorIS9_EEEE10hipError_tPvRmT1_T2_T3_mT4_P12ihipStream_tbEUlT_E0_NS1_11comp_targetILNS1_3genE9ELNS1_11target_archE1100ELNS1_3gpuE3ELNS1_3repE0EEENS1_30default_config_static_selectorELNS0_4arch9wavefront6targetE0EEEvS14_
                                        ; -- End function
	.section	.AMDGPU.csdata,"",@progbits
; Kernel info:
; codeLenInByte = 4024
; NumSgprs: 30
; NumVgprs: 16
; ScratchSize: 0
; MemoryBound: 0
; FloatMode: 240
; IeeeMode: 1
; LDSByteSize: 256 bytes/workgroup (compile time only)
; SGPRBlocks: 3
; VGPRBlocks: 1
; NumSGPRsForWavesPerEU: 30
; NumVGPRsForWavesPerEU: 16
; Occupancy: 16
; WaveLimiterHint : 0
; COMPUTE_PGM_RSRC2:SCRATCH_EN: 0
; COMPUTE_PGM_RSRC2:USER_SGPR: 15
; COMPUTE_PGM_RSRC2:TRAP_HANDLER: 0
; COMPUTE_PGM_RSRC2:TGID_X_EN: 1
; COMPUTE_PGM_RSRC2:TGID_Y_EN: 0
; COMPUTE_PGM_RSRC2:TGID_Z_EN: 0
; COMPUTE_PGM_RSRC2:TIDIG_COMP_CNT: 0
	.section	.text._ZN7rocprim17ROCPRIM_400000_NS6detail17trampoline_kernelINS0_14default_configENS1_22reduce_config_selectorIN6thrust23THRUST_200600_302600_NS5tupleIblNS6_9null_typeES8_S8_S8_S8_S8_S8_S8_EEEEZNS1_11reduce_implILb1ES3_NS6_12zip_iteratorINS7_INS6_11hip_rocprim26transform_input_iterator_tIbNSD_35transform_pair_of_input_iterators_tIbNS6_6detail15normal_iteratorINS6_10device_ptrIKtEEEESL_NS6_8equal_toItEEEENSG_9not_fun_tINSD_8identityEEEEENSD_19counting_iterator_tIlEES8_S8_S8_S8_S8_S8_S8_S8_EEEEPS9_S9_NSD_9__find_if7functorIS9_EEEE10hipError_tPvRmT1_T2_T3_mT4_P12ihipStream_tbEUlT_E0_NS1_11comp_targetILNS1_3genE8ELNS1_11target_archE1030ELNS1_3gpuE2ELNS1_3repE0EEENS1_30default_config_static_selectorELNS0_4arch9wavefront6targetE0EEEvS14_,"axG",@progbits,_ZN7rocprim17ROCPRIM_400000_NS6detail17trampoline_kernelINS0_14default_configENS1_22reduce_config_selectorIN6thrust23THRUST_200600_302600_NS5tupleIblNS6_9null_typeES8_S8_S8_S8_S8_S8_S8_EEEEZNS1_11reduce_implILb1ES3_NS6_12zip_iteratorINS7_INS6_11hip_rocprim26transform_input_iterator_tIbNSD_35transform_pair_of_input_iterators_tIbNS6_6detail15normal_iteratorINS6_10device_ptrIKtEEEESL_NS6_8equal_toItEEEENSG_9not_fun_tINSD_8identityEEEEENSD_19counting_iterator_tIlEES8_S8_S8_S8_S8_S8_S8_S8_EEEEPS9_S9_NSD_9__find_if7functorIS9_EEEE10hipError_tPvRmT1_T2_T3_mT4_P12ihipStream_tbEUlT_E0_NS1_11comp_targetILNS1_3genE8ELNS1_11target_archE1030ELNS1_3gpuE2ELNS1_3repE0EEENS1_30default_config_static_selectorELNS0_4arch9wavefront6targetE0EEEvS14_,comdat
	.protected	_ZN7rocprim17ROCPRIM_400000_NS6detail17trampoline_kernelINS0_14default_configENS1_22reduce_config_selectorIN6thrust23THRUST_200600_302600_NS5tupleIblNS6_9null_typeES8_S8_S8_S8_S8_S8_S8_EEEEZNS1_11reduce_implILb1ES3_NS6_12zip_iteratorINS7_INS6_11hip_rocprim26transform_input_iterator_tIbNSD_35transform_pair_of_input_iterators_tIbNS6_6detail15normal_iteratorINS6_10device_ptrIKtEEEESL_NS6_8equal_toItEEEENSG_9not_fun_tINSD_8identityEEEEENSD_19counting_iterator_tIlEES8_S8_S8_S8_S8_S8_S8_S8_EEEEPS9_S9_NSD_9__find_if7functorIS9_EEEE10hipError_tPvRmT1_T2_T3_mT4_P12ihipStream_tbEUlT_E0_NS1_11comp_targetILNS1_3genE8ELNS1_11target_archE1030ELNS1_3gpuE2ELNS1_3repE0EEENS1_30default_config_static_selectorELNS0_4arch9wavefront6targetE0EEEvS14_ ; -- Begin function _ZN7rocprim17ROCPRIM_400000_NS6detail17trampoline_kernelINS0_14default_configENS1_22reduce_config_selectorIN6thrust23THRUST_200600_302600_NS5tupleIblNS6_9null_typeES8_S8_S8_S8_S8_S8_S8_EEEEZNS1_11reduce_implILb1ES3_NS6_12zip_iteratorINS7_INS6_11hip_rocprim26transform_input_iterator_tIbNSD_35transform_pair_of_input_iterators_tIbNS6_6detail15normal_iteratorINS6_10device_ptrIKtEEEESL_NS6_8equal_toItEEEENSG_9not_fun_tINSD_8identityEEEEENSD_19counting_iterator_tIlEES8_S8_S8_S8_S8_S8_S8_S8_EEEEPS9_S9_NSD_9__find_if7functorIS9_EEEE10hipError_tPvRmT1_T2_T3_mT4_P12ihipStream_tbEUlT_E0_NS1_11comp_targetILNS1_3genE8ELNS1_11target_archE1030ELNS1_3gpuE2ELNS1_3repE0EEENS1_30default_config_static_selectorELNS0_4arch9wavefront6targetE0EEEvS14_
	.globl	_ZN7rocprim17ROCPRIM_400000_NS6detail17trampoline_kernelINS0_14default_configENS1_22reduce_config_selectorIN6thrust23THRUST_200600_302600_NS5tupleIblNS6_9null_typeES8_S8_S8_S8_S8_S8_S8_EEEEZNS1_11reduce_implILb1ES3_NS6_12zip_iteratorINS7_INS6_11hip_rocprim26transform_input_iterator_tIbNSD_35transform_pair_of_input_iterators_tIbNS6_6detail15normal_iteratorINS6_10device_ptrIKtEEEESL_NS6_8equal_toItEEEENSG_9not_fun_tINSD_8identityEEEEENSD_19counting_iterator_tIlEES8_S8_S8_S8_S8_S8_S8_S8_EEEEPS9_S9_NSD_9__find_if7functorIS9_EEEE10hipError_tPvRmT1_T2_T3_mT4_P12ihipStream_tbEUlT_E0_NS1_11comp_targetILNS1_3genE8ELNS1_11target_archE1030ELNS1_3gpuE2ELNS1_3repE0EEENS1_30default_config_static_selectorELNS0_4arch9wavefront6targetE0EEEvS14_
	.p2align	8
	.type	_ZN7rocprim17ROCPRIM_400000_NS6detail17trampoline_kernelINS0_14default_configENS1_22reduce_config_selectorIN6thrust23THRUST_200600_302600_NS5tupleIblNS6_9null_typeES8_S8_S8_S8_S8_S8_S8_EEEEZNS1_11reduce_implILb1ES3_NS6_12zip_iteratorINS7_INS6_11hip_rocprim26transform_input_iterator_tIbNSD_35transform_pair_of_input_iterators_tIbNS6_6detail15normal_iteratorINS6_10device_ptrIKtEEEESL_NS6_8equal_toItEEEENSG_9not_fun_tINSD_8identityEEEEENSD_19counting_iterator_tIlEES8_S8_S8_S8_S8_S8_S8_S8_EEEEPS9_S9_NSD_9__find_if7functorIS9_EEEE10hipError_tPvRmT1_T2_T3_mT4_P12ihipStream_tbEUlT_E0_NS1_11comp_targetILNS1_3genE8ELNS1_11target_archE1030ELNS1_3gpuE2ELNS1_3repE0EEENS1_30default_config_static_selectorELNS0_4arch9wavefront6targetE0EEEvS14_,@function
_ZN7rocprim17ROCPRIM_400000_NS6detail17trampoline_kernelINS0_14default_configENS1_22reduce_config_selectorIN6thrust23THRUST_200600_302600_NS5tupleIblNS6_9null_typeES8_S8_S8_S8_S8_S8_S8_EEEEZNS1_11reduce_implILb1ES3_NS6_12zip_iteratorINS7_INS6_11hip_rocprim26transform_input_iterator_tIbNSD_35transform_pair_of_input_iterators_tIbNS6_6detail15normal_iteratorINS6_10device_ptrIKtEEEESL_NS6_8equal_toItEEEENSG_9not_fun_tINSD_8identityEEEEENSD_19counting_iterator_tIlEES8_S8_S8_S8_S8_S8_S8_S8_EEEEPS9_S9_NSD_9__find_if7functorIS9_EEEE10hipError_tPvRmT1_T2_T3_mT4_P12ihipStream_tbEUlT_E0_NS1_11comp_targetILNS1_3genE8ELNS1_11target_archE1030ELNS1_3gpuE2ELNS1_3repE0EEENS1_30default_config_static_selectorELNS0_4arch9wavefront6targetE0EEEvS14_: ; @_ZN7rocprim17ROCPRIM_400000_NS6detail17trampoline_kernelINS0_14default_configENS1_22reduce_config_selectorIN6thrust23THRUST_200600_302600_NS5tupleIblNS6_9null_typeES8_S8_S8_S8_S8_S8_S8_EEEEZNS1_11reduce_implILb1ES3_NS6_12zip_iteratorINS7_INS6_11hip_rocprim26transform_input_iterator_tIbNSD_35transform_pair_of_input_iterators_tIbNS6_6detail15normal_iteratorINS6_10device_ptrIKtEEEESL_NS6_8equal_toItEEEENSG_9not_fun_tINSD_8identityEEEEENSD_19counting_iterator_tIlEES8_S8_S8_S8_S8_S8_S8_S8_EEEEPS9_S9_NSD_9__find_if7functorIS9_EEEE10hipError_tPvRmT1_T2_T3_mT4_P12ihipStream_tbEUlT_E0_NS1_11comp_targetILNS1_3genE8ELNS1_11target_archE1030ELNS1_3gpuE2ELNS1_3repE0EEENS1_30default_config_static_selectorELNS0_4arch9wavefront6targetE0EEEvS14_
; %bb.0:
	.section	.rodata,"a",@progbits
	.p2align	6, 0x0
	.amdhsa_kernel _ZN7rocprim17ROCPRIM_400000_NS6detail17trampoline_kernelINS0_14default_configENS1_22reduce_config_selectorIN6thrust23THRUST_200600_302600_NS5tupleIblNS6_9null_typeES8_S8_S8_S8_S8_S8_S8_EEEEZNS1_11reduce_implILb1ES3_NS6_12zip_iteratorINS7_INS6_11hip_rocprim26transform_input_iterator_tIbNSD_35transform_pair_of_input_iterators_tIbNS6_6detail15normal_iteratorINS6_10device_ptrIKtEEEESL_NS6_8equal_toItEEEENSG_9not_fun_tINSD_8identityEEEEENSD_19counting_iterator_tIlEES8_S8_S8_S8_S8_S8_S8_S8_EEEEPS9_S9_NSD_9__find_if7functorIS9_EEEE10hipError_tPvRmT1_T2_T3_mT4_P12ihipStream_tbEUlT_E0_NS1_11comp_targetILNS1_3genE8ELNS1_11target_archE1030ELNS1_3gpuE2ELNS1_3repE0EEENS1_30default_config_static_selectorELNS0_4arch9wavefront6targetE0EEEvS14_
		.amdhsa_group_segment_fixed_size 0
		.amdhsa_private_segment_fixed_size 0
		.amdhsa_kernarg_size 104
		.amdhsa_user_sgpr_count 15
		.amdhsa_user_sgpr_dispatch_ptr 0
		.amdhsa_user_sgpr_queue_ptr 0
		.amdhsa_user_sgpr_kernarg_segment_ptr 1
		.amdhsa_user_sgpr_dispatch_id 0
		.amdhsa_user_sgpr_private_segment_size 0
		.amdhsa_wavefront_size32 1
		.amdhsa_uses_dynamic_stack 0
		.amdhsa_enable_private_segment 0
		.amdhsa_system_sgpr_workgroup_id_x 1
		.amdhsa_system_sgpr_workgroup_id_y 0
		.amdhsa_system_sgpr_workgroup_id_z 0
		.amdhsa_system_sgpr_workgroup_info 0
		.amdhsa_system_vgpr_workitem_id 0
		.amdhsa_next_free_vgpr 1
		.amdhsa_next_free_sgpr 1
		.amdhsa_reserve_vcc 0
		.amdhsa_float_round_mode_32 0
		.amdhsa_float_round_mode_16_64 0
		.amdhsa_float_denorm_mode_32 3
		.amdhsa_float_denorm_mode_16_64 3
		.amdhsa_dx10_clamp 1
		.amdhsa_ieee_mode 1
		.amdhsa_fp16_overflow 0
		.amdhsa_workgroup_processor_mode 1
		.amdhsa_memory_ordered 1
		.amdhsa_forward_progress 0
		.amdhsa_shared_vgpr_count 0
		.amdhsa_exception_fp_ieee_invalid_op 0
		.amdhsa_exception_fp_denorm_src 0
		.amdhsa_exception_fp_ieee_div_zero 0
		.amdhsa_exception_fp_ieee_overflow 0
		.amdhsa_exception_fp_ieee_underflow 0
		.amdhsa_exception_fp_ieee_inexact 0
		.amdhsa_exception_int_div_zero 0
	.end_amdhsa_kernel
	.section	.text._ZN7rocprim17ROCPRIM_400000_NS6detail17trampoline_kernelINS0_14default_configENS1_22reduce_config_selectorIN6thrust23THRUST_200600_302600_NS5tupleIblNS6_9null_typeES8_S8_S8_S8_S8_S8_S8_EEEEZNS1_11reduce_implILb1ES3_NS6_12zip_iteratorINS7_INS6_11hip_rocprim26transform_input_iterator_tIbNSD_35transform_pair_of_input_iterators_tIbNS6_6detail15normal_iteratorINS6_10device_ptrIKtEEEESL_NS6_8equal_toItEEEENSG_9not_fun_tINSD_8identityEEEEENSD_19counting_iterator_tIlEES8_S8_S8_S8_S8_S8_S8_S8_EEEEPS9_S9_NSD_9__find_if7functorIS9_EEEE10hipError_tPvRmT1_T2_T3_mT4_P12ihipStream_tbEUlT_E0_NS1_11comp_targetILNS1_3genE8ELNS1_11target_archE1030ELNS1_3gpuE2ELNS1_3repE0EEENS1_30default_config_static_selectorELNS0_4arch9wavefront6targetE0EEEvS14_,"axG",@progbits,_ZN7rocprim17ROCPRIM_400000_NS6detail17trampoline_kernelINS0_14default_configENS1_22reduce_config_selectorIN6thrust23THRUST_200600_302600_NS5tupleIblNS6_9null_typeES8_S8_S8_S8_S8_S8_S8_EEEEZNS1_11reduce_implILb1ES3_NS6_12zip_iteratorINS7_INS6_11hip_rocprim26transform_input_iterator_tIbNSD_35transform_pair_of_input_iterators_tIbNS6_6detail15normal_iteratorINS6_10device_ptrIKtEEEESL_NS6_8equal_toItEEEENSG_9not_fun_tINSD_8identityEEEEENSD_19counting_iterator_tIlEES8_S8_S8_S8_S8_S8_S8_S8_EEEEPS9_S9_NSD_9__find_if7functorIS9_EEEE10hipError_tPvRmT1_T2_T3_mT4_P12ihipStream_tbEUlT_E0_NS1_11comp_targetILNS1_3genE8ELNS1_11target_archE1030ELNS1_3gpuE2ELNS1_3repE0EEENS1_30default_config_static_selectorELNS0_4arch9wavefront6targetE0EEEvS14_,comdat
.Lfunc_end509:
	.size	_ZN7rocprim17ROCPRIM_400000_NS6detail17trampoline_kernelINS0_14default_configENS1_22reduce_config_selectorIN6thrust23THRUST_200600_302600_NS5tupleIblNS6_9null_typeES8_S8_S8_S8_S8_S8_S8_EEEEZNS1_11reduce_implILb1ES3_NS6_12zip_iteratorINS7_INS6_11hip_rocprim26transform_input_iterator_tIbNSD_35transform_pair_of_input_iterators_tIbNS6_6detail15normal_iteratorINS6_10device_ptrIKtEEEESL_NS6_8equal_toItEEEENSG_9not_fun_tINSD_8identityEEEEENSD_19counting_iterator_tIlEES8_S8_S8_S8_S8_S8_S8_S8_EEEEPS9_S9_NSD_9__find_if7functorIS9_EEEE10hipError_tPvRmT1_T2_T3_mT4_P12ihipStream_tbEUlT_E0_NS1_11comp_targetILNS1_3genE8ELNS1_11target_archE1030ELNS1_3gpuE2ELNS1_3repE0EEENS1_30default_config_static_selectorELNS0_4arch9wavefront6targetE0EEEvS14_, .Lfunc_end509-_ZN7rocprim17ROCPRIM_400000_NS6detail17trampoline_kernelINS0_14default_configENS1_22reduce_config_selectorIN6thrust23THRUST_200600_302600_NS5tupleIblNS6_9null_typeES8_S8_S8_S8_S8_S8_S8_EEEEZNS1_11reduce_implILb1ES3_NS6_12zip_iteratorINS7_INS6_11hip_rocprim26transform_input_iterator_tIbNSD_35transform_pair_of_input_iterators_tIbNS6_6detail15normal_iteratorINS6_10device_ptrIKtEEEESL_NS6_8equal_toItEEEENSG_9not_fun_tINSD_8identityEEEEENSD_19counting_iterator_tIlEES8_S8_S8_S8_S8_S8_S8_S8_EEEEPS9_S9_NSD_9__find_if7functorIS9_EEEE10hipError_tPvRmT1_T2_T3_mT4_P12ihipStream_tbEUlT_E0_NS1_11comp_targetILNS1_3genE8ELNS1_11target_archE1030ELNS1_3gpuE2ELNS1_3repE0EEENS1_30default_config_static_selectorELNS0_4arch9wavefront6targetE0EEEvS14_
                                        ; -- End function
	.section	.AMDGPU.csdata,"",@progbits
; Kernel info:
; codeLenInByte = 0
; NumSgprs: 0
; NumVgprs: 0
; ScratchSize: 0
; MemoryBound: 0
; FloatMode: 240
; IeeeMode: 1
; LDSByteSize: 0 bytes/workgroup (compile time only)
; SGPRBlocks: 0
; VGPRBlocks: 0
; NumSGPRsForWavesPerEU: 1
; NumVGPRsForWavesPerEU: 1
; Occupancy: 16
; WaveLimiterHint : 0
; COMPUTE_PGM_RSRC2:SCRATCH_EN: 0
; COMPUTE_PGM_RSRC2:USER_SGPR: 15
; COMPUTE_PGM_RSRC2:TRAP_HANDLER: 0
; COMPUTE_PGM_RSRC2:TGID_X_EN: 1
; COMPUTE_PGM_RSRC2:TGID_Y_EN: 0
; COMPUTE_PGM_RSRC2:TGID_Z_EN: 0
; COMPUTE_PGM_RSRC2:TIDIG_COMP_CNT: 0
	.section	.text._ZN7rocprim17ROCPRIM_400000_NS6detail17trampoline_kernelINS0_14default_configENS1_22reduce_config_selectorIN6thrust23THRUST_200600_302600_NS5tupleIblNS6_9null_typeES8_S8_S8_S8_S8_S8_S8_EEEEZNS1_11reduce_implILb1ES3_NS6_12zip_iteratorINS7_INS6_11hip_rocprim26transform_input_iterator_tIbNSD_35transform_pair_of_input_iterators_tIbNS6_6detail15normal_iteratorINS6_10device_ptrIKtEEEESL_NS6_8equal_toItEEEENSG_9not_fun_tINSD_8identityEEEEENSD_19counting_iterator_tIlEES8_S8_S8_S8_S8_S8_S8_S8_EEEEPS9_S9_NSD_9__find_if7functorIS9_EEEE10hipError_tPvRmT1_T2_T3_mT4_P12ihipStream_tbEUlT_E1_NS1_11comp_targetILNS1_3genE0ELNS1_11target_archE4294967295ELNS1_3gpuE0ELNS1_3repE0EEENS1_30default_config_static_selectorELNS0_4arch9wavefront6targetE0EEEvS14_,"axG",@progbits,_ZN7rocprim17ROCPRIM_400000_NS6detail17trampoline_kernelINS0_14default_configENS1_22reduce_config_selectorIN6thrust23THRUST_200600_302600_NS5tupleIblNS6_9null_typeES8_S8_S8_S8_S8_S8_S8_EEEEZNS1_11reduce_implILb1ES3_NS6_12zip_iteratorINS7_INS6_11hip_rocprim26transform_input_iterator_tIbNSD_35transform_pair_of_input_iterators_tIbNS6_6detail15normal_iteratorINS6_10device_ptrIKtEEEESL_NS6_8equal_toItEEEENSG_9not_fun_tINSD_8identityEEEEENSD_19counting_iterator_tIlEES8_S8_S8_S8_S8_S8_S8_S8_EEEEPS9_S9_NSD_9__find_if7functorIS9_EEEE10hipError_tPvRmT1_T2_T3_mT4_P12ihipStream_tbEUlT_E1_NS1_11comp_targetILNS1_3genE0ELNS1_11target_archE4294967295ELNS1_3gpuE0ELNS1_3repE0EEENS1_30default_config_static_selectorELNS0_4arch9wavefront6targetE0EEEvS14_,comdat
	.protected	_ZN7rocprim17ROCPRIM_400000_NS6detail17trampoline_kernelINS0_14default_configENS1_22reduce_config_selectorIN6thrust23THRUST_200600_302600_NS5tupleIblNS6_9null_typeES8_S8_S8_S8_S8_S8_S8_EEEEZNS1_11reduce_implILb1ES3_NS6_12zip_iteratorINS7_INS6_11hip_rocprim26transform_input_iterator_tIbNSD_35transform_pair_of_input_iterators_tIbNS6_6detail15normal_iteratorINS6_10device_ptrIKtEEEESL_NS6_8equal_toItEEEENSG_9not_fun_tINSD_8identityEEEEENSD_19counting_iterator_tIlEES8_S8_S8_S8_S8_S8_S8_S8_EEEEPS9_S9_NSD_9__find_if7functorIS9_EEEE10hipError_tPvRmT1_T2_T3_mT4_P12ihipStream_tbEUlT_E1_NS1_11comp_targetILNS1_3genE0ELNS1_11target_archE4294967295ELNS1_3gpuE0ELNS1_3repE0EEENS1_30default_config_static_selectorELNS0_4arch9wavefront6targetE0EEEvS14_ ; -- Begin function _ZN7rocprim17ROCPRIM_400000_NS6detail17trampoline_kernelINS0_14default_configENS1_22reduce_config_selectorIN6thrust23THRUST_200600_302600_NS5tupleIblNS6_9null_typeES8_S8_S8_S8_S8_S8_S8_EEEEZNS1_11reduce_implILb1ES3_NS6_12zip_iteratorINS7_INS6_11hip_rocprim26transform_input_iterator_tIbNSD_35transform_pair_of_input_iterators_tIbNS6_6detail15normal_iteratorINS6_10device_ptrIKtEEEESL_NS6_8equal_toItEEEENSG_9not_fun_tINSD_8identityEEEEENSD_19counting_iterator_tIlEES8_S8_S8_S8_S8_S8_S8_S8_EEEEPS9_S9_NSD_9__find_if7functorIS9_EEEE10hipError_tPvRmT1_T2_T3_mT4_P12ihipStream_tbEUlT_E1_NS1_11comp_targetILNS1_3genE0ELNS1_11target_archE4294967295ELNS1_3gpuE0ELNS1_3repE0EEENS1_30default_config_static_selectorELNS0_4arch9wavefront6targetE0EEEvS14_
	.globl	_ZN7rocprim17ROCPRIM_400000_NS6detail17trampoline_kernelINS0_14default_configENS1_22reduce_config_selectorIN6thrust23THRUST_200600_302600_NS5tupleIblNS6_9null_typeES8_S8_S8_S8_S8_S8_S8_EEEEZNS1_11reduce_implILb1ES3_NS6_12zip_iteratorINS7_INS6_11hip_rocprim26transform_input_iterator_tIbNSD_35transform_pair_of_input_iterators_tIbNS6_6detail15normal_iteratorINS6_10device_ptrIKtEEEESL_NS6_8equal_toItEEEENSG_9not_fun_tINSD_8identityEEEEENSD_19counting_iterator_tIlEES8_S8_S8_S8_S8_S8_S8_S8_EEEEPS9_S9_NSD_9__find_if7functorIS9_EEEE10hipError_tPvRmT1_T2_T3_mT4_P12ihipStream_tbEUlT_E1_NS1_11comp_targetILNS1_3genE0ELNS1_11target_archE4294967295ELNS1_3gpuE0ELNS1_3repE0EEENS1_30default_config_static_selectorELNS0_4arch9wavefront6targetE0EEEvS14_
	.p2align	8
	.type	_ZN7rocprim17ROCPRIM_400000_NS6detail17trampoline_kernelINS0_14default_configENS1_22reduce_config_selectorIN6thrust23THRUST_200600_302600_NS5tupleIblNS6_9null_typeES8_S8_S8_S8_S8_S8_S8_EEEEZNS1_11reduce_implILb1ES3_NS6_12zip_iteratorINS7_INS6_11hip_rocprim26transform_input_iterator_tIbNSD_35transform_pair_of_input_iterators_tIbNS6_6detail15normal_iteratorINS6_10device_ptrIKtEEEESL_NS6_8equal_toItEEEENSG_9not_fun_tINSD_8identityEEEEENSD_19counting_iterator_tIlEES8_S8_S8_S8_S8_S8_S8_S8_EEEEPS9_S9_NSD_9__find_if7functorIS9_EEEE10hipError_tPvRmT1_T2_T3_mT4_P12ihipStream_tbEUlT_E1_NS1_11comp_targetILNS1_3genE0ELNS1_11target_archE4294967295ELNS1_3gpuE0ELNS1_3repE0EEENS1_30default_config_static_selectorELNS0_4arch9wavefront6targetE0EEEvS14_,@function
_ZN7rocprim17ROCPRIM_400000_NS6detail17trampoline_kernelINS0_14default_configENS1_22reduce_config_selectorIN6thrust23THRUST_200600_302600_NS5tupleIblNS6_9null_typeES8_S8_S8_S8_S8_S8_S8_EEEEZNS1_11reduce_implILb1ES3_NS6_12zip_iteratorINS7_INS6_11hip_rocprim26transform_input_iterator_tIbNSD_35transform_pair_of_input_iterators_tIbNS6_6detail15normal_iteratorINS6_10device_ptrIKtEEEESL_NS6_8equal_toItEEEENSG_9not_fun_tINSD_8identityEEEEENSD_19counting_iterator_tIlEES8_S8_S8_S8_S8_S8_S8_S8_EEEEPS9_S9_NSD_9__find_if7functorIS9_EEEE10hipError_tPvRmT1_T2_T3_mT4_P12ihipStream_tbEUlT_E1_NS1_11comp_targetILNS1_3genE0ELNS1_11target_archE4294967295ELNS1_3gpuE0ELNS1_3repE0EEENS1_30default_config_static_selectorELNS0_4arch9wavefront6targetE0EEEvS14_: ; @_ZN7rocprim17ROCPRIM_400000_NS6detail17trampoline_kernelINS0_14default_configENS1_22reduce_config_selectorIN6thrust23THRUST_200600_302600_NS5tupleIblNS6_9null_typeES8_S8_S8_S8_S8_S8_S8_EEEEZNS1_11reduce_implILb1ES3_NS6_12zip_iteratorINS7_INS6_11hip_rocprim26transform_input_iterator_tIbNSD_35transform_pair_of_input_iterators_tIbNS6_6detail15normal_iteratorINS6_10device_ptrIKtEEEESL_NS6_8equal_toItEEEENSG_9not_fun_tINSD_8identityEEEEENSD_19counting_iterator_tIlEES8_S8_S8_S8_S8_S8_S8_S8_EEEEPS9_S9_NSD_9__find_if7functorIS9_EEEE10hipError_tPvRmT1_T2_T3_mT4_P12ihipStream_tbEUlT_E1_NS1_11comp_targetILNS1_3genE0ELNS1_11target_archE4294967295ELNS1_3gpuE0ELNS1_3repE0EEENS1_30default_config_static_selectorELNS0_4arch9wavefront6targetE0EEEvS14_
; %bb.0:
	.section	.rodata,"a",@progbits
	.p2align	6, 0x0
	.amdhsa_kernel _ZN7rocprim17ROCPRIM_400000_NS6detail17trampoline_kernelINS0_14default_configENS1_22reduce_config_selectorIN6thrust23THRUST_200600_302600_NS5tupleIblNS6_9null_typeES8_S8_S8_S8_S8_S8_S8_EEEEZNS1_11reduce_implILb1ES3_NS6_12zip_iteratorINS7_INS6_11hip_rocprim26transform_input_iterator_tIbNSD_35transform_pair_of_input_iterators_tIbNS6_6detail15normal_iteratorINS6_10device_ptrIKtEEEESL_NS6_8equal_toItEEEENSG_9not_fun_tINSD_8identityEEEEENSD_19counting_iterator_tIlEES8_S8_S8_S8_S8_S8_S8_S8_EEEEPS9_S9_NSD_9__find_if7functorIS9_EEEE10hipError_tPvRmT1_T2_T3_mT4_P12ihipStream_tbEUlT_E1_NS1_11comp_targetILNS1_3genE0ELNS1_11target_archE4294967295ELNS1_3gpuE0ELNS1_3repE0EEENS1_30default_config_static_selectorELNS0_4arch9wavefront6targetE0EEEvS14_
		.amdhsa_group_segment_fixed_size 0
		.amdhsa_private_segment_fixed_size 0
		.amdhsa_kernarg_size 88
		.amdhsa_user_sgpr_count 15
		.amdhsa_user_sgpr_dispatch_ptr 0
		.amdhsa_user_sgpr_queue_ptr 0
		.amdhsa_user_sgpr_kernarg_segment_ptr 1
		.amdhsa_user_sgpr_dispatch_id 0
		.amdhsa_user_sgpr_private_segment_size 0
		.amdhsa_wavefront_size32 1
		.amdhsa_uses_dynamic_stack 0
		.amdhsa_enable_private_segment 0
		.amdhsa_system_sgpr_workgroup_id_x 1
		.amdhsa_system_sgpr_workgroup_id_y 0
		.amdhsa_system_sgpr_workgroup_id_z 0
		.amdhsa_system_sgpr_workgroup_info 0
		.amdhsa_system_vgpr_workitem_id 0
		.amdhsa_next_free_vgpr 1
		.amdhsa_next_free_sgpr 1
		.amdhsa_reserve_vcc 0
		.amdhsa_float_round_mode_32 0
		.amdhsa_float_round_mode_16_64 0
		.amdhsa_float_denorm_mode_32 3
		.amdhsa_float_denorm_mode_16_64 3
		.amdhsa_dx10_clamp 1
		.amdhsa_ieee_mode 1
		.amdhsa_fp16_overflow 0
		.amdhsa_workgroup_processor_mode 1
		.amdhsa_memory_ordered 1
		.amdhsa_forward_progress 0
		.amdhsa_shared_vgpr_count 0
		.amdhsa_exception_fp_ieee_invalid_op 0
		.amdhsa_exception_fp_denorm_src 0
		.amdhsa_exception_fp_ieee_div_zero 0
		.amdhsa_exception_fp_ieee_overflow 0
		.amdhsa_exception_fp_ieee_underflow 0
		.amdhsa_exception_fp_ieee_inexact 0
		.amdhsa_exception_int_div_zero 0
	.end_amdhsa_kernel
	.section	.text._ZN7rocprim17ROCPRIM_400000_NS6detail17trampoline_kernelINS0_14default_configENS1_22reduce_config_selectorIN6thrust23THRUST_200600_302600_NS5tupleIblNS6_9null_typeES8_S8_S8_S8_S8_S8_S8_EEEEZNS1_11reduce_implILb1ES3_NS6_12zip_iteratorINS7_INS6_11hip_rocprim26transform_input_iterator_tIbNSD_35transform_pair_of_input_iterators_tIbNS6_6detail15normal_iteratorINS6_10device_ptrIKtEEEESL_NS6_8equal_toItEEEENSG_9not_fun_tINSD_8identityEEEEENSD_19counting_iterator_tIlEES8_S8_S8_S8_S8_S8_S8_S8_EEEEPS9_S9_NSD_9__find_if7functorIS9_EEEE10hipError_tPvRmT1_T2_T3_mT4_P12ihipStream_tbEUlT_E1_NS1_11comp_targetILNS1_3genE0ELNS1_11target_archE4294967295ELNS1_3gpuE0ELNS1_3repE0EEENS1_30default_config_static_selectorELNS0_4arch9wavefront6targetE0EEEvS14_,"axG",@progbits,_ZN7rocprim17ROCPRIM_400000_NS6detail17trampoline_kernelINS0_14default_configENS1_22reduce_config_selectorIN6thrust23THRUST_200600_302600_NS5tupleIblNS6_9null_typeES8_S8_S8_S8_S8_S8_S8_EEEEZNS1_11reduce_implILb1ES3_NS6_12zip_iteratorINS7_INS6_11hip_rocprim26transform_input_iterator_tIbNSD_35transform_pair_of_input_iterators_tIbNS6_6detail15normal_iteratorINS6_10device_ptrIKtEEEESL_NS6_8equal_toItEEEENSG_9not_fun_tINSD_8identityEEEEENSD_19counting_iterator_tIlEES8_S8_S8_S8_S8_S8_S8_S8_EEEEPS9_S9_NSD_9__find_if7functorIS9_EEEE10hipError_tPvRmT1_T2_T3_mT4_P12ihipStream_tbEUlT_E1_NS1_11comp_targetILNS1_3genE0ELNS1_11target_archE4294967295ELNS1_3gpuE0ELNS1_3repE0EEENS1_30default_config_static_selectorELNS0_4arch9wavefront6targetE0EEEvS14_,comdat
.Lfunc_end510:
	.size	_ZN7rocprim17ROCPRIM_400000_NS6detail17trampoline_kernelINS0_14default_configENS1_22reduce_config_selectorIN6thrust23THRUST_200600_302600_NS5tupleIblNS6_9null_typeES8_S8_S8_S8_S8_S8_S8_EEEEZNS1_11reduce_implILb1ES3_NS6_12zip_iteratorINS7_INS6_11hip_rocprim26transform_input_iterator_tIbNSD_35transform_pair_of_input_iterators_tIbNS6_6detail15normal_iteratorINS6_10device_ptrIKtEEEESL_NS6_8equal_toItEEEENSG_9not_fun_tINSD_8identityEEEEENSD_19counting_iterator_tIlEES8_S8_S8_S8_S8_S8_S8_S8_EEEEPS9_S9_NSD_9__find_if7functorIS9_EEEE10hipError_tPvRmT1_T2_T3_mT4_P12ihipStream_tbEUlT_E1_NS1_11comp_targetILNS1_3genE0ELNS1_11target_archE4294967295ELNS1_3gpuE0ELNS1_3repE0EEENS1_30default_config_static_selectorELNS0_4arch9wavefront6targetE0EEEvS14_, .Lfunc_end510-_ZN7rocprim17ROCPRIM_400000_NS6detail17trampoline_kernelINS0_14default_configENS1_22reduce_config_selectorIN6thrust23THRUST_200600_302600_NS5tupleIblNS6_9null_typeES8_S8_S8_S8_S8_S8_S8_EEEEZNS1_11reduce_implILb1ES3_NS6_12zip_iteratorINS7_INS6_11hip_rocprim26transform_input_iterator_tIbNSD_35transform_pair_of_input_iterators_tIbNS6_6detail15normal_iteratorINS6_10device_ptrIKtEEEESL_NS6_8equal_toItEEEENSG_9not_fun_tINSD_8identityEEEEENSD_19counting_iterator_tIlEES8_S8_S8_S8_S8_S8_S8_S8_EEEEPS9_S9_NSD_9__find_if7functorIS9_EEEE10hipError_tPvRmT1_T2_T3_mT4_P12ihipStream_tbEUlT_E1_NS1_11comp_targetILNS1_3genE0ELNS1_11target_archE4294967295ELNS1_3gpuE0ELNS1_3repE0EEENS1_30default_config_static_selectorELNS0_4arch9wavefront6targetE0EEEvS14_
                                        ; -- End function
	.section	.AMDGPU.csdata,"",@progbits
; Kernel info:
; codeLenInByte = 0
; NumSgprs: 0
; NumVgprs: 0
; ScratchSize: 0
; MemoryBound: 0
; FloatMode: 240
; IeeeMode: 1
; LDSByteSize: 0 bytes/workgroup (compile time only)
; SGPRBlocks: 0
; VGPRBlocks: 0
; NumSGPRsForWavesPerEU: 1
; NumVGPRsForWavesPerEU: 1
; Occupancy: 16
; WaveLimiterHint : 0
; COMPUTE_PGM_RSRC2:SCRATCH_EN: 0
; COMPUTE_PGM_RSRC2:USER_SGPR: 15
; COMPUTE_PGM_RSRC2:TRAP_HANDLER: 0
; COMPUTE_PGM_RSRC2:TGID_X_EN: 1
; COMPUTE_PGM_RSRC2:TGID_Y_EN: 0
; COMPUTE_PGM_RSRC2:TGID_Z_EN: 0
; COMPUTE_PGM_RSRC2:TIDIG_COMP_CNT: 0
	.section	.text._ZN7rocprim17ROCPRIM_400000_NS6detail17trampoline_kernelINS0_14default_configENS1_22reduce_config_selectorIN6thrust23THRUST_200600_302600_NS5tupleIblNS6_9null_typeES8_S8_S8_S8_S8_S8_S8_EEEEZNS1_11reduce_implILb1ES3_NS6_12zip_iteratorINS7_INS6_11hip_rocprim26transform_input_iterator_tIbNSD_35transform_pair_of_input_iterators_tIbNS6_6detail15normal_iteratorINS6_10device_ptrIKtEEEESL_NS6_8equal_toItEEEENSG_9not_fun_tINSD_8identityEEEEENSD_19counting_iterator_tIlEES8_S8_S8_S8_S8_S8_S8_S8_EEEEPS9_S9_NSD_9__find_if7functorIS9_EEEE10hipError_tPvRmT1_T2_T3_mT4_P12ihipStream_tbEUlT_E1_NS1_11comp_targetILNS1_3genE5ELNS1_11target_archE942ELNS1_3gpuE9ELNS1_3repE0EEENS1_30default_config_static_selectorELNS0_4arch9wavefront6targetE0EEEvS14_,"axG",@progbits,_ZN7rocprim17ROCPRIM_400000_NS6detail17trampoline_kernelINS0_14default_configENS1_22reduce_config_selectorIN6thrust23THRUST_200600_302600_NS5tupleIblNS6_9null_typeES8_S8_S8_S8_S8_S8_S8_EEEEZNS1_11reduce_implILb1ES3_NS6_12zip_iteratorINS7_INS6_11hip_rocprim26transform_input_iterator_tIbNSD_35transform_pair_of_input_iterators_tIbNS6_6detail15normal_iteratorINS6_10device_ptrIKtEEEESL_NS6_8equal_toItEEEENSG_9not_fun_tINSD_8identityEEEEENSD_19counting_iterator_tIlEES8_S8_S8_S8_S8_S8_S8_S8_EEEEPS9_S9_NSD_9__find_if7functorIS9_EEEE10hipError_tPvRmT1_T2_T3_mT4_P12ihipStream_tbEUlT_E1_NS1_11comp_targetILNS1_3genE5ELNS1_11target_archE942ELNS1_3gpuE9ELNS1_3repE0EEENS1_30default_config_static_selectorELNS0_4arch9wavefront6targetE0EEEvS14_,comdat
	.protected	_ZN7rocprim17ROCPRIM_400000_NS6detail17trampoline_kernelINS0_14default_configENS1_22reduce_config_selectorIN6thrust23THRUST_200600_302600_NS5tupleIblNS6_9null_typeES8_S8_S8_S8_S8_S8_S8_EEEEZNS1_11reduce_implILb1ES3_NS6_12zip_iteratorINS7_INS6_11hip_rocprim26transform_input_iterator_tIbNSD_35transform_pair_of_input_iterators_tIbNS6_6detail15normal_iteratorINS6_10device_ptrIKtEEEESL_NS6_8equal_toItEEEENSG_9not_fun_tINSD_8identityEEEEENSD_19counting_iterator_tIlEES8_S8_S8_S8_S8_S8_S8_S8_EEEEPS9_S9_NSD_9__find_if7functorIS9_EEEE10hipError_tPvRmT1_T2_T3_mT4_P12ihipStream_tbEUlT_E1_NS1_11comp_targetILNS1_3genE5ELNS1_11target_archE942ELNS1_3gpuE9ELNS1_3repE0EEENS1_30default_config_static_selectorELNS0_4arch9wavefront6targetE0EEEvS14_ ; -- Begin function _ZN7rocprim17ROCPRIM_400000_NS6detail17trampoline_kernelINS0_14default_configENS1_22reduce_config_selectorIN6thrust23THRUST_200600_302600_NS5tupleIblNS6_9null_typeES8_S8_S8_S8_S8_S8_S8_EEEEZNS1_11reduce_implILb1ES3_NS6_12zip_iteratorINS7_INS6_11hip_rocprim26transform_input_iterator_tIbNSD_35transform_pair_of_input_iterators_tIbNS6_6detail15normal_iteratorINS6_10device_ptrIKtEEEESL_NS6_8equal_toItEEEENSG_9not_fun_tINSD_8identityEEEEENSD_19counting_iterator_tIlEES8_S8_S8_S8_S8_S8_S8_S8_EEEEPS9_S9_NSD_9__find_if7functorIS9_EEEE10hipError_tPvRmT1_T2_T3_mT4_P12ihipStream_tbEUlT_E1_NS1_11comp_targetILNS1_3genE5ELNS1_11target_archE942ELNS1_3gpuE9ELNS1_3repE0EEENS1_30default_config_static_selectorELNS0_4arch9wavefront6targetE0EEEvS14_
	.globl	_ZN7rocprim17ROCPRIM_400000_NS6detail17trampoline_kernelINS0_14default_configENS1_22reduce_config_selectorIN6thrust23THRUST_200600_302600_NS5tupleIblNS6_9null_typeES8_S8_S8_S8_S8_S8_S8_EEEEZNS1_11reduce_implILb1ES3_NS6_12zip_iteratorINS7_INS6_11hip_rocprim26transform_input_iterator_tIbNSD_35transform_pair_of_input_iterators_tIbNS6_6detail15normal_iteratorINS6_10device_ptrIKtEEEESL_NS6_8equal_toItEEEENSG_9not_fun_tINSD_8identityEEEEENSD_19counting_iterator_tIlEES8_S8_S8_S8_S8_S8_S8_S8_EEEEPS9_S9_NSD_9__find_if7functorIS9_EEEE10hipError_tPvRmT1_T2_T3_mT4_P12ihipStream_tbEUlT_E1_NS1_11comp_targetILNS1_3genE5ELNS1_11target_archE942ELNS1_3gpuE9ELNS1_3repE0EEENS1_30default_config_static_selectorELNS0_4arch9wavefront6targetE0EEEvS14_
	.p2align	8
	.type	_ZN7rocprim17ROCPRIM_400000_NS6detail17trampoline_kernelINS0_14default_configENS1_22reduce_config_selectorIN6thrust23THRUST_200600_302600_NS5tupleIblNS6_9null_typeES8_S8_S8_S8_S8_S8_S8_EEEEZNS1_11reduce_implILb1ES3_NS6_12zip_iteratorINS7_INS6_11hip_rocprim26transform_input_iterator_tIbNSD_35transform_pair_of_input_iterators_tIbNS6_6detail15normal_iteratorINS6_10device_ptrIKtEEEESL_NS6_8equal_toItEEEENSG_9not_fun_tINSD_8identityEEEEENSD_19counting_iterator_tIlEES8_S8_S8_S8_S8_S8_S8_S8_EEEEPS9_S9_NSD_9__find_if7functorIS9_EEEE10hipError_tPvRmT1_T2_T3_mT4_P12ihipStream_tbEUlT_E1_NS1_11comp_targetILNS1_3genE5ELNS1_11target_archE942ELNS1_3gpuE9ELNS1_3repE0EEENS1_30default_config_static_selectorELNS0_4arch9wavefront6targetE0EEEvS14_,@function
_ZN7rocprim17ROCPRIM_400000_NS6detail17trampoline_kernelINS0_14default_configENS1_22reduce_config_selectorIN6thrust23THRUST_200600_302600_NS5tupleIblNS6_9null_typeES8_S8_S8_S8_S8_S8_S8_EEEEZNS1_11reduce_implILb1ES3_NS6_12zip_iteratorINS7_INS6_11hip_rocprim26transform_input_iterator_tIbNSD_35transform_pair_of_input_iterators_tIbNS6_6detail15normal_iteratorINS6_10device_ptrIKtEEEESL_NS6_8equal_toItEEEENSG_9not_fun_tINSD_8identityEEEEENSD_19counting_iterator_tIlEES8_S8_S8_S8_S8_S8_S8_S8_EEEEPS9_S9_NSD_9__find_if7functorIS9_EEEE10hipError_tPvRmT1_T2_T3_mT4_P12ihipStream_tbEUlT_E1_NS1_11comp_targetILNS1_3genE5ELNS1_11target_archE942ELNS1_3gpuE9ELNS1_3repE0EEENS1_30default_config_static_selectorELNS0_4arch9wavefront6targetE0EEEvS14_: ; @_ZN7rocprim17ROCPRIM_400000_NS6detail17trampoline_kernelINS0_14default_configENS1_22reduce_config_selectorIN6thrust23THRUST_200600_302600_NS5tupleIblNS6_9null_typeES8_S8_S8_S8_S8_S8_S8_EEEEZNS1_11reduce_implILb1ES3_NS6_12zip_iteratorINS7_INS6_11hip_rocprim26transform_input_iterator_tIbNSD_35transform_pair_of_input_iterators_tIbNS6_6detail15normal_iteratorINS6_10device_ptrIKtEEEESL_NS6_8equal_toItEEEENSG_9not_fun_tINSD_8identityEEEEENSD_19counting_iterator_tIlEES8_S8_S8_S8_S8_S8_S8_S8_EEEEPS9_S9_NSD_9__find_if7functorIS9_EEEE10hipError_tPvRmT1_T2_T3_mT4_P12ihipStream_tbEUlT_E1_NS1_11comp_targetILNS1_3genE5ELNS1_11target_archE942ELNS1_3gpuE9ELNS1_3repE0EEENS1_30default_config_static_selectorELNS0_4arch9wavefront6targetE0EEEvS14_
; %bb.0:
	.section	.rodata,"a",@progbits
	.p2align	6, 0x0
	.amdhsa_kernel _ZN7rocprim17ROCPRIM_400000_NS6detail17trampoline_kernelINS0_14default_configENS1_22reduce_config_selectorIN6thrust23THRUST_200600_302600_NS5tupleIblNS6_9null_typeES8_S8_S8_S8_S8_S8_S8_EEEEZNS1_11reduce_implILb1ES3_NS6_12zip_iteratorINS7_INS6_11hip_rocprim26transform_input_iterator_tIbNSD_35transform_pair_of_input_iterators_tIbNS6_6detail15normal_iteratorINS6_10device_ptrIKtEEEESL_NS6_8equal_toItEEEENSG_9not_fun_tINSD_8identityEEEEENSD_19counting_iterator_tIlEES8_S8_S8_S8_S8_S8_S8_S8_EEEEPS9_S9_NSD_9__find_if7functorIS9_EEEE10hipError_tPvRmT1_T2_T3_mT4_P12ihipStream_tbEUlT_E1_NS1_11comp_targetILNS1_3genE5ELNS1_11target_archE942ELNS1_3gpuE9ELNS1_3repE0EEENS1_30default_config_static_selectorELNS0_4arch9wavefront6targetE0EEEvS14_
		.amdhsa_group_segment_fixed_size 0
		.amdhsa_private_segment_fixed_size 0
		.amdhsa_kernarg_size 88
		.amdhsa_user_sgpr_count 15
		.amdhsa_user_sgpr_dispatch_ptr 0
		.amdhsa_user_sgpr_queue_ptr 0
		.amdhsa_user_sgpr_kernarg_segment_ptr 1
		.amdhsa_user_sgpr_dispatch_id 0
		.amdhsa_user_sgpr_private_segment_size 0
		.amdhsa_wavefront_size32 1
		.amdhsa_uses_dynamic_stack 0
		.amdhsa_enable_private_segment 0
		.amdhsa_system_sgpr_workgroup_id_x 1
		.amdhsa_system_sgpr_workgroup_id_y 0
		.amdhsa_system_sgpr_workgroup_id_z 0
		.amdhsa_system_sgpr_workgroup_info 0
		.amdhsa_system_vgpr_workitem_id 0
		.amdhsa_next_free_vgpr 1
		.amdhsa_next_free_sgpr 1
		.amdhsa_reserve_vcc 0
		.amdhsa_float_round_mode_32 0
		.amdhsa_float_round_mode_16_64 0
		.amdhsa_float_denorm_mode_32 3
		.amdhsa_float_denorm_mode_16_64 3
		.amdhsa_dx10_clamp 1
		.amdhsa_ieee_mode 1
		.amdhsa_fp16_overflow 0
		.amdhsa_workgroup_processor_mode 1
		.amdhsa_memory_ordered 1
		.amdhsa_forward_progress 0
		.amdhsa_shared_vgpr_count 0
		.amdhsa_exception_fp_ieee_invalid_op 0
		.amdhsa_exception_fp_denorm_src 0
		.amdhsa_exception_fp_ieee_div_zero 0
		.amdhsa_exception_fp_ieee_overflow 0
		.amdhsa_exception_fp_ieee_underflow 0
		.amdhsa_exception_fp_ieee_inexact 0
		.amdhsa_exception_int_div_zero 0
	.end_amdhsa_kernel
	.section	.text._ZN7rocprim17ROCPRIM_400000_NS6detail17trampoline_kernelINS0_14default_configENS1_22reduce_config_selectorIN6thrust23THRUST_200600_302600_NS5tupleIblNS6_9null_typeES8_S8_S8_S8_S8_S8_S8_EEEEZNS1_11reduce_implILb1ES3_NS6_12zip_iteratorINS7_INS6_11hip_rocprim26transform_input_iterator_tIbNSD_35transform_pair_of_input_iterators_tIbNS6_6detail15normal_iteratorINS6_10device_ptrIKtEEEESL_NS6_8equal_toItEEEENSG_9not_fun_tINSD_8identityEEEEENSD_19counting_iterator_tIlEES8_S8_S8_S8_S8_S8_S8_S8_EEEEPS9_S9_NSD_9__find_if7functorIS9_EEEE10hipError_tPvRmT1_T2_T3_mT4_P12ihipStream_tbEUlT_E1_NS1_11comp_targetILNS1_3genE5ELNS1_11target_archE942ELNS1_3gpuE9ELNS1_3repE0EEENS1_30default_config_static_selectorELNS0_4arch9wavefront6targetE0EEEvS14_,"axG",@progbits,_ZN7rocprim17ROCPRIM_400000_NS6detail17trampoline_kernelINS0_14default_configENS1_22reduce_config_selectorIN6thrust23THRUST_200600_302600_NS5tupleIblNS6_9null_typeES8_S8_S8_S8_S8_S8_S8_EEEEZNS1_11reduce_implILb1ES3_NS6_12zip_iteratorINS7_INS6_11hip_rocprim26transform_input_iterator_tIbNSD_35transform_pair_of_input_iterators_tIbNS6_6detail15normal_iteratorINS6_10device_ptrIKtEEEESL_NS6_8equal_toItEEEENSG_9not_fun_tINSD_8identityEEEEENSD_19counting_iterator_tIlEES8_S8_S8_S8_S8_S8_S8_S8_EEEEPS9_S9_NSD_9__find_if7functorIS9_EEEE10hipError_tPvRmT1_T2_T3_mT4_P12ihipStream_tbEUlT_E1_NS1_11comp_targetILNS1_3genE5ELNS1_11target_archE942ELNS1_3gpuE9ELNS1_3repE0EEENS1_30default_config_static_selectorELNS0_4arch9wavefront6targetE0EEEvS14_,comdat
.Lfunc_end511:
	.size	_ZN7rocprim17ROCPRIM_400000_NS6detail17trampoline_kernelINS0_14default_configENS1_22reduce_config_selectorIN6thrust23THRUST_200600_302600_NS5tupleIblNS6_9null_typeES8_S8_S8_S8_S8_S8_S8_EEEEZNS1_11reduce_implILb1ES3_NS6_12zip_iteratorINS7_INS6_11hip_rocprim26transform_input_iterator_tIbNSD_35transform_pair_of_input_iterators_tIbNS6_6detail15normal_iteratorINS6_10device_ptrIKtEEEESL_NS6_8equal_toItEEEENSG_9not_fun_tINSD_8identityEEEEENSD_19counting_iterator_tIlEES8_S8_S8_S8_S8_S8_S8_S8_EEEEPS9_S9_NSD_9__find_if7functorIS9_EEEE10hipError_tPvRmT1_T2_T3_mT4_P12ihipStream_tbEUlT_E1_NS1_11comp_targetILNS1_3genE5ELNS1_11target_archE942ELNS1_3gpuE9ELNS1_3repE0EEENS1_30default_config_static_selectorELNS0_4arch9wavefront6targetE0EEEvS14_, .Lfunc_end511-_ZN7rocprim17ROCPRIM_400000_NS6detail17trampoline_kernelINS0_14default_configENS1_22reduce_config_selectorIN6thrust23THRUST_200600_302600_NS5tupleIblNS6_9null_typeES8_S8_S8_S8_S8_S8_S8_EEEEZNS1_11reduce_implILb1ES3_NS6_12zip_iteratorINS7_INS6_11hip_rocprim26transform_input_iterator_tIbNSD_35transform_pair_of_input_iterators_tIbNS6_6detail15normal_iteratorINS6_10device_ptrIKtEEEESL_NS6_8equal_toItEEEENSG_9not_fun_tINSD_8identityEEEEENSD_19counting_iterator_tIlEES8_S8_S8_S8_S8_S8_S8_S8_EEEEPS9_S9_NSD_9__find_if7functorIS9_EEEE10hipError_tPvRmT1_T2_T3_mT4_P12ihipStream_tbEUlT_E1_NS1_11comp_targetILNS1_3genE5ELNS1_11target_archE942ELNS1_3gpuE9ELNS1_3repE0EEENS1_30default_config_static_selectorELNS0_4arch9wavefront6targetE0EEEvS14_
                                        ; -- End function
	.section	.AMDGPU.csdata,"",@progbits
; Kernel info:
; codeLenInByte = 0
; NumSgprs: 0
; NumVgprs: 0
; ScratchSize: 0
; MemoryBound: 0
; FloatMode: 240
; IeeeMode: 1
; LDSByteSize: 0 bytes/workgroup (compile time only)
; SGPRBlocks: 0
; VGPRBlocks: 0
; NumSGPRsForWavesPerEU: 1
; NumVGPRsForWavesPerEU: 1
; Occupancy: 16
; WaveLimiterHint : 0
; COMPUTE_PGM_RSRC2:SCRATCH_EN: 0
; COMPUTE_PGM_RSRC2:USER_SGPR: 15
; COMPUTE_PGM_RSRC2:TRAP_HANDLER: 0
; COMPUTE_PGM_RSRC2:TGID_X_EN: 1
; COMPUTE_PGM_RSRC2:TGID_Y_EN: 0
; COMPUTE_PGM_RSRC2:TGID_Z_EN: 0
; COMPUTE_PGM_RSRC2:TIDIG_COMP_CNT: 0
	.section	.text._ZN7rocprim17ROCPRIM_400000_NS6detail17trampoline_kernelINS0_14default_configENS1_22reduce_config_selectorIN6thrust23THRUST_200600_302600_NS5tupleIblNS6_9null_typeES8_S8_S8_S8_S8_S8_S8_EEEEZNS1_11reduce_implILb1ES3_NS6_12zip_iteratorINS7_INS6_11hip_rocprim26transform_input_iterator_tIbNSD_35transform_pair_of_input_iterators_tIbNS6_6detail15normal_iteratorINS6_10device_ptrIKtEEEESL_NS6_8equal_toItEEEENSG_9not_fun_tINSD_8identityEEEEENSD_19counting_iterator_tIlEES8_S8_S8_S8_S8_S8_S8_S8_EEEEPS9_S9_NSD_9__find_if7functorIS9_EEEE10hipError_tPvRmT1_T2_T3_mT4_P12ihipStream_tbEUlT_E1_NS1_11comp_targetILNS1_3genE4ELNS1_11target_archE910ELNS1_3gpuE8ELNS1_3repE0EEENS1_30default_config_static_selectorELNS0_4arch9wavefront6targetE0EEEvS14_,"axG",@progbits,_ZN7rocprim17ROCPRIM_400000_NS6detail17trampoline_kernelINS0_14default_configENS1_22reduce_config_selectorIN6thrust23THRUST_200600_302600_NS5tupleIblNS6_9null_typeES8_S8_S8_S8_S8_S8_S8_EEEEZNS1_11reduce_implILb1ES3_NS6_12zip_iteratorINS7_INS6_11hip_rocprim26transform_input_iterator_tIbNSD_35transform_pair_of_input_iterators_tIbNS6_6detail15normal_iteratorINS6_10device_ptrIKtEEEESL_NS6_8equal_toItEEEENSG_9not_fun_tINSD_8identityEEEEENSD_19counting_iterator_tIlEES8_S8_S8_S8_S8_S8_S8_S8_EEEEPS9_S9_NSD_9__find_if7functorIS9_EEEE10hipError_tPvRmT1_T2_T3_mT4_P12ihipStream_tbEUlT_E1_NS1_11comp_targetILNS1_3genE4ELNS1_11target_archE910ELNS1_3gpuE8ELNS1_3repE0EEENS1_30default_config_static_selectorELNS0_4arch9wavefront6targetE0EEEvS14_,comdat
	.protected	_ZN7rocprim17ROCPRIM_400000_NS6detail17trampoline_kernelINS0_14default_configENS1_22reduce_config_selectorIN6thrust23THRUST_200600_302600_NS5tupleIblNS6_9null_typeES8_S8_S8_S8_S8_S8_S8_EEEEZNS1_11reduce_implILb1ES3_NS6_12zip_iteratorINS7_INS6_11hip_rocprim26transform_input_iterator_tIbNSD_35transform_pair_of_input_iterators_tIbNS6_6detail15normal_iteratorINS6_10device_ptrIKtEEEESL_NS6_8equal_toItEEEENSG_9not_fun_tINSD_8identityEEEEENSD_19counting_iterator_tIlEES8_S8_S8_S8_S8_S8_S8_S8_EEEEPS9_S9_NSD_9__find_if7functorIS9_EEEE10hipError_tPvRmT1_T2_T3_mT4_P12ihipStream_tbEUlT_E1_NS1_11comp_targetILNS1_3genE4ELNS1_11target_archE910ELNS1_3gpuE8ELNS1_3repE0EEENS1_30default_config_static_selectorELNS0_4arch9wavefront6targetE0EEEvS14_ ; -- Begin function _ZN7rocprim17ROCPRIM_400000_NS6detail17trampoline_kernelINS0_14default_configENS1_22reduce_config_selectorIN6thrust23THRUST_200600_302600_NS5tupleIblNS6_9null_typeES8_S8_S8_S8_S8_S8_S8_EEEEZNS1_11reduce_implILb1ES3_NS6_12zip_iteratorINS7_INS6_11hip_rocprim26transform_input_iterator_tIbNSD_35transform_pair_of_input_iterators_tIbNS6_6detail15normal_iteratorINS6_10device_ptrIKtEEEESL_NS6_8equal_toItEEEENSG_9not_fun_tINSD_8identityEEEEENSD_19counting_iterator_tIlEES8_S8_S8_S8_S8_S8_S8_S8_EEEEPS9_S9_NSD_9__find_if7functorIS9_EEEE10hipError_tPvRmT1_T2_T3_mT4_P12ihipStream_tbEUlT_E1_NS1_11comp_targetILNS1_3genE4ELNS1_11target_archE910ELNS1_3gpuE8ELNS1_3repE0EEENS1_30default_config_static_selectorELNS0_4arch9wavefront6targetE0EEEvS14_
	.globl	_ZN7rocprim17ROCPRIM_400000_NS6detail17trampoline_kernelINS0_14default_configENS1_22reduce_config_selectorIN6thrust23THRUST_200600_302600_NS5tupleIblNS6_9null_typeES8_S8_S8_S8_S8_S8_S8_EEEEZNS1_11reduce_implILb1ES3_NS6_12zip_iteratorINS7_INS6_11hip_rocprim26transform_input_iterator_tIbNSD_35transform_pair_of_input_iterators_tIbNS6_6detail15normal_iteratorINS6_10device_ptrIKtEEEESL_NS6_8equal_toItEEEENSG_9not_fun_tINSD_8identityEEEEENSD_19counting_iterator_tIlEES8_S8_S8_S8_S8_S8_S8_S8_EEEEPS9_S9_NSD_9__find_if7functorIS9_EEEE10hipError_tPvRmT1_T2_T3_mT4_P12ihipStream_tbEUlT_E1_NS1_11comp_targetILNS1_3genE4ELNS1_11target_archE910ELNS1_3gpuE8ELNS1_3repE0EEENS1_30default_config_static_selectorELNS0_4arch9wavefront6targetE0EEEvS14_
	.p2align	8
	.type	_ZN7rocprim17ROCPRIM_400000_NS6detail17trampoline_kernelINS0_14default_configENS1_22reduce_config_selectorIN6thrust23THRUST_200600_302600_NS5tupleIblNS6_9null_typeES8_S8_S8_S8_S8_S8_S8_EEEEZNS1_11reduce_implILb1ES3_NS6_12zip_iteratorINS7_INS6_11hip_rocprim26transform_input_iterator_tIbNSD_35transform_pair_of_input_iterators_tIbNS6_6detail15normal_iteratorINS6_10device_ptrIKtEEEESL_NS6_8equal_toItEEEENSG_9not_fun_tINSD_8identityEEEEENSD_19counting_iterator_tIlEES8_S8_S8_S8_S8_S8_S8_S8_EEEEPS9_S9_NSD_9__find_if7functorIS9_EEEE10hipError_tPvRmT1_T2_T3_mT4_P12ihipStream_tbEUlT_E1_NS1_11comp_targetILNS1_3genE4ELNS1_11target_archE910ELNS1_3gpuE8ELNS1_3repE0EEENS1_30default_config_static_selectorELNS0_4arch9wavefront6targetE0EEEvS14_,@function
_ZN7rocprim17ROCPRIM_400000_NS6detail17trampoline_kernelINS0_14default_configENS1_22reduce_config_selectorIN6thrust23THRUST_200600_302600_NS5tupleIblNS6_9null_typeES8_S8_S8_S8_S8_S8_S8_EEEEZNS1_11reduce_implILb1ES3_NS6_12zip_iteratorINS7_INS6_11hip_rocprim26transform_input_iterator_tIbNSD_35transform_pair_of_input_iterators_tIbNS6_6detail15normal_iteratorINS6_10device_ptrIKtEEEESL_NS6_8equal_toItEEEENSG_9not_fun_tINSD_8identityEEEEENSD_19counting_iterator_tIlEES8_S8_S8_S8_S8_S8_S8_S8_EEEEPS9_S9_NSD_9__find_if7functorIS9_EEEE10hipError_tPvRmT1_T2_T3_mT4_P12ihipStream_tbEUlT_E1_NS1_11comp_targetILNS1_3genE4ELNS1_11target_archE910ELNS1_3gpuE8ELNS1_3repE0EEENS1_30default_config_static_selectorELNS0_4arch9wavefront6targetE0EEEvS14_: ; @_ZN7rocprim17ROCPRIM_400000_NS6detail17trampoline_kernelINS0_14default_configENS1_22reduce_config_selectorIN6thrust23THRUST_200600_302600_NS5tupleIblNS6_9null_typeES8_S8_S8_S8_S8_S8_S8_EEEEZNS1_11reduce_implILb1ES3_NS6_12zip_iteratorINS7_INS6_11hip_rocprim26transform_input_iterator_tIbNSD_35transform_pair_of_input_iterators_tIbNS6_6detail15normal_iteratorINS6_10device_ptrIKtEEEESL_NS6_8equal_toItEEEENSG_9not_fun_tINSD_8identityEEEEENSD_19counting_iterator_tIlEES8_S8_S8_S8_S8_S8_S8_S8_EEEEPS9_S9_NSD_9__find_if7functorIS9_EEEE10hipError_tPvRmT1_T2_T3_mT4_P12ihipStream_tbEUlT_E1_NS1_11comp_targetILNS1_3genE4ELNS1_11target_archE910ELNS1_3gpuE8ELNS1_3repE0EEENS1_30default_config_static_selectorELNS0_4arch9wavefront6targetE0EEEvS14_
; %bb.0:
	.section	.rodata,"a",@progbits
	.p2align	6, 0x0
	.amdhsa_kernel _ZN7rocprim17ROCPRIM_400000_NS6detail17trampoline_kernelINS0_14default_configENS1_22reduce_config_selectorIN6thrust23THRUST_200600_302600_NS5tupleIblNS6_9null_typeES8_S8_S8_S8_S8_S8_S8_EEEEZNS1_11reduce_implILb1ES3_NS6_12zip_iteratorINS7_INS6_11hip_rocprim26transform_input_iterator_tIbNSD_35transform_pair_of_input_iterators_tIbNS6_6detail15normal_iteratorINS6_10device_ptrIKtEEEESL_NS6_8equal_toItEEEENSG_9not_fun_tINSD_8identityEEEEENSD_19counting_iterator_tIlEES8_S8_S8_S8_S8_S8_S8_S8_EEEEPS9_S9_NSD_9__find_if7functorIS9_EEEE10hipError_tPvRmT1_T2_T3_mT4_P12ihipStream_tbEUlT_E1_NS1_11comp_targetILNS1_3genE4ELNS1_11target_archE910ELNS1_3gpuE8ELNS1_3repE0EEENS1_30default_config_static_selectorELNS0_4arch9wavefront6targetE0EEEvS14_
		.amdhsa_group_segment_fixed_size 0
		.amdhsa_private_segment_fixed_size 0
		.amdhsa_kernarg_size 88
		.amdhsa_user_sgpr_count 15
		.amdhsa_user_sgpr_dispatch_ptr 0
		.amdhsa_user_sgpr_queue_ptr 0
		.amdhsa_user_sgpr_kernarg_segment_ptr 1
		.amdhsa_user_sgpr_dispatch_id 0
		.amdhsa_user_sgpr_private_segment_size 0
		.amdhsa_wavefront_size32 1
		.amdhsa_uses_dynamic_stack 0
		.amdhsa_enable_private_segment 0
		.amdhsa_system_sgpr_workgroup_id_x 1
		.amdhsa_system_sgpr_workgroup_id_y 0
		.amdhsa_system_sgpr_workgroup_id_z 0
		.amdhsa_system_sgpr_workgroup_info 0
		.amdhsa_system_vgpr_workitem_id 0
		.amdhsa_next_free_vgpr 1
		.amdhsa_next_free_sgpr 1
		.amdhsa_reserve_vcc 0
		.amdhsa_float_round_mode_32 0
		.amdhsa_float_round_mode_16_64 0
		.amdhsa_float_denorm_mode_32 3
		.amdhsa_float_denorm_mode_16_64 3
		.amdhsa_dx10_clamp 1
		.amdhsa_ieee_mode 1
		.amdhsa_fp16_overflow 0
		.amdhsa_workgroup_processor_mode 1
		.amdhsa_memory_ordered 1
		.amdhsa_forward_progress 0
		.amdhsa_shared_vgpr_count 0
		.amdhsa_exception_fp_ieee_invalid_op 0
		.amdhsa_exception_fp_denorm_src 0
		.amdhsa_exception_fp_ieee_div_zero 0
		.amdhsa_exception_fp_ieee_overflow 0
		.amdhsa_exception_fp_ieee_underflow 0
		.amdhsa_exception_fp_ieee_inexact 0
		.amdhsa_exception_int_div_zero 0
	.end_amdhsa_kernel
	.section	.text._ZN7rocprim17ROCPRIM_400000_NS6detail17trampoline_kernelINS0_14default_configENS1_22reduce_config_selectorIN6thrust23THRUST_200600_302600_NS5tupleIblNS6_9null_typeES8_S8_S8_S8_S8_S8_S8_EEEEZNS1_11reduce_implILb1ES3_NS6_12zip_iteratorINS7_INS6_11hip_rocprim26transform_input_iterator_tIbNSD_35transform_pair_of_input_iterators_tIbNS6_6detail15normal_iteratorINS6_10device_ptrIKtEEEESL_NS6_8equal_toItEEEENSG_9not_fun_tINSD_8identityEEEEENSD_19counting_iterator_tIlEES8_S8_S8_S8_S8_S8_S8_S8_EEEEPS9_S9_NSD_9__find_if7functorIS9_EEEE10hipError_tPvRmT1_T2_T3_mT4_P12ihipStream_tbEUlT_E1_NS1_11comp_targetILNS1_3genE4ELNS1_11target_archE910ELNS1_3gpuE8ELNS1_3repE0EEENS1_30default_config_static_selectorELNS0_4arch9wavefront6targetE0EEEvS14_,"axG",@progbits,_ZN7rocprim17ROCPRIM_400000_NS6detail17trampoline_kernelINS0_14default_configENS1_22reduce_config_selectorIN6thrust23THRUST_200600_302600_NS5tupleIblNS6_9null_typeES8_S8_S8_S8_S8_S8_S8_EEEEZNS1_11reduce_implILb1ES3_NS6_12zip_iteratorINS7_INS6_11hip_rocprim26transform_input_iterator_tIbNSD_35transform_pair_of_input_iterators_tIbNS6_6detail15normal_iteratorINS6_10device_ptrIKtEEEESL_NS6_8equal_toItEEEENSG_9not_fun_tINSD_8identityEEEEENSD_19counting_iterator_tIlEES8_S8_S8_S8_S8_S8_S8_S8_EEEEPS9_S9_NSD_9__find_if7functorIS9_EEEE10hipError_tPvRmT1_T2_T3_mT4_P12ihipStream_tbEUlT_E1_NS1_11comp_targetILNS1_3genE4ELNS1_11target_archE910ELNS1_3gpuE8ELNS1_3repE0EEENS1_30default_config_static_selectorELNS0_4arch9wavefront6targetE0EEEvS14_,comdat
.Lfunc_end512:
	.size	_ZN7rocprim17ROCPRIM_400000_NS6detail17trampoline_kernelINS0_14default_configENS1_22reduce_config_selectorIN6thrust23THRUST_200600_302600_NS5tupleIblNS6_9null_typeES8_S8_S8_S8_S8_S8_S8_EEEEZNS1_11reduce_implILb1ES3_NS6_12zip_iteratorINS7_INS6_11hip_rocprim26transform_input_iterator_tIbNSD_35transform_pair_of_input_iterators_tIbNS6_6detail15normal_iteratorINS6_10device_ptrIKtEEEESL_NS6_8equal_toItEEEENSG_9not_fun_tINSD_8identityEEEEENSD_19counting_iterator_tIlEES8_S8_S8_S8_S8_S8_S8_S8_EEEEPS9_S9_NSD_9__find_if7functorIS9_EEEE10hipError_tPvRmT1_T2_T3_mT4_P12ihipStream_tbEUlT_E1_NS1_11comp_targetILNS1_3genE4ELNS1_11target_archE910ELNS1_3gpuE8ELNS1_3repE0EEENS1_30default_config_static_selectorELNS0_4arch9wavefront6targetE0EEEvS14_, .Lfunc_end512-_ZN7rocprim17ROCPRIM_400000_NS6detail17trampoline_kernelINS0_14default_configENS1_22reduce_config_selectorIN6thrust23THRUST_200600_302600_NS5tupleIblNS6_9null_typeES8_S8_S8_S8_S8_S8_S8_EEEEZNS1_11reduce_implILb1ES3_NS6_12zip_iteratorINS7_INS6_11hip_rocprim26transform_input_iterator_tIbNSD_35transform_pair_of_input_iterators_tIbNS6_6detail15normal_iteratorINS6_10device_ptrIKtEEEESL_NS6_8equal_toItEEEENSG_9not_fun_tINSD_8identityEEEEENSD_19counting_iterator_tIlEES8_S8_S8_S8_S8_S8_S8_S8_EEEEPS9_S9_NSD_9__find_if7functorIS9_EEEE10hipError_tPvRmT1_T2_T3_mT4_P12ihipStream_tbEUlT_E1_NS1_11comp_targetILNS1_3genE4ELNS1_11target_archE910ELNS1_3gpuE8ELNS1_3repE0EEENS1_30default_config_static_selectorELNS0_4arch9wavefront6targetE0EEEvS14_
                                        ; -- End function
	.section	.AMDGPU.csdata,"",@progbits
; Kernel info:
; codeLenInByte = 0
; NumSgprs: 0
; NumVgprs: 0
; ScratchSize: 0
; MemoryBound: 0
; FloatMode: 240
; IeeeMode: 1
; LDSByteSize: 0 bytes/workgroup (compile time only)
; SGPRBlocks: 0
; VGPRBlocks: 0
; NumSGPRsForWavesPerEU: 1
; NumVGPRsForWavesPerEU: 1
; Occupancy: 16
; WaveLimiterHint : 0
; COMPUTE_PGM_RSRC2:SCRATCH_EN: 0
; COMPUTE_PGM_RSRC2:USER_SGPR: 15
; COMPUTE_PGM_RSRC2:TRAP_HANDLER: 0
; COMPUTE_PGM_RSRC2:TGID_X_EN: 1
; COMPUTE_PGM_RSRC2:TGID_Y_EN: 0
; COMPUTE_PGM_RSRC2:TGID_Z_EN: 0
; COMPUTE_PGM_RSRC2:TIDIG_COMP_CNT: 0
	.section	.text._ZN7rocprim17ROCPRIM_400000_NS6detail17trampoline_kernelINS0_14default_configENS1_22reduce_config_selectorIN6thrust23THRUST_200600_302600_NS5tupleIblNS6_9null_typeES8_S8_S8_S8_S8_S8_S8_EEEEZNS1_11reduce_implILb1ES3_NS6_12zip_iteratorINS7_INS6_11hip_rocprim26transform_input_iterator_tIbNSD_35transform_pair_of_input_iterators_tIbNS6_6detail15normal_iteratorINS6_10device_ptrIKtEEEESL_NS6_8equal_toItEEEENSG_9not_fun_tINSD_8identityEEEEENSD_19counting_iterator_tIlEES8_S8_S8_S8_S8_S8_S8_S8_EEEEPS9_S9_NSD_9__find_if7functorIS9_EEEE10hipError_tPvRmT1_T2_T3_mT4_P12ihipStream_tbEUlT_E1_NS1_11comp_targetILNS1_3genE3ELNS1_11target_archE908ELNS1_3gpuE7ELNS1_3repE0EEENS1_30default_config_static_selectorELNS0_4arch9wavefront6targetE0EEEvS14_,"axG",@progbits,_ZN7rocprim17ROCPRIM_400000_NS6detail17trampoline_kernelINS0_14default_configENS1_22reduce_config_selectorIN6thrust23THRUST_200600_302600_NS5tupleIblNS6_9null_typeES8_S8_S8_S8_S8_S8_S8_EEEEZNS1_11reduce_implILb1ES3_NS6_12zip_iteratorINS7_INS6_11hip_rocprim26transform_input_iterator_tIbNSD_35transform_pair_of_input_iterators_tIbNS6_6detail15normal_iteratorINS6_10device_ptrIKtEEEESL_NS6_8equal_toItEEEENSG_9not_fun_tINSD_8identityEEEEENSD_19counting_iterator_tIlEES8_S8_S8_S8_S8_S8_S8_S8_EEEEPS9_S9_NSD_9__find_if7functorIS9_EEEE10hipError_tPvRmT1_T2_T3_mT4_P12ihipStream_tbEUlT_E1_NS1_11comp_targetILNS1_3genE3ELNS1_11target_archE908ELNS1_3gpuE7ELNS1_3repE0EEENS1_30default_config_static_selectorELNS0_4arch9wavefront6targetE0EEEvS14_,comdat
	.protected	_ZN7rocprim17ROCPRIM_400000_NS6detail17trampoline_kernelINS0_14default_configENS1_22reduce_config_selectorIN6thrust23THRUST_200600_302600_NS5tupleIblNS6_9null_typeES8_S8_S8_S8_S8_S8_S8_EEEEZNS1_11reduce_implILb1ES3_NS6_12zip_iteratorINS7_INS6_11hip_rocprim26transform_input_iterator_tIbNSD_35transform_pair_of_input_iterators_tIbNS6_6detail15normal_iteratorINS6_10device_ptrIKtEEEESL_NS6_8equal_toItEEEENSG_9not_fun_tINSD_8identityEEEEENSD_19counting_iterator_tIlEES8_S8_S8_S8_S8_S8_S8_S8_EEEEPS9_S9_NSD_9__find_if7functorIS9_EEEE10hipError_tPvRmT1_T2_T3_mT4_P12ihipStream_tbEUlT_E1_NS1_11comp_targetILNS1_3genE3ELNS1_11target_archE908ELNS1_3gpuE7ELNS1_3repE0EEENS1_30default_config_static_selectorELNS0_4arch9wavefront6targetE0EEEvS14_ ; -- Begin function _ZN7rocprim17ROCPRIM_400000_NS6detail17trampoline_kernelINS0_14default_configENS1_22reduce_config_selectorIN6thrust23THRUST_200600_302600_NS5tupleIblNS6_9null_typeES8_S8_S8_S8_S8_S8_S8_EEEEZNS1_11reduce_implILb1ES3_NS6_12zip_iteratorINS7_INS6_11hip_rocprim26transform_input_iterator_tIbNSD_35transform_pair_of_input_iterators_tIbNS6_6detail15normal_iteratorINS6_10device_ptrIKtEEEESL_NS6_8equal_toItEEEENSG_9not_fun_tINSD_8identityEEEEENSD_19counting_iterator_tIlEES8_S8_S8_S8_S8_S8_S8_S8_EEEEPS9_S9_NSD_9__find_if7functorIS9_EEEE10hipError_tPvRmT1_T2_T3_mT4_P12ihipStream_tbEUlT_E1_NS1_11comp_targetILNS1_3genE3ELNS1_11target_archE908ELNS1_3gpuE7ELNS1_3repE0EEENS1_30default_config_static_selectorELNS0_4arch9wavefront6targetE0EEEvS14_
	.globl	_ZN7rocprim17ROCPRIM_400000_NS6detail17trampoline_kernelINS0_14default_configENS1_22reduce_config_selectorIN6thrust23THRUST_200600_302600_NS5tupleIblNS6_9null_typeES8_S8_S8_S8_S8_S8_S8_EEEEZNS1_11reduce_implILb1ES3_NS6_12zip_iteratorINS7_INS6_11hip_rocprim26transform_input_iterator_tIbNSD_35transform_pair_of_input_iterators_tIbNS6_6detail15normal_iteratorINS6_10device_ptrIKtEEEESL_NS6_8equal_toItEEEENSG_9not_fun_tINSD_8identityEEEEENSD_19counting_iterator_tIlEES8_S8_S8_S8_S8_S8_S8_S8_EEEEPS9_S9_NSD_9__find_if7functorIS9_EEEE10hipError_tPvRmT1_T2_T3_mT4_P12ihipStream_tbEUlT_E1_NS1_11comp_targetILNS1_3genE3ELNS1_11target_archE908ELNS1_3gpuE7ELNS1_3repE0EEENS1_30default_config_static_selectorELNS0_4arch9wavefront6targetE0EEEvS14_
	.p2align	8
	.type	_ZN7rocprim17ROCPRIM_400000_NS6detail17trampoline_kernelINS0_14default_configENS1_22reduce_config_selectorIN6thrust23THRUST_200600_302600_NS5tupleIblNS6_9null_typeES8_S8_S8_S8_S8_S8_S8_EEEEZNS1_11reduce_implILb1ES3_NS6_12zip_iteratorINS7_INS6_11hip_rocprim26transform_input_iterator_tIbNSD_35transform_pair_of_input_iterators_tIbNS6_6detail15normal_iteratorINS6_10device_ptrIKtEEEESL_NS6_8equal_toItEEEENSG_9not_fun_tINSD_8identityEEEEENSD_19counting_iterator_tIlEES8_S8_S8_S8_S8_S8_S8_S8_EEEEPS9_S9_NSD_9__find_if7functorIS9_EEEE10hipError_tPvRmT1_T2_T3_mT4_P12ihipStream_tbEUlT_E1_NS1_11comp_targetILNS1_3genE3ELNS1_11target_archE908ELNS1_3gpuE7ELNS1_3repE0EEENS1_30default_config_static_selectorELNS0_4arch9wavefront6targetE0EEEvS14_,@function
_ZN7rocprim17ROCPRIM_400000_NS6detail17trampoline_kernelINS0_14default_configENS1_22reduce_config_selectorIN6thrust23THRUST_200600_302600_NS5tupleIblNS6_9null_typeES8_S8_S8_S8_S8_S8_S8_EEEEZNS1_11reduce_implILb1ES3_NS6_12zip_iteratorINS7_INS6_11hip_rocprim26transform_input_iterator_tIbNSD_35transform_pair_of_input_iterators_tIbNS6_6detail15normal_iteratorINS6_10device_ptrIKtEEEESL_NS6_8equal_toItEEEENSG_9not_fun_tINSD_8identityEEEEENSD_19counting_iterator_tIlEES8_S8_S8_S8_S8_S8_S8_S8_EEEEPS9_S9_NSD_9__find_if7functorIS9_EEEE10hipError_tPvRmT1_T2_T3_mT4_P12ihipStream_tbEUlT_E1_NS1_11comp_targetILNS1_3genE3ELNS1_11target_archE908ELNS1_3gpuE7ELNS1_3repE0EEENS1_30default_config_static_selectorELNS0_4arch9wavefront6targetE0EEEvS14_: ; @_ZN7rocprim17ROCPRIM_400000_NS6detail17trampoline_kernelINS0_14default_configENS1_22reduce_config_selectorIN6thrust23THRUST_200600_302600_NS5tupleIblNS6_9null_typeES8_S8_S8_S8_S8_S8_S8_EEEEZNS1_11reduce_implILb1ES3_NS6_12zip_iteratorINS7_INS6_11hip_rocprim26transform_input_iterator_tIbNSD_35transform_pair_of_input_iterators_tIbNS6_6detail15normal_iteratorINS6_10device_ptrIKtEEEESL_NS6_8equal_toItEEEENSG_9not_fun_tINSD_8identityEEEEENSD_19counting_iterator_tIlEES8_S8_S8_S8_S8_S8_S8_S8_EEEEPS9_S9_NSD_9__find_if7functorIS9_EEEE10hipError_tPvRmT1_T2_T3_mT4_P12ihipStream_tbEUlT_E1_NS1_11comp_targetILNS1_3genE3ELNS1_11target_archE908ELNS1_3gpuE7ELNS1_3repE0EEENS1_30default_config_static_selectorELNS0_4arch9wavefront6targetE0EEEvS14_
; %bb.0:
	.section	.rodata,"a",@progbits
	.p2align	6, 0x0
	.amdhsa_kernel _ZN7rocprim17ROCPRIM_400000_NS6detail17trampoline_kernelINS0_14default_configENS1_22reduce_config_selectorIN6thrust23THRUST_200600_302600_NS5tupleIblNS6_9null_typeES8_S8_S8_S8_S8_S8_S8_EEEEZNS1_11reduce_implILb1ES3_NS6_12zip_iteratorINS7_INS6_11hip_rocprim26transform_input_iterator_tIbNSD_35transform_pair_of_input_iterators_tIbNS6_6detail15normal_iteratorINS6_10device_ptrIKtEEEESL_NS6_8equal_toItEEEENSG_9not_fun_tINSD_8identityEEEEENSD_19counting_iterator_tIlEES8_S8_S8_S8_S8_S8_S8_S8_EEEEPS9_S9_NSD_9__find_if7functorIS9_EEEE10hipError_tPvRmT1_T2_T3_mT4_P12ihipStream_tbEUlT_E1_NS1_11comp_targetILNS1_3genE3ELNS1_11target_archE908ELNS1_3gpuE7ELNS1_3repE0EEENS1_30default_config_static_selectorELNS0_4arch9wavefront6targetE0EEEvS14_
		.amdhsa_group_segment_fixed_size 0
		.amdhsa_private_segment_fixed_size 0
		.amdhsa_kernarg_size 88
		.amdhsa_user_sgpr_count 15
		.amdhsa_user_sgpr_dispatch_ptr 0
		.amdhsa_user_sgpr_queue_ptr 0
		.amdhsa_user_sgpr_kernarg_segment_ptr 1
		.amdhsa_user_sgpr_dispatch_id 0
		.amdhsa_user_sgpr_private_segment_size 0
		.amdhsa_wavefront_size32 1
		.amdhsa_uses_dynamic_stack 0
		.amdhsa_enable_private_segment 0
		.amdhsa_system_sgpr_workgroup_id_x 1
		.amdhsa_system_sgpr_workgroup_id_y 0
		.amdhsa_system_sgpr_workgroup_id_z 0
		.amdhsa_system_sgpr_workgroup_info 0
		.amdhsa_system_vgpr_workitem_id 0
		.amdhsa_next_free_vgpr 1
		.amdhsa_next_free_sgpr 1
		.amdhsa_reserve_vcc 0
		.amdhsa_float_round_mode_32 0
		.amdhsa_float_round_mode_16_64 0
		.amdhsa_float_denorm_mode_32 3
		.amdhsa_float_denorm_mode_16_64 3
		.amdhsa_dx10_clamp 1
		.amdhsa_ieee_mode 1
		.amdhsa_fp16_overflow 0
		.amdhsa_workgroup_processor_mode 1
		.amdhsa_memory_ordered 1
		.amdhsa_forward_progress 0
		.amdhsa_shared_vgpr_count 0
		.amdhsa_exception_fp_ieee_invalid_op 0
		.amdhsa_exception_fp_denorm_src 0
		.amdhsa_exception_fp_ieee_div_zero 0
		.amdhsa_exception_fp_ieee_overflow 0
		.amdhsa_exception_fp_ieee_underflow 0
		.amdhsa_exception_fp_ieee_inexact 0
		.amdhsa_exception_int_div_zero 0
	.end_amdhsa_kernel
	.section	.text._ZN7rocprim17ROCPRIM_400000_NS6detail17trampoline_kernelINS0_14default_configENS1_22reduce_config_selectorIN6thrust23THRUST_200600_302600_NS5tupleIblNS6_9null_typeES8_S8_S8_S8_S8_S8_S8_EEEEZNS1_11reduce_implILb1ES3_NS6_12zip_iteratorINS7_INS6_11hip_rocprim26transform_input_iterator_tIbNSD_35transform_pair_of_input_iterators_tIbNS6_6detail15normal_iteratorINS6_10device_ptrIKtEEEESL_NS6_8equal_toItEEEENSG_9not_fun_tINSD_8identityEEEEENSD_19counting_iterator_tIlEES8_S8_S8_S8_S8_S8_S8_S8_EEEEPS9_S9_NSD_9__find_if7functorIS9_EEEE10hipError_tPvRmT1_T2_T3_mT4_P12ihipStream_tbEUlT_E1_NS1_11comp_targetILNS1_3genE3ELNS1_11target_archE908ELNS1_3gpuE7ELNS1_3repE0EEENS1_30default_config_static_selectorELNS0_4arch9wavefront6targetE0EEEvS14_,"axG",@progbits,_ZN7rocprim17ROCPRIM_400000_NS6detail17trampoline_kernelINS0_14default_configENS1_22reduce_config_selectorIN6thrust23THRUST_200600_302600_NS5tupleIblNS6_9null_typeES8_S8_S8_S8_S8_S8_S8_EEEEZNS1_11reduce_implILb1ES3_NS6_12zip_iteratorINS7_INS6_11hip_rocprim26transform_input_iterator_tIbNSD_35transform_pair_of_input_iterators_tIbNS6_6detail15normal_iteratorINS6_10device_ptrIKtEEEESL_NS6_8equal_toItEEEENSG_9not_fun_tINSD_8identityEEEEENSD_19counting_iterator_tIlEES8_S8_S8_S8_S8_S8_S8_S8_EEEEPS9_S9_NSD_9__find_if7functorIS9_EEEE10hipError_tPvRmT1_T2_T3_mT4_P12ihipStream_tbEUlT_E1_NS1_11comp_targetILNS1_3genE3ELNS1_11target_archE908ELNS1_3gpuE7ELNS1_3repE0EEENS1_30default_config_static_selectorELNS0_4arch9wavefront6targetE0EEEvS14_,comdat
.Lfunc_end513:
	.size	_ZN7rocprim17ROCPRIM_400000_NS6detail17trampoline_kernelINS0_14default_configENS1_22reduce_config_selectorIN6thrust23THRUST_200600_302600_NS5tupleIblNS6_9null_typeES8_S8_S8_S8_S8_S8_S8_EEEEZNS1_11reduce_implILb1ES3_NS6_12zip_iteratorINS7_INS6_11hip_rocprim26transform_input_iterator_tIbNSD_35transform_pair_of_input_iterators_tIbNS6_6detail15normal_iteratorINS6_10device_ptrIKtEEEESL_NS6_8equal_toItEEEENSG_9not_fun_tINSD_8identityEEEEENSD_19counting_iterator_tIlEES8_S8_S8_S8_S8_S8_S8_S8_EEEEPS9_S9_NSD_9__find_if7functorIS9_EEEE10hipError_tPvRmT1_T2_T3_mT4_P12ihipStream_tbEUlT_E1_NS1_11comp_targetILNS1_3genE3ELNS1_11target_archE908ELNS1_3gpuE7ELNS1_3repE0EEENS1_30default_config_static_selectorELNS0_4arch9wavefront6targetE0EEEvS14_, .Lfunc_end513-_ZN7rocprim17ROCPRIM_400000_NS6detail17trampoline_kernelINS0_14default_configENS1_22reduce_config_selectorIN6thrust23THRUST_200600_302600_NS5tupleIblNS6_9null_typeES8_S8_S8_S8_S8_S8_S8_EEEEZNS1_11reduce_implILb1ES3_NS6_12zip_iteratorINS7_INS6_11hip_rocprim26transform_input_iterator_tIbNSD_35transform_pair_of_input_iterators_tIbNS6_6detail15normal_iteratorINS6_10device_ptrIKtEEEESL_NS6_8equal_toItEEEENSG_9not_fun_tINSD_8identityEEEEENSD_19counting_iterator_tIlEES8_S8_S8_S8_S8_S8_S8_S8_EEEEPS9_S9_NSD_9__find_if7functorIS9_EEEE10hipError_tPvRmT1_T2_T3_mT4_P12ihipStream_tbEUlT_E1_NS1_11comp_targetILNS1_3genE3ELNS1_11target_archE908ELNS1_3gpuE7ELNS1_3repE0EEENS1_30default_config_static_selectorELNS0_4arch9wavefront6targetE0EEEvS14_
                                        ; -- End function
	.section	.AMDGPU.csdata,"",@progbits
; Kernel info:
; codeLenInByte = 0
; NumSgprs: 0
; NumVgprs: 0
; ScratchSize: 0
; MemoryBound: 0
; FloatMode: 240
; IeeeMode: 1
; LDSByteSize: 0 bytes/workgroup (compile time only)
; SGPRBlocks: 0
; VGPRBlocks: 0
; NumSGPRsForWavesPerEU: 1
; NumVGPRsForWavesPerEU: 1
; Occupancy: 16
; WaveLimiterHint : 0
; COMPUTE_PGM_RSRC2:SCRATCH_EN: 0
; COMPUTE_PGM_RSRC2:USER_SGPR: 15
; COMPUTE_PGM_RSRC2:TRAP_HANDLER: 0
; COMPUTE_PGM_RSRC2:TGID_X_EN: 1
; COMPUTE_PGM_RSRC2:TGID_Y_EN: 0
; COMPUTE_PGM_RSRC2:TGID_Z_EN: 0
; COMPUTE_PGM_RSRC2:TIDIG_COMP_CNT: 0
	.section	.text._ZN7rocprim17ROCPRIM_400000_NS6detail17trampoline_kernelINS0_14default_configENS1_22reduce_config_selectorIN6thrust23THRUST_200600_302600_NS5tupleIblNS6_9null_typeES8_S8_S8_S8_S8_S8_S8_EEEEZNS1_11reduce_implILb1ES3_NS6_12zip_iteratorINS7_INS6_11hip_rocprim26transform_input_iterator_tIbNSD_35transform_pair_of_input_iterators_tIbNS6_6detail15normal_iteratorINS6_10device_ptrIKtEEEESL_NS6_8equal_toItEEEENSG_9not_fun_tINSD_8identityEEEEENSD_19counting_iterator_tIlEES8_S8_S8_S8_S8_S8_S8_S8_EEEEPS9_S9_NSD_9__find_if7functorIS9_EEEE10hipError_tPvRmT1_T2_T3_mT4_P12ihipStream_tbEUlT_E1_NS1_11comp_targetILNS1_3genE2ELNS1_11target_archE906ELNS1_3gpuE6ELNS1_3repE0EEENS1_30default_config_static_selectorELNS0_4arch9wavefront6targetE0EEEvS14_,"axG",@progbits,_ZN7rocprim17ROCPRIM_400000_NS6detail17trampoline_kernelINS0_14default_configENS1_22reduce_config_selectorIN6thrust23THRUST_200600_302600_NS5tupleIblNS6_9null_typeES8_S8_S8_S8_S8_S8_S8_EEEEZNS1_11reduce_implILb1ES3_NS6_12zip_iteratorINS7_INS6_11hip_rocprim26transform_input_iterator_tIbNSD_35transform_pair_of_input_iterators_tIbNS6_6detail15normal_iteratorINS6_10device_ptrIKtEEEESL_NS6_8equal_toItEEEENSG_9not_fun_tINSD_8identityEEEEENSD_19counting_iterator_tIlEES8_S8_S8_S8_S8_S8_S8_S8_EEEEPS9_S9_NSD_9__find_if7functorIS9_EEEE10hipError_tPvRmT1_T2_T3_mT4_P12ihipStream_tbEUlT_E1_NS1_11comp_targetILNS1_3genE2ELNS1_11target_archE906ELNS1_3gpuE6ELNS1_3repE0EEENS1_30default_config_static_selectorELNS0_4arch9wavefront6targetE0EEEvS14_,comdat
	.protected	_ZN7rocprim17ROCPRIM_400000_NS6detail17trampoline_kernelINS0_14default_configENS1_22reduce_config_selectorIN6thrust23THRUST_200600_302600_NS5tupleIblNS6_9null_typeES8_S8_S8_S8_S8_S8_S8_EEEEZNS1_11reduce_implILb1ES3_NS6_12zip_iteratorINS7_INS6_11hip_rocprim26transform_input_iterator_tIbNSD_35transform_pair_of_input_iterators_tIbNS6_6detail15normal_iteratorINS6_10device_ptrIKtEEEESL_NS6_8equal_toItEEEENSG_9not_fun_tINSD_8identityEEEEENSD_19counting_iterator_tIlEES8_S8_S8_S8_S8_S8_S8_S8_EEEEPS9_S9_NSD_9__find_if7functorIS9_EEEE10hipError_tPvRmT1_T2_T3_mT4_P12ihipStream_tbEUlT_E1_NS1_11comp_targetILNS1_3genE2ELNS1_11target_archE906ELNS1_3gpuE6ELNS1_3repE0EEENS1_30default_config_static_selectorELNS0_4arch9wavefront6targetE0EEEvS14_ ; -- Begin function _ZN7rocprim17ROCPRIM_400000_NS6detail17trampoline_kernelINS0_14default_configENS1_22reduce_config_selectorIN6thrust23THRUST_200600_302600_NS5tupleIblNS6_9null_typeES8_S8_S8_S8_S8_S8_S8_EEEEZNS1_11reduce_implILb1ES3_NS6_12zip_iteratorINS7_INS6_11hip_rocprim26transform_input_iterator_tIbNSD_35transform_pair_of_input_iterators_tIbNS6_6detail15normal_iteratorINS6_10device_ptrIKtEEEESL_NS6_8equal_toItEEEENSG_9not_fun_tINSD_8identityEEEEENSD_19counting_iterator_tIlEES8_S8_S8_S8_S8_S8_S8_S8_EEEEPS9_S9_NSD_9__find_if7functorIS9_EEEE10hipError_tPvRmT1_T2_T3_mT4_P12ihipStream_tbEUlT_E1_NS1_11comp_targetILNS1_3genE2ELNS1_11target_archE906ELNS1_3gpuE6ELNS1_3repE0EEENS1_30default_config_static_selectorELNS0_4arch9wavefront6targetE0EEEvS14_
	.globl	_ZN7rocprim17ROCPRIM_400000_NS6detail17trampoline_kernelINS0_14default_configENS1_22reduce_config_selectorIN6thrust23THRUST_200600_302600_NS5tupleIblNS6_9null_typeES8_S8_S8_S8_S8_S8_S8_EEEEZNS1_11reduce_implILb1ES3_NS6_12zip_iteratorINS7_INS6_11hip_rocprim26transform_input_iterator_tIbNSD_35transform_pair_of_input_iterators_tIbNS6_6detail15normal_iteratorINS6_10device_ptrIKtEEEESL_NS6_8equal_toItEEEENSG_9not_fun_tINSD_8identityEEEEENSD_19counting_iterator_tIlEES8_S8_S8_S8_S8_S8_S8_S8_EEEEPS9_S9_NSD_9__find_if7functorIS9_EEEE10hipError_tPvRmT1_T2_T3_mT4_P12ihipStream_tbEUlT_E1_NS1_11comp_targetILNS1_3genE2ELNS1_11target_archE906ELNS1_3gpuE6ELNS1_3repE0EEENS1_30default_config_static_selectorELNS0_4arch9wavefront6targetE0EEEvS14_
	.p2align	8
	.type	_ZN7rocprim17ROCPRIM_400000_NS6detail17trampoline_kernelINS0_14default_configENS1_22reduce_config_selectorIN6thrust23THRUST_200600_302600_NS5tupleIblNS6_9null_typeES8_S8_S8_S8_S8_S8_S8_EEEEZNS1_11reduce_implILb1ES3_NS6_12zip_iteratorINS7_INS6_11hip_rocprim26transform_input_iterator_tIbNSD_35transform_pair_of_input_iterators_tIbNS6_6detail15normal_iteratorINS6_10device_ptrIKtEEEESL_NS6_8equal_toItEEEENSG_9not_fun_tINSD_8identityEEEEENSD_19counting_iterator_tIlEES8_S8_S8_S8_S8_S8_S8_S8_EEEEPS9_S9_NSD_9__find_if7functorIS9_EEEE10hipError_tPvRmT1_T2_T3_mT4_P12ihipStream_tbEUlT_E1_NS1_11comp_targetILNS1_3genE2ELNS1_11target_archE906ELNS1_3gpuE6ELNS1_3repE0EEENS1_30default_config_static_selectorELNS0_4arch9wavefront6targetE0EEEvS14_,@function
_ZN7rocprim17ROCPRIM_400000_NS6detail17trampoline_kernelINS0_14default_configENS1_22reduce_config_selectorIN6thrust23THRUST_200600_302600_NS5tupleIblNS6_9null_typeES8_S8_S8_S8_S8_S8_S8_EEEEZNS1_11reduce_implILb1ES3_NS6_12zip_iteratorINS7_INS6_11hip_rocprim26transform_input_iterator_tIbNSD_35transform_pair_of_input_iterators_tIbNS6_6detail15normal_iteratorINS6_10device_ptrIKtEEEESL_NS6_8equal_toItEEEENSG_9not_fun_tINSD_8identityEEEEENSD_19counting_iterator_tIlEES8_S8_S8_S8_S8_S8_S8_S8_EEEEPS9_S9_NSD_9__find_if7functorIS9_EEEE10hipError_tPvRmT1_T2_T3_mT4_P12ihipStream_tbEUlT_E1_NS1_11comp_targetILNS1_3genE2ELNS1_11target_archE906ELNS1_3gpuE6ELNS1_3repE0EEENS1_30default_config_static_selectorELNS0_4arch9wavefront6targetE0EEEvS14_: ; @_ZN7rocprim17ROCPRIM_400000_NS6detail17trampoline_kernelINS0_14default_configENS1_22reduce_config_selectorIN6thrust23THRUST_200600_302600_NS5tupleIblNS6_9null_typeES8_S8_S8_S8_S8_S8_S8_EEEEZNS1_11reduce_implILb1ES3_NS6_12zip_iteratorINS7_INS6_11hip_rocprim26transform_input_iterator_tIbNSD_35transform_pair_of_input_iterators_tIbNS6_6detail15normal_iteratorINS6_10device_ptrIKtEEEESL_NS6_8equal_toItEEEENSG_9not_fun_tINSD_8identityEEEEENSD_19counting_iterator_tIlEES8_S8_S8_S8_S8_S8_S8_S8_EEEEPS9_S9_NSD_9__find_if7functorIS9_EEEE10hipError_tPvRmT1_T2_T3_mT4_P12ihipStream_tbEUlT_E1_NS1_11comp_targetILNS1_3genE2ELNS1_11target_archE906ELNS1_3gpuE6ELNS1_3repE0EEENS1_30default_config_static_selectorELNS0_4arch9wavefront6targetE0EEEvS14_
; %bb.0:
	.section	.rodata,"a",@progbits
	.p2align	6, 0x0
	.amdhsa_kernel _ZN7rocprim17ROCPRIM_400000_NS6detail17trampoline_kernelINS0_14default_configENS1_22reduce_config_selectorIN6thrust23THRUST_200600_302600_NS5tupleIblNS6_9null_typeES8_S8_S8_S8_S8_S8_S8_EEEEZNS1_11reduce_implILb1ES3_NS6_12zip_iteratorINS7_INS6_11hip_rocprim26transform_input_iterator_tIbNSD_35transform_pair_of_input_iterators_tIbNS6_6detail15normal_iteratorINS6_10device_ptrIKtEEEESL_NS6_8equal_toItEEEENSG_9not_fun_tINSD_8identityEEEEENSD_19counting_iterator_tIlEES8_S8_S8_S8_S8_S8_S8_S8_EEEEPS9_S9_NSD_9__find_if7functorIS9_EEEE10hipError_tPvRmT1_T2_T3_mT4_P12ihipStream_tbEUlT_E1_NS1_11comp_targetILNS1_3genE2ELNS1_11target_archE906ELNS1_3gpuE6ELNS1_3repE0EEENS1_30default_config_static_selectorELNS0_4arch9wavefront6targetE0EEEvS14_
		.amdhsa_group_segment_fixed_size 0
		.amdhsa_private_segment_fixed_size 0
		.amdhsa_kernarg_size 88
		.amdhsa_user_sgpr_count 15
		.amdhsa_user_sgpr_dispatch_ptr 0
		.amdhsa_user_sgpr_queue_ptr 0
		.amdhsa_user_sgpr_kernarg_segment_ptr 1
		.amdhsa_user_sgpr_dispatch_id 0
		.amdhsa_user_sgpr_private_segment_size 0
		.amdhsa_wavefront_size32 1
		.amdhsa_uses_dynamic_stack 0
		.amdhsa_enable_private_segment 0
		.amdhsa_system_sgpr_workgroup_id_x 1
		.amdhsa_system_sgpr_workgroup_id_y 0
		.amdhsa_system_sgpr_workgroup_id_z 0
		.amdhsa_system_sgpr_workgroup_info 0
		.amdhsa_system_vgpr_workitem_id 0
		.amdhsa_next_free_vgpr 1
		.amdhsa_next_free_sgpr 1
		.amdhsa_reserve_vcc 0
		.amdhsa_float_round_mode_32 0
		.amdhsa_float_round_mode_16_64 0
		.amdhsa_float_denorm_mode_32 3
		.amdhsa_float_denorm_mode_16_64 3
		.amdhsa_dx10_clamp 1
		.amdhsa_ieee_mode 1
		.amdhsa_fp16_overflow 0
		.amdhsa_workgroup_processor_mode 1
		.amdhsa_memory_ordered 1
		.amdhsa_forward_progress 0
		.amdhsa_shared_vgpr_count 0
		.amdhsa_exception_fp_ieee_invalid_op 0
		.amdhsa_exception_fp_denorm_src 0
		.amdhsa_exception_fp_ieee_div_zero 0
		.amdhsa_exception_fp_ieee_overflow 0
		.amdhsa_exception_fp_ieee_underflow 0
		.amdhsa_exception_fp_ieee_inexact 0
		.amdhsa_exception_int_div_zero 0
	.end_amdhsa_kernel
	.section	.text._ZN7rocprim17ROCPRIM_400000_NS6detail17trampoline_kernelINS0_14default_configENS1_22reduce_config_selectorIN6thrust23THRUST_200600_302600_NS5tupleIblNS6_9null_typeES8_S8_S8_S8_S8_S8_S8_EEEEZNS1_11reduce_implILb1ES3_NS6_12zip_iteratorINS7_INS6_11hip_rocprim26transform_input_iterator_tIbNSD_35transform_pair_of_input_iterators_tIbNS6_6detail15normal_iteratorINS6_10device_ptrIKtEEEESL_NS6_8equal_toItEEEENSG_9not_fun_tINSD_8identityEEEEENSD_19counting_iterator_tIlEES8_S8_S8_S8_S8_S8_S8_S8_EEEEPS9_S9_NSD_9__find_if7functorIS9_EEEE10hipError_tPvRmT1_T2_T3_mT4_P12ihipStream_tbEUlT_E1_NS1_11comp_targetILNS1_3genE2ELNS1_11target_archE906ELNS1_3gpuE6ELNS1_3repE0EEENS1_30default_config_static_selectorELNS0_4arch9wavefront6targetE0EEEvS14_,"axG",@progbits,_ZN7rocprim17ROCPRIM_400000_NS6detail17trampoline_kernelINS0_14default_configENS1_22reduce_config_selectorIN6thrust23THRUST_200600_302600_NS5tupleIblNS6_9null_typeES8_S8_S8_S8_S8_S8_S8_EEEEZNS1_11reduce_implILb1ES3_NS6_12zip_iteratorINS7_INS6_11hip_rocprim26transform_input_iterator_tIbNSD_35transform_pair_of_input_iterators_tIbNS6_6detail15normal_iteratorINS6_10device_ptrIKtEEEESL_NS6_8equal_toItEEEENSG_9not_fun_tINSD_8identityEEEEENSD_19counting_iterator_tIlEES8_S8_S8_S8_S8_S8_S8_S8_EEEEPS9_S9_NSD_9__find_if7functorIS9_EEEE10hipError_tPvRmT1_T2_T3_mT4_P12ihipStream_tbEUlT_E1_NS1_11comp_targetILNS1_3genE2ELNS1_11target_archE906ELNS1_3gpuE6ELNS1_3repE0EEENS1_30default_config_static_selectorELNS0_4arch9wavefront6targetE0EEEvS14_,comdat
.Lfunc_end514:
	.size	_ZN7rocprim17ROCPRIM_400000_NS6detail17trampoline_kernelINS0_14default_configENS1_22reduce_config_selectorIN6thrust23THRUST_200600_302600_NS5tupleIblNS6_9null_typeES8_S8_S8_S8_S8_S8_S8_EEEEZNS1_11reduce_implILb1ES3_NS6_12zip_iteratorINS7_INS6_11hip_rocprim26transform_input_iterator_tIbNSD_35transform_pair_of_input_iterators_tIbNS6_6detail15normal_iteratorINS6_10device_ptrIKtEEEESL_NS6_8equal_toItEEEENSG_9not_fun_tINSD_8identityEEEEENSD_19counting_iterator_tIlEES8_S8_S8_S8_S8_S8_S8_S8_EEEEPS9_S9_NSD_9__find_if7functorIS9_EEEE10hipError_tPvRmT1_T2_T3_mT4_P12ihipStream_tbEUlT_E1_NS1_11comp_targetILNS1_3genE2ELNS1_11target_archE906ELNS1_3gpuE6ELNS1_3repE0EEENS1_30default_config_static_selectorELNS0_4arch9wavefront6targetE0EEEvS14_, .Lfunc_end514-_ZN7rocprim17ROCPRIM_400000_NS6detail17trampoline_kernelINS0_14default_configENS1_22reduce_config_selectorIN6thrust23THRUST_200600_302600_NS5tupleIblNS6_9null_typeES8_S8_S8_S8_S8_S8_S8_EEEEZNS1_11reduce_implILb1ES3_NS6_12zip_iteratorINS7_INS6_11hip_rocprim26transform_input_iterator_tIbNSD_35transform_pair_of_input_iterators_tIbNS6_6detail15normal_iteratorINS6_10device_ptrIKtEEEESL_NS6_8equal_toItEEEENSG_9not_fun_tINSD_8identityEEEEENSD_19counting_iterator_tIlEES8_S8_S8_S8_S8_S8_S8_S8_EEEEPS9_S9_NSD_9__find_if7functorIS9_EEEE10hipError_tPvRmT1_T2_T3_mT4_P12ihipStream_tbEUlT_E1_NS1_11comp_targetILNS1_3genE2ELNS1_11target_archE906ELNS1_3gpuE6ELNS1_3repE0EEENS1_30default_config_static_selectorELNS0_4arch9wavefront6targetE0EEEvS14_
                                        ; -- End function
	.section	.AMDGPU.csdata,"",@progbits
; Kernel info:
; codeLenInByte = 0
; NumSgprs: 0
; NumVgprs: 0
; ScratchSize: 0
; MemoryBound: 0
; FloatMode: 240
; IeeeMode: 1
; LDSByteSize: 0 bytes/workgroup (compile time only)
; SGPRBlocks: 0
; VGPRBlocks: 0
; NumSGPRsForWavesPerEU: 1
; NumVGPRsForWavesPerEU: 1
; Occupancy: 16
; WaveLimiterHint : 0
; COMPUTE_PGM_RSRC2:SCRATCH_EN: 0
; COMPUTE_PGM_RSRC2:USER_SGPR: 15
; COMPUTE_PGM_RSRC2:TRAP_HANDLER: 0
; COMPUTE_PGM_RSRC2:TGID_X_EN: 1
; COMPUTE_PGM_RSRC2:TGID_Y_EN: 0
; COMPUTE_PGM_RSRC2:TGID_Z_EN: 0
; COMPUTE_PGM_RSRC2:TIDIG_COMP_CNT: 0
	.section	.text._ZN7rocprim17ROCPRIM_400000_NS6detail17trampoline_kernelINS0_14default_configENS1_22reduce_config_selectorIN6thrust23THRUST_200600_302600_NS5tupleIblNS6_9null_typeES8_S8_S8_S8_S8_S8_S8_EEEEZNS1_11reduce_implILb1ES3_NS6_12zip_iteratorINS7_INS6_11hip_rocprim26transform_input_iterator_tIbNSD_35transform_pair_of_input_iterators_tIbNS6_6detail15normal_iteratorINS6_10device_ptrIKtEEEESL_NS6_8equal_toItEEEENSG_9not_fun_tINSD_8identityEEEEENSD_19counting_iterator_tIlEES8_S8_S8_S8_S8_S8_S8_S8_EEEEPS9_S9_NSD_9__find_if7functorIS9_EEEE10hipError_tPvRmT1_T2_T3_mT4_P12ihipStream_tbEUlT_E1_NS1_11comp_targetILNS1_3genE10ELNS1_11target_archE1201ELNS1_3gpuE5ELNS1_3repE0EEENS1_30default_config_static_selectorELNS0_4arch9wavefront6targetE0EEEvS14_,"axG",@progbits,_ZN7rocprim17ROCPRIM_400000_NS6detail17trampoline_kernelINS0_14default_configENS1_22reduce_config_selectorIN6thrust23THRUST_200600_302600_NS5tupleIblNS6_9null_typeES8_S8_S8_S8_S8_S8_S8_EEEEZNS1_11reduce_implILb1ES3_NS6_12zip_iteratorINS7_INS6_11hip_rocprim26transform_input_iterator_tIbNSD_35transform_pair_of_input_iterators_tIbNS6_6detail15normal_iteratorINS6_10device_ptrIKtEEEESL_NS6_8equal_toItEEEENSG_9not_fun_tINSD_8identityEEEEENSD_19counting_iterator_tIlEES8_S8_S8_S8_S8_S8_S8_S8_EEEEPS9_S9_NSD_9__find_if7functorIS9_EEEE10hipError_tPvRmT1_T2_T3_mT4_P12ihipStream_tbEUlT_E1_NS1_11comp_targetILNS1_3genE10ELNS1_11target_archE1201ELNS1_3gpuE5ELNS1_3repE0EEENS1_30default_config_static_selectorELNS0_4arch9wavefront6targetE0EEEvS14_,comdat
	.protected	_ZN7rocprim17ROCPRIM_400000_NS6detail17trampoline_kernelINS0_14default_configENS1_22reduce_config_selectorIN6thrust23THRUST_200600_302600_NS5tupleIblNS6_9null_typeES8_S8_S8_S8_S8_S8_S8_EEEEZNS1_11reduce_implILb1ES3_NS6_12zip_iteratorINS7_INS6_11hip_rocprim26transform_input_iterator_tIbNSD_35transform_pair_of_input_iterators_tIbNS6_6detail15normal_iteratorINS6_10device_ptrIKtEEEESL_NS6_8equal_toItEEEENSG_9not_fun_tINSD_8identityEEEEENSD_19counting_iterator_tIlEES8_S8_S8_S8_S8_S8_S8_S8_EEEEPS9_S9_NSD_9__find_if7functorIS9_EEEE10hipError_tPvRmT1_T2_T3_mT4_P12ihipStream_tbEUlT_E1_NS1_11comp_targetILNS1_3genE10ELNS1_11target_archE1201ELNS1_3gpuE5ELNS1_3repE0EEENS1_30default_config_static_selectorELNS0_4arch9wavefront6targetE0EEEvS14_ ; -- Begin function _ZN7rocprim17ROCPRIM_400000_NS6detail17trampoline_kernelINS0_14default_configENS1_22reduce_config_selectorIN6thrust23THRUST_200600_302600_NS5tupleIblNS6_9null_typeES8_S8_S8_S8_S8_S8_S8_EEEEZNS1_11reduce_implILb1ES3_NS6_12zip_iteratorINS7_INS6_11hip_rocprim26transform_input_iterator_tIbNSD_35transform_pair_of_input_iterators_tIbNS6_6detail15normal_iteratorINS6_10device_ptrIKtEEEESL_NS6_8equal_toItEEEENSG_9not_fun_tINSD_8identityEEEEENSD_19counting_iterator_tIlEES8_S8_S8_S8_S8_S8_S8_S8_EEEEPS9_S9_NSD_9__find_if7functorIS9_EEEE10hipError_tPvRmT1_T2_T3_mT4_P12ihipStream_tbEUlT_E1_NS1_11comp_targetILNS1_3genE10ELNS1_11target_archE1201ELNS1_3gpuE5ELNS1_3repE0EEENS1_30default_config_static_selectorELNS0_4arch9wavefront6targetE0EEEvS14_
	.globl	_ZN7rocprim17ROCPRIM_400000_NS6detail17trampoline_kernelINS0_14default_configENS1_22reduce_config_selectorIN6thrust23THRUST_200600_302600_NS5tupleIblNS6_9null_typeES8_S8_S8_S8_S8_S8_S8_EEEEZNS1_11reduce_implILb1ES3_NS6_12zip_iteratorINS7_INS6_11hip_rocprim26transform_input_iterator_tIbNSD_35transform_pair_of_input_iterators_tIbNS6_6detail15normal_iteratorINS6_10device_ptrIKtEEEESL_NS6_8equal_toItEEEENSG_9not_fun_tINSD_8identityEEEEENSD_19counting_iterator_tIlEES8_S8_S8_S8_S8_S8_S8_S8_EEEEPS9_S9_NSD_9__find_if7functorIS9_EEEE10hipError_tPvRmT1_T2_T3_mT4_P12ihipStream_tbEUlT_E1_NS1_11comp_targetILNS1_3genE10ELNS1_11target_archE1201ELNS1_3gpuE5ELNS1_3repE0EEENS1_30default_config_static_selectorELNS0_4arch9wavefront6targetE0EEEvS14_
	.p2align	8
	.type	_ZN7rocprim17ROCPRIM_400000_NS6detail17trampoline_kernelINS0_14default_configENS1_22reduce_config_selectorIN6thrust23THRUST_200600_302600_NS5tupleIblNS6_9null_typeES8_S8_S8_S8_S8_S8_S8_EEEEZNS1_11reduce_implILb1ES3_NS6_12zip_iteratorINS7_INS6_11hip_rocprim26transform_input_iterator_tIbNSD_35transform_pair_of_input_iterators_tIbNS6_6detail15normal_iteratorINS6_10device_ptrIKtEEEESL_NS6_8equal_toItEEEENSG_9not_fun_tINSD_8identityEEEEENSD_19counting_iterator_tIlEES8_S8_S8_S8_S8_S8_S8_S8_EEEEPS9_S9_NSD_9__find_if7functorIS9_EEEE10hipError_tPvRmT1_T2_T3_mT4_P12ihipStream_tbEUlT_E1_NS1_11comp_targetILNS1_3genE10ELNS1_11target_archE1201ELNS1_3gpuE5ELNS1_3repE0EEENS1_30default_config_static_selectorELNS0_4arch9wavefront6targetE0EEEvS14_,@function
_ZN7rocprim17ROCPRIM_400000_NS6detail17trampoline_kernelINS0_14default_configENS1_22reduce_config_selectorIN6thrust23THRUST_200600_302600_NS5tupleIblNS6_9null_typeES8_S8_S8_S8_S8_S8_S8_EEEEZNS1_11reduce_implILb1ES3_NS6_12zip_iteratorINS7_INS6_11hip_rocprim26transform_input_iterator_tIbNSD_35transform_pair_of_input_iterators_tIbNS6_6detail15normal_iteratorINS6_10device_ptrIKtEEEESL_NS6_8equal_toItEEEENSG_9not_fun_tINSD_8identityEEEEENSD_19counting_iterator_tIlEES8_S8_S8_S8_S8_S8_S8_S8_EEEEPS9_S9_NSD_9__find_if7functorIS9_EEEE10hipError_tPvRmT1_T2_T3_mT4_P12ihipStream_tbEUlT_E1_NS1_11comp_targetILNS1_3genE10ELNS1_11target_archE1201ELNS1_3gpuE5ELNS1_3repE0EEENS1_30default_config_static_selectorELNS0_4arch9wavefront6targetE0EEEvS14_: ; @_ZN7rocprim17ROCPRIM_400000_NS6detail17trampoline_kernelINS0_14default_configENS1_22reduce_config_selectorIN6thrust23THRUST_200600_302600_NS5tupleIblNS6_9null_typeES8_S8_S8_S8_S8_S8_S8_EEEEZNS1_11reduce_implILb1ES3_NS6_12zip_iteratorINS7_INS6_11hip_rocprim26transform_input_iterator_tIbNSD_35transform_pair_of_input_iterators_tIbNS6_6detail15normal_iteratorINS6_10device_ptrIKtEEEESL_NS6_8equal_toItEEEENSG_9not_fun_tINSD_8identityEEEEENSD_19counting_iterator_tIlEES8_S8_S8_S8_S8_S8_S8_S8_EEEEPS9_S9_NSD_9__find_if7functorIS9_EEEE10hipError_tPvRmT1_T2_T3_mT4_P12ihipStream_tbEUlT_E1_NS1_11comp_targetILNS1_3genE10ELNS1_11target_archE1201ELNS1_3gpuE5ELNS1_3repE0EEENS1_30default_config_static_selectorELNS0_4arch9wavefront6targetE0EEEvS14_
; %bb.0:
	.section	.rodata,"a",@progbits
	.p2align	6, 0x0
	.amdhsa_kernel _ZN7rocprim17ROCPRIM_400000_NS6detail17trampoline_kernelINS0_14default_configENS1_22reduce_config_selectorIN6thrust23THRUST_200600_302600_NS5tupleIblNS6_9null_typeES8_S8_S8_S8_S8_S8_S8_EEEEZNS1_11reduce_implILb1ES3_NS6_12zip_iteratorINS7_INS6_11hip_rocprim26transform_input_iterator_tIbNSD_35transform_pair_of_input_iterators_tIbNS6_6detail15normal_iteratorINS6_10device_ptrIKtEEEESL_NS6_8equal_toItEEEENSG_9not_fun_tINSD_8identityEEEEENSD_19counting_iterator_tIlEES8_S8_S8_S8_S8_S8_S8_S8_EEEEPS9_S9_NSD_9__find_if7functorIS9_EEEE10hipError_tPvRmT1_T2_T3_mT4_P12ihipStream_tbEUlT_E1_NS1_11comp_targetILNS1_3genE10ELNS1_11target_archE1201ELNS1_3gpuE5ELNS1_3repE0EEENS1_30default_config_static_selectorELNS0_4arch9wavefront6targetE0EEEvS14_
		.amdhsa_group_segment_fixed_size 0
		.amdhsa_private_segment_fixed_size 0
		.amdhsa_kernarg_size 88
		.amdhsa_user_sgpr_count 15
		.amdhsa_user_sgpr_dispatch_ptr 0
		.amdhsa_user_sgpr_queue_ptr 0
		.amdhsa_user_sgpr_kernarg_segment_ptr 1
		.amdhsa_user_sgpr_dispatch_id 0
		.amdhsa_user_sgpr_private_segment_size 0
		.amdhsa_wavefront_size32 1
		.amdhsa_uses_dynamic_stack 0
		.amdhsa_enable_private_segment 0
		.amdhsa_system_sgpr_workgroup_id_x 1
		.amdhsa_system_sgpr_workgroup_id_y 0
		.amdhsa_system_sgpr_workgroup_id_z 0
		.amdhsa_system_sgpr_workgroup_info 0
		.amdhsa_system_vgpr_workitem_id 0
		.amdhsa_next_free_vgpr 1
		.amdhsa_next_free_sgpr 1
		.amdhsa_reserve_vcc 0
		.amdhsa_float_round_mode_32 0
		.amdhsa_float_round_mode_16_64 0
		.amdhsa_float_denorm_mode_32 3
		.amdhsa_float_denorm_mode_16_64 3
		.amdhsa_dx10_clamp 1
		.amdhsa_ieee_mode 1
		.amdhsa_fp16_overflow 0
		.amdhsa_workgroup_processor_mode 1
		.amdhsa_memory_ordered 1
		.amdhsa_forward_progress 0
		.amdhsa_shared_vgpr_count 0
		.amdhsa_exception_fp_ieee_invalid_op 0
		.amdhsa_exception_fp_denorm_src 0
		.amdhsa_exception_fp_ieee_div_zero 0
		.amdhsa_exception_fp_ieee_overflow 0
		.amdhsa_exception_fp_ieee_underflow 0
		.amdhsa_exception_fp_ieee_inexact 0
		.amdhsa_exception_int_div_zero 0
	.end_amdhsa_kernel
	.section	.text._ZN7rocprim17ROCPRIM_400000_NS6detail17trampoline_kernelINS0_14default_configENS1_22reduce_config_selectorIN6thrust23THRUST_200600_302600_NS5tupleIblNS6_9null_typeES8_S8_S8_S8_S8_S8_S8_EEEEZNS1_11reduce_implILb1ES3_NS6_12zip_iteratorINS7_INS6_11hip_rocprim26transform_input_iterator_tIbNSD_35transform_pair_of_input_iterators_tIbNS6_6detail15normal_iteratorINS6_10device_ptrIKtEEEESL_NS6_8equal_toItEEEENSG_9not_fun_tINSD_8identityEEEEENSD_19counting_iterator_tIlEES8_S8_S8_S8_S8_S8_S8_S8_EEEEPS9_S9_NSD_9__find_if7functorIS9_EEEE10hipError_tPvRmT1_T2_T3_mT4_P12ihipStream_tbEUlT_E1_NS1_11comp_targetILNS1_3genE10ELNS1_11target_archE1201ELNS1_3gpuE5ELNS1_3repE0EEENS1_30default_config_static_selectorELNS0_4arch9wavefront6targetE0EEEvS14_,"axG",@progbits,_ZN7rocprim17ROCPRIM_400000_NS6detail17trampoline_kernelINS0_14default_configENS1_22reduce_config_selectorIN6thrust23THRUST_200600_302600_NS5tupleIblNS6_9null_typeES8_S8_S8_S8_S8_S8_S8_EEEEZNS1_11reduce_implILb1ES3_NS6_12zip_iteratorINS7_INS6_11hip_rocprim26transform_input_iterator_tIbNSD_35transform_pair_of_input_iterators_tIbNS6_6detail15normal_iteratorINS6_10device_ptrIKtEEEESL_NS6_8equal_toItEEEENSG_9not_fun_tINSD_8identityEEEEENSD_19counting_iterator_tIlEES8_S8_S8_S8_S8_S8_S8_S8_EEEEPS9_S9_NSD_9__find_if7functorIS9_EEEE10hipError_tPvRmT1_T2_T3_mT4_P12ihipStream_tbEUlT_E1_NS1_11comp_targetILNS1_3genE10ELNS1_11target_archE1201ELNS1_3gpuE5ELNS1_3repE0EEENS1_30default_config_static_selectorELNS0_4arch9wavefront6targetE0EEEvS14_,comdat
.Lfunc_end515:
	.size	_ZN7rocprim17ROCPRIM_400000_NS6detail17trampoline_kernelINS0_14default_configENS1_22reduce_config_selectorIN6thrust23THRUST_200600_302600_NS5tupleIblNS6_9null_typeES8_S8_S8_S8_S8_S8_S8_EEEEZNS1_11reduce_implILb1ES3_NS6_12zip_iteratorINS7_INS6_11hip_rocprim26transform_input_iterator_tIbNSD_35transform_pair_of_input_iterators_tIbNS6_6detail15normal_iteratorINS6_10device_ptrIKtEEEESL_NS6_8equal_toItEEEENSG_9not_fun_tINSD_8identityEEEEENSD_19counting_iterator_tIlEES8_S8_S8_S8_S8_S8_S8_S8_EEEEPS9_S9_NSD_9__find_if7functorIS9_EEEE10hipError_tPvRmT1_T2_T3_mT4_P12ihipStream_tbEUlT_E1_NS1_11comp_targetILNS1_3genE10ELNS1_11target_archE1201ELNS1_3gpuE5ELNS1_3repE0EEENS1_30default_config_static_selectorELNS0_4arch9wavefront6targetE0EEEvS14_, .Lfunc_end515-_ZN7rocprim17ROCPRIM_400000_NS6detail17trampoline_kernelINS0_14default_configENS1_22reduce_config_selectorIN6thrust23THRUST_200600_302600_NS5tupleIblNS6_9null_typeES8_S8_S8_S8_S8_S8_S8_EEEEZNS1_11reduce_implILb1ES3_NS6_12zip_iteratorINS7_INS6_11hip_rocprim26transform_input_iterator_tIbNSD_35transform_pair_of_input_iterators_tIbNS6_6detail15normal_iteratorINS6_10device_ptrIKtEEEESL_NS6_8equal_toItEEEENSG_9not_fun_tINSD_8identityEEEEENSD_19counting_iterator_tIlEES8_S8_S8_S8_S8_S8_S8_S8_EEEEPS9_S9_NSD_9__find_if7functorIS9_EEEE10hipError_tPvRmT1_T2_T3_mT4_P12ihipStream_tbEUlT_E1_NS1_11comp_targetILNS1_3genE10ELNS1_11target_archE1201ELNS1_3gpuE5ELNS1_3repE0EEENS1_30default_config_static_selectorELNS0_4arch9wavefront6targetE0EEEvS14_
                                        ; -- End function
	.section	.AMDGPU.csdata,"",@progbits
; Kernel info:
; codeLenInByte = 0
; NumSgprs: 0
; NumVgprs: 0
; ScratchSize: 0
; MemoryBound: 0
; FloatMode: 240
; IeeeMode: 1
; LDSByteSize: 0 bytes/workgroup (compile time only)
; SGPRBlocks: 0
; VGPRBlocks: 0
; NumSGPRsForWavesPerEU: 1
; NumVGPRsForWavesPerEU: 1
; Occupancy: 16
; WaveLimiterHint : 0
; COMPUTE_PGM_RSRC2:SCRATCH_EN: 0
; COMPUTE_PGM_RSRC2:USER_SGPR: 15
; COMPUTE_PGM_RSRC2:TRAP_HANDLER: 0
; COMPUTE_PGM_RSRC2:TGID_X_EN: 1
; COMPUTE_PGM_RSRC2:TGID_Y_EN: 0
; COMPUTE_PGM_RSRC2:TGID_Z_EN: 0
; COMPUTE_PGM_RSRC2:TIDIG_COMP_CNT: 0
	.section	.text._ZN7rocprim17ROCPRIM_400000_NS6detail17trampoline_kernelINS0_14default_configENS1_22reduce_config_selectorIN6thrust23THRUST_200600_302600_NS5tupleIblNS6_9null_typeES8_S8_S8_S8_S8_S8_S8_EEEEZNS1_11reduce_implILb1ES3_NS6_12zip_iteratorINS7_INS6_11hip_rocprim26transform_input_iterator_tIbNSD_35transform_pair_of_input_iterators_tIbNS6_6detail15normal_iteratorINS6_10device_ptrIKtEEEESL_NS6_8equal_toItEEEENSG_9not_fun_tINSD_8identityEEEEENSD_19counting_iterator_tIlEES8_S8_S8_S8_S8_S8_S8_S8_EEEEPS9_S9_NSD_9__find_if7functorIS9_EEEE10hipError_tPvRmT1_T2_T3_mT4_P12ihipStream_tbEUlT_E1_NS1_11comp_targetILNS1_3genE10ELNS1_11target_archE1200ELNS1_3gpuE4ELNS1_3repE0EEENS1_30default_config_static_selectorELNS0_4arch9wavefront6targetE0EEEvS14_,"axG",@progbits,_ZN7rocprim17ROCPRIM_400000_NS6detail17trampoline_kernelINS0_14default_configENS1_22reduce_config_selectorIN6thrust23THRUST_200600_302600_NS5tupleIblNS6_9null_typeES8_S8_S8_S8_S8_S8_S8_EEEEZNS1_11reduce_implILb1ES3_NS6_12zip_iteratorINS7_INS6_11hip_rocprim26transform_input_iterator_tIbNSD_35transform_pair_of_input_iterators_tIbNS6_6detail15normal_iteratorINS6_10device_ptrIKtEEEESL_NS6_8equal_toItEEEENSG_9not_fun_tINSD_8identityEEEEENSD_19counting_iterator_tIlEES8_S8_S8_S8_S8_S8_S8_S8_EEEEPS9_S9_NSD_9__find_if7functorIS9_EEEE10hipError_tPvRmT1_T2_T3_mT4_P12ihipStream_tbEUlT_E1_NS1_11comp_targetILNS1_3genE10ELNS1_11target_archE1200ELNS1_3gpuE4ELNS1_3repE0EEENS1_30default_config_static_selectorELNS0_4arch9wavefront6targetE0EEEvS14_,comdat
	.protected	_ZN7rocprim17ROCPRIM_400000_NS6detail17trampoline_kernelINS0_14default_configENS1_22reduce_config_selectorIN6thrust23THRUST_200600_302600_NS5tupleIblNS6_9null_typeES8_S8_S8_S8_S8_S8_S8_EEEEZNS1_11reduce_implILb1ES3_NS6_12zip_iteratorINS7_INS6_11hip_rocprim26transform_input_iterator_tIbNSD_35transform_pair_of_input_iterators_tIbNS6_6detail15normal_iteratorINS6_10device_ptrIKtEEEESL_NS6_8equal_toItEEEENSG_9not_fun_tINSD_8identityEEEEENSD_19counting_iterator_tIlEES8_S8_S8_S8_S8_S8_S8_S8_EEEEPS9_S9_NSD_9__find_if7functorIS9_EEEE10hipError_tPvRmT1_T2_T3_mT4_P12ihipStream_tbEUlT_E1_NS1_11comp_targetILNS1_3genE10ELNS1_11target_archE1200ELNS1_3gpuE4ELNS1_3repE0EEENS1_30default_config_static_selectorELNS0_4arch9wavefront6targetE0EEEvS14_ ; -- Begin function _ZN7rocprim17ROCPRIM_400000_NS6detail17trampoline_kernelINS0_14default_configENS1_22reduce_config_selectorIN6thrust23THRUST_200600_302600_NS5tupleIblNS6_9null_typeES8_S8_S8_S8_S8_S8_S8_EEEEZNS1_11reduce_implILb1ES3_NS6_12zip_iteratorINS7_INS6_11hip_rocprim26transform_input_iterator_tIbNSD_35transform_pair_of_input_iterators_tIbNS6_6detail15normal_iteratorINS6_10device_ptrIKtEEEESL_NS6_8equal_toItEEEENSG_9not_fun_tINSD_8identityEEEEENSD_19counting_iterator_tIlEES8_S8_S8_S8_S8_S8_S8_S8_EEEEPS9_S9_NSD_9__find_if7functorIS9_EEEE10hipError_tPvRmT1_T2_T3_mT4_P12ihipStream_tbEUlT_E1_NS1_11comp_targetILNS1_3genE10ELNS1_11target_archE1200ELNS1_3gpuE4ELNS1_3repE0EEENS1_30default_config_static_selectorELNS0_4arch9wavefront6targetE0EEEvS14_
	.globl	_ZN7rocprim17ROCPRIM_400000_NS6detail17trampoline_kernelINS0_14default_configENS1_22reduce_config_selectorIN6thrust23THRUST_200600_302600_NS5tupleIblNS6_9null_typeES8_S8_S8_S8_S8_S8_S8_EEEEZNS1_11reduce_implILb1ES3_NS6_12zip_iteratorINS7_INS6_11hip_rocprim26transform_input_iterator_tIbNSD_35transform_pair_of_input_iterators_tIbNS6_6detail15normal_iteratorINS6_10device_ptrIKtEEEESL_NS6_8equal_toItEEEENSG_9not_fun_tINSD_8identityEEEEENSD_19counting_iterator_tIlEES8_S8_S8_S8_S8_S8_S8_S8_EEEEPS9_S9_NSD_9__find_if7functorIS9_EEEE10hipError_tPvRmT1_T2_T3_mT4_P12ihipStream_tbEUlT_E1_NS1_11comp_targetILNS1_3genE10ELNS1_11target_archE1200ELNS1_3gpuE4ELNS1_3repE0EEENS1_30default_config_static_selectorELNS0_4arch9wavefront6targetE0EEEvS14_
	.p2align	8
	.type	_ZN7rocprim17ROCPRIM_400000_NS6detail17trampoline_kernelINS0_14default_configENS1_22reduce_config_selectorIN6thrust23THRUST_200600_302600_NS5tupleIblNS6_9null_typeES8_S8_S8_S8_S8_S8_S8_EEEEZNS1_11reduce_implILb1ES3_NS6_12zip_iteratorINS7_INS6_11hip_rocprim26transform_input_iterator_tIbNSD_35transform_pair_of_input_iterators_tIbNS6_6detail15normal_iteratorINS6_10device_ptrIKtEEEESL_NS6_8equal_toItEEEENSG_9not_fun_tINSD_8identityEEEEENSD_19counting_iterator_tIlEES8_S8_S8_S8_S8_S8_S8_S8_EEEEPS9_S9_NSD_9__find_if7functorIS9_EEEE10hipError_tPvRmT1_T2_T3_mT4_P12ihipStream_tbEUlT_E1_NS1_11comp_targetILNS1_3genE10ELNS1_11target_archE1200ELNS1_3gpuE4ELNS1_3repE0EEENS1_30default_config_static_selectorELNS0_4arch9wavefront6targetE0EEEvS14_,@function
_ZN7rocprim17ROCPRIM_400000_NS6detail17trampoline_kernelINS0_14default_configENS1_22reduce_config_selectorIN6thrust23THRUST_200600_302600_NS5tupleIblNS6_9null_typeES8_S8_S8_S8_S8_S8_S8_EEEEZNS1_11reduce_implILb1ES3_NS6_12zip_iteratorINS7_INS6_11hip_rocprim26transform_input_iterator_tIbNSD_35transform_pair_of_input_iterators_tIbNS6_6detail15normal_iteratorINS6_10device_ptrIKtEEEESL_NS6_8equal_toItEEEENSG_9not_fun_tINSD_8identityEEEEENSD_19counting_iterator_tIlEES8_S8_S8_S8_S8_S8_S8_S8_EEEEPS9_S9_NSD_9__find_if7functorIS9_EEEE10hipError_tPvRmT1_T2_T3_mT4_P12ihipStream_tbEUlT_E1_NS1_11comp_targetILNS1_3genE10ELNS1_11target_archE1200ELNS1_3gpuE4ELNS1_3repE0EEENS1_30default_config_static_selectorELNS0_4arch9wavefront6targetE0EEEvS14_: ; @_ZN7rocprim17ROCPRIM_400000_NS6detail17trampoline_kernelINS0_14default_configENS1_22reduce_config_selectorIN6thrust23THRUST_200600_302600_NS5tupleIblNS6_9null_typeES8_S8_S8_S8_S8_S8_S8_EEEEZNS1_11reduce_implILb1ES3_NS6_12zip_iteratorINS7_INS6_11hip_rocprim26transform_input_iterator_tIbNSD_35transform_pair_of_input_iterators_tIbNS6_6detail15normal_iteratorINS6_10device_ptrIKtEEEESL_NS6_8equal_toItEEEENSG_9not_fun_tINSD_8identityEEEEENSD_19counting_iterator_tIlEES8_S8_S8_S8_S8_S8_S8_S8_EEEEPS9_S9_NSD_9__find_if7functorIS9_EEEE10hipError_tPvRmT1_T2_T3_mT4_P12ihipStream_tbEUlT_E1_NS1_11comp_targetILNS1_3genE10ELNS1_11target_archE1200ELNS1_3gpuE4ELNS1_3repE0EEENS1_30default_config_static_selectorELNS0_4arch9wavefront6targetE0EEEvS14_
; %bb.0:
	.section	.rodata,"a",@progbits
	.p2align	6, 0x0
	.amdhsa_kernel _ZN7rocprim17ROCPRIM_400000_NS6detail17trampoline_kernelINS0_14default_configENS1_22reduce_config_selectorIN6thrust23THRUST_200600_302600_NS5tupleIblNS6_9null_typeES8_S8_S8_S8_S8_S8_S8_EEEEZNS1_11reduce_implILb1ES3_NS6_12zip_iteratorINS7_INS6_11hip_rocprim26transform_input_iterator_tIbNSD_35transform_pair_of_input_iterators_tIbNS6_6detail15normal_iteratorINS6_10device_ptrIKtEEEESL_NS6_8equal_toItEEEENSG_9not_fun_tINSD_8identityEEEEENSD_19counting_iterator_tIlEES8_S8_S8_S8_S8_S8_S8_S8_EEEEPS9_S9_NSD_9__find_if7functorIS9_EEEE10hipError_tPvRmT1_T2_T3_mT4_P12ihipStream_tbEUlT_E1_NS1_11comp_targetILNS1_3genE10ELNS1_11target_archE1200ELNS1_3gpuE4ELNS1_3repE0EEENS1_30default_config_static_selectorELNS0_4arch9wavefront6targetE0EEEvS14_
		.amdhsa_group_segment_fixed_size 0
		.amdhsa_private_segment_fixed_size 0
		.amdhsa_kernarg_size 88
		.amdhsa_user_sgpr_count 15
		.amdhsa_user_sgpr_dispatch_ptr 0
		.amdhsa_user_sgpr_queue_ptr 0
		.amdhsa_user_sgpr_kernarg_segment_ptr 1
		.amdhsa_user_sgpr_dispatch_id 0
		.amdhsa_user_sgpr_private_segment_size 0
		.amdhsa_wavefront_size32 1
		.amdhsa_uses_dynamic_stack 0
		.amdhsa_enable_private_segment 0
		.amdhsa_system_sgpr_workgroup_id_x 1
		.amdhsa_system_sgpr_workgroup_id_y 0
		.amdhsa_system_sgpr_workgroup_id_z 0
		.amdhsa_system_sgpr_workgroup_info 0
		.amdhsa_system_vgpr_workitem_id 0
		.amdhsa_next_free_vgpr 1
		.amdhsa_next_free_sgpr 1
		.amdhsa_reserve_vcc 0
		.amdhsa_float_round_mode_32 0
		.amdhsa_float_round_mode_16_64 0
		.amdhsa_float_denorm_mode_32 3
		.amdhsa_float_denorm_mode_16_64 3
		.amdhsa_dx10_clamp 1
		.amdhsa_ieee_mode 1
		.amdhsa_fp16_overflow 0
		.amdhsa_workgroup_processor_mode 1
		.amdhsa_memory_ordered 1
		.amdhsa_forward_progress 0
		.amdhsa_shared_vgpr_count 0
		.amdhsa_exception_fp_ieee_invalid_op 0
		.amdhsa_exception_fp_denorm_src 0
		.amdhsa_exception_fp_ieee_div_zero 0
		.amdhsa_exception_fp_ieee_overflow 0
		.amdhsa_exception_fp_ieee_underflow 0
		.amdhsa_exception_fp_ieee_inexact 0
		.amdhsa_exception_int_div_zero 0
	.end_amdhsa_kernel
	.section	.text._ZN7rocprim17ROCPRIM_400000_NS6detail17trampoline_kernelINS0_14default_configENS1_22reduce_config_selectorIN6thrust23THRUST_200600_302600_NS5tupleIblNS6_9null_typeES8_S8_S8_S8_S8_S8_S8_EEEEZNS1_11reduce_implILb1ES3_NS6_12zip_iteratorINS7_INS6_11hip_rocprim26transform_input_iterator_tIbNSD_35transform_pair_of_input_iterators_tIbNS6_6detail15normal_iteratorINS6_10device_ptrIKtEEEESL_NS6_8equal_toItEEEENSG_9not_fun_tINSD_8identityEEEEENSD_19counting_iterator_tIlEES8_S8_S8_S8_S8_S8_S8_S8_EEEEPS9_S9_NSD_9__find_if7functorIS9_EEEE10hipError_tPvRmT1_T2_T3_mT4_P12ihipStream_tbEUlT_E1_NS1_11comp_targetILNS1_3genE10ELNS1_11target_archE1200ELNS1_3gpuE4ELNS1_3repE0EEENS1_30default_config_static_selectorELNS0_4arch9wavefront6targetE0EEEvS14_,"axG",@progbits,_ZN7rocprim17ROCPRIM_400000_NS6detail17trampoline_kernelINS0_14default_configENS1_22reduce_config_selectorIN6thrust23THRUST_200600_302600_NS5tupleIblNS6_9null_typeES8_S8_S8_S8_S8_S8_S8_EEEEZNS1_11reduce_implILb1ES3_NS6_12zip_iteratorINS7_INS6_11hip_rocprim26transform_input_iterator_tIbNSD_35transform_pair_of_input_iterators_tIbNS6_6detail15normal_iteratorINS6_10device_ptrIKtEEEESL_NS6_8equal_toItEEEENSG_9not_fun_tINSD_8identityEEEEENSD_19counting_iterator_tIlEES8_S8_S8_S8_S8_S8_S8_S8_EEEEPS9_S9_NSD_9__find_if7functorIS9_EEEE10hipError_tPvRmT1_T2_T3_mT4_P12ihipStream_tbEUlT_E1_NS1_11comp_targetILNS1_3genE10ELNS1_11target_archE1200ELNS1_3gpuE4ELNS1_3repE0EEENS1_30default_config_static_selectorELNS0_4arch9wavefront6targetE0EEEvS14_,comdat
.Lfunc_end516:
	.size	_ZN7rocprim17ROCPRIM_400000_NS6detail17trampoline_kernelINS0_14default_configENS1_22reduce_config_selectorIN6thrust23THRUST_200600_302600_NS5tupleIblNS6_9null_typeES8_S8_S8_S8_S8_S8_S8_EEEEZNS1_11reduce_implILb1ES3_NS6_12zip_iteratorINS7_INS6_11hip_rocprim26transform_input_iterator_tIbNSD_35transform_pair_of_input_iterators_tIbNS6_6detail15normal_iteratorINS6_10device_ptrIKtEEEESL_NS6_8equal_toItEEEENSG_9not_fun_tINSD_8identityEEEEENSD_19counting_iterator_tIlEES8_S8_S8_S8_S8_S8_S8_S8_EEEEPS9_S9_NSD_9__find_if7functorIS9_EEEE10hipError_tPvRmT1_T2_T3_mT4_P12ihipStream_tbEUlT_E1_NS1_11comp_targetILNS1_3genE10ELNS1_11target_archE1200ELNS1_3gpuE4ELNS1_3repE0EEENS1_30default_config_static_selectorELNS0_4arch9wavefront6targetE0EEEvS14_, .Lfunc_end516-_ZN7rocprim17ROCPRIM_400000_NS6detail17trampoline_kernelINS0_14default_configENS1_22reduce_config_selectorIN6thrust23THRUST_200600_302600_NS5tupleIblNS6_9null_typeES8_S8_S8_S8_S8_S8_S8_EEEEZNS1_11reduce_implILb1ES3_NS6_12zip_iteratorINS7_INS6_11hip_rocprim26transform_input_iterator_tIbNSD_35transform_pair_of_input_iterators_tIbNS6_6detail15normal_iteratorINS6_10device_ptrIKtEEEESL_NS6_8equal_toItEEEENSG_9not_fun_tINSD_8identityEEEEENSD_19counting_iterator_tIlEES8_S8_S8_S8_S8_S8_S8_S8_EEEEPS9_S9_NSD_9__find_if7functorIS9_EEEE10hipError_tPvRmT1_T2_T3_mT4_P12ihipStream_tbEUlT_E1_NS1_11comp_targetILNS1_3genE10ELNS1_11target_archE1200ELNS1_3gpuE4ELNS1_3repE0EEENS1_30default_config_static_selectorELNS0_4arch9wavefront6targetE0EEEvS14_
                                        ; -- End function
	.section	.AMDGPU.csdata,"",@progbits
; Kernel info:
; codeLenInByte = 0
; NumSgprs: 0
; NumVgprs: 0
; ScratchSize: 0
; MemoryBound: 0
; FloatMode: 240
; IeeeMode: 1
; LDSByteSize: 0 bytes/workgroup (compile time only)
; SGPRBlocks: 0
; VGPRBlocks: 0
; NumSGPRsForWavesPerEU: 1
; NumVGPRsForWavesPerEU: 1
; Occupancy: 16
; WaveLimiterHint : 0
; COMPUTE_PGM_RSRC2:SCRATCH_EN: 0
; COMPUTE_PGM_RSRC2:USER_SGPR: 15
; COMPUTE_PGM_RSRC2:TRAP_HANDLER: 0
; COMPUTE_PGM_RSRC2:TGID_X_EN: 1
; COMPUTE_PGM_RSRC2:TGID_Y_EN: 0
; COMPUTE_PGM_RSRC2:TGID_Z_EN: 0
; COMPUTE_PGM_RSRC2:TIDIG_COMP_CNT: 0
	.section	.text._ZN7rocprim17ROCPRIM_400000_NS6detail17trampoline_kernelINS0_14default_configENS1_22reduce_config_selectorIN6thrust23THRUST_200600_302600_NS5tupleIblNS6_9null_typeES8_S8_S8_S8_S8_S8_S8_EEEEZNS1_11reduce_implILb1ES3_NS6_12zip_iteratorINS7_INS6_11hip_rocprim26transform_input_iterator_tIbNSD_35transform_pair_of_input_iterators_tIbNS6_6detail15normal_iteratorINS6_10device_ptrIKtEEEESL_NS6_8equal_toItEEEENSG_9not_fun_tINSD_8identityEEEEENSD_19counting_iterator_tIlEES8_S8_S8_S8_S8_S8_S8_S8_EEEEPS9_S9_NSD_9__find_if7functorIS9_EEEE10hipError_tPvRmT1_T2_T3_mT4_P12ihipStream_tbEUlT_E1_NS1_11comp_targetILNS1_3genE9ELNS1_11target_archE1100ELNS1_3gpuE3ELNS1_3repE0EEENS1_30default_config_static_selectorELNS0_4arch9wavefront6targetE0EEEvS14_,"axG",@progbits,_ZN7rocprim17ROCPRIM_400000_NS6detail17trampoline_kernelINS0_14default_configENS1_22reduce_config_selectorIN6thrust23THRUST_200600_302600_NS5tupleIblNS6_9null_typeES8_S8_S8_S8_S8_S8_S8_EEEEZNS1_11reduce_implILb1ES3_NS6_12zip_iteratorINS7_INS6_11hip_rocprim26transform_input_iterator_tIbNSD_35transform_pair_of_input_iterators_tIbNS6_6detail15normal_iteratorINS6_10device_ptrIKtEEEESL_NS6_8equal_toItEEEENSG_9not_fun_tINSD_8identityEEEEENSD_19counting_iterator_tIlEES8_S8_S8_S8_S8_S8_S8_S8_EEEEPS9_S9_NSD_9__find_if7functorIS9_EEEE10hipError_tPvRmT1_T2_T3_mT4_P12ihipStream_tbEUlT_E1_NS1_11comp_targetILNS1_3genE9ELNS1_11target_archE1100ELNS1_3gpuE3ELNS1_3repE0EEENS1_30default_config_static_selectorELNS0_4arch9wavefront6targetE0EEEvS14_,comdat
	.protected	_ZN7rocprim17ROCPRIM_400000_NS6detail17trampoline_kernelINS0_14default_configENS1_22reduce_config_selectorIN6thrust23THRUST_200600_302600_NS5tupleIblNS6_9null_typeES8_S8_S8_S8_S8_S8_S8_EEEEZNS1_11reduce_implILb1ES3_NS6_12zip_iteratorINS7_INS6_11hip_rocprim26transform_input_iterator_tIbNSD_35transform_pair_of_input_iterators_tIbNS6_6detail15normal_iteratorINS6_10device_ptrIKtEEEESL_NS6_8equal_toItEEEENSG_9not_fun_tINSD_8identityEEEEENSD_19counting_iterator_tIlEES8_S8_S8_S8_S8_S8_S8_S8_EEEEPS9_S9_NSD_9__find_if7functorIS9_EEEE10hipError_tPvRmT1_T2_T3_mT4_P12ihipStream_tbEUlT_E1_NS1_11comp_targetILNS1_3genE9ELNS1_11target_archE1100ELNS1_3gpuE3ELNS1_3repE0EEENS1_30default_config_static_selectorELNS0_4arch9wavefront6targetE0EEEvS14_ ; -- Begin function _ZN7rocprim17ROCPRIM_400000_NS6detail17trampoline_kernelINS0_14default_configENS1_22reduce_config_selectorIN6thrust23THRUST_200600_302600_NS5tupleIblNS6_9null_typeES8_S8_S8_S8_S8_S8_S8_EEEEZNS1_11reduce_implILb1ES3_NS6_12zip_iteratorINS7_INS6_11hip_rocprim26transform_input_iterator_tIbNSD_35transform_pair_of_input_iterators_tIbNS6_6detail15normal_iteratorINS6_10device_ptrIKtEEEESL_NS6_8equal_toItEEEENSG_9not_fun_tINSD_8identityEEEEENSD_19counting_iterator_tIlEES8_S8_S8_S8_S8_S8_S8_S8_EEEEPS9_S9_NSD_9__find_if7functorIS9_EEEE10hipError_tPvRmT1_T2_T3_mT4_P12ihipStream_tbEUlT_E1_NS1_11comp_targetILNS1_3genE9ELNS1_11target_archE1100ELNS1_3gpuE3ELNS1_3repE0EEENS1_30default_config_static_selectorELNS0_4arch9wavefront6targetE0EEEvS14_
	.globl	_ZN7rocprim17ROCPRIM_400000_NS6detail17trampoline_kernelINS0_14default_configENS1_22reduce_config_selectorIN6thrust23THRUST_200600_302600_NS5tupleIblNS6_9null_typeES8_S8_S8_S8_S8_S8_S8_EEEEZNS1_11reduce_implILb1ES3_NS6_12zip_iteratorINS7_INS6_11hip_rocprim26transform_input_iterator_tIbNSD_35transform_pair_of_input_iterators_tIbNS6_6detail15normal_iteratorINS6_10device_ptrIKtEEEESL_NS6_8equal_toItEEEENSG_9not_fun_tINSD_8identityEEEEENSD_19counting_iterator_tIlEES8_S8_S8_S8_S8_S8_S8_S8_EEEEPS9_S9_NSD_9__find_if7functorIS9_EEEE10hipError_tPvRmT1_T2_T3_mT4_P12ihipStream_tbEUlT_E1_NS1_11comp_targetILNS1_3genE9ELNS1_11target_archE1100ELNS1_3gpuE3ELNS1_3repE0EEENS1_30default_config_static_selectorELNS0_4arch9wavefront6targetE0EEEvS14_
	.p2align	8
	.type	_ZN7rocprim17ROCPRIM_400000_NS6detail17trampoline_kernelINS0_14default_configENS1_22reduce_config_selectorIN6thrust23THRUST_200600_302600_NS5tupleIblNS6_9null_typeES8_S8_S8_S8_S8_S8_S8_EEEEZNS1_11reduce_implILb1ES3_NS6_12zip_iteratorINS7_INS6_11hip_rocprim26transform_input_iterator_tIbNSD_35transform_pair_of_input_iterators_tIbNS6_6detail15normal_iteratorINS6_10device_ptrIKtEEEESL_NS6_8equal_toItEEEENSG_9not_fun_tINSD_8identityEEEEENSD_19counting_iterator_tIlEES8_S8_S8_S8_S8_S8_S8_S8_EEEEPS9_S9_NSD_9__find_if7functorIS9_EEEE10hipError_tPvRmT1_T2_T3_mT4_P12ihipStream_tbEUlT_E1_NS1_11comp_targetILNS1_3genE9ELNS1_11target_archE1100ELNS1_3gpuE3ELNS1_3repE0EEENS1_30default_config_static_selectorELNS0_4arch9wavefront6targetE0EEEvS14_,@function
_ZN7rocprim17ROCPRIM_400000_NS6detail17trampoline_kernelINS0_14default_configENS1_22reduce_config_selectorIN6thrust23THRUST_200600_302600_NS5tupleIblNS6_9null_typeES8_S8_S8_S8_S8_S8_S8_EEEEZNS1_11reduce_implILb1ES3_NS6_12zip_iteratorINS7_INS6_11hip_rocprim26transform_input_iterator_tIbNSD_35transform_pair_of_input_iterators_tIbNS6_6detail15normal_iteratorINS6_10device_ptrIKtEEEESL_NS6_8equal_toItEEEENSG_9not_fun_tINSD_8identityEEEEENSD_19counting_iterator_tIlEES8_S8_S8_S8_S8_S8_S8_S8_EEEEPS9_S9_NSD_9__find_if7functorIS9_EEEE10hipError_tPvRmT1_T2_T3_mT4_P12ihipStream_tbEUlT_E1_NS1_11comp_targetILNS1_3genE9ELNS1_11target_archE1100ELNS1_3gpuE3ELNS1_3repE0EEENS1_30default_config_static_selectorELNS0_4arch9wavefront6targetE0EEEvS14_: ; @_ZN7rocprim17ROCPRIM_400000_NS6detail17trampoline_kernelINS0_14default_configENS1_22reduce_config_selectorIN6thrust23THRUST_200600_302600_NS5tupleIblNS6_9null_typeES8_S8_S8_S8_S8_S8_S8_EEEEZNS1_11reduce_implILb1ES3_NS6_12zip_iteratorINS7_INS6_11hip_rocprim26transform_input_iterator_tIbNSD_35transform_pair_of_input_iterators_tIbNS6_6detail15normal_iteratorINS6_10device_ptrIKtEEEESL_NS6_8equal_toItEEEENSG_9not_fun_tINSD_8identityEEEEENSD_19counting_iterator_tIlEES8_S8_S8_S8_S8_S8_S8_S8_EEEEPS9_S9_NSD_9__find_if7functorIS9_EEEE10hipError_tPvRmT1_T2_T3_mT4_P12ihipStream_tbEUlT_E1_NS1_11comp_targetILNS1_3genE9ELNS1_11target_archE1100ELNS1_3gpuE3ELNS1_3repE0EEENS1_30default_config_static_selectorELNS0_4arch9wavefront6targetE0EEEvS14_
; %bb.0:
	s_mov_b32 s10, s15
	s_clause 0x4
	s_load_b32 s25, s[0:1], 0x4
	s_load_b128 s[16:19], s[0:1], 0x8
	s_load_b128 s[12:15], s[0:1], 0x28
	s_load_b32 s24, s[0:1], 0x40
	s_load_b64 s[20:21], s[0:1], 0x48
	s_waitcnt lgkmcnt(0)
	s_cmp_lt_i32 s25, 4
	s_cbranch_scc1 .LBB517_19
; %bb.1:
	s_cmp_gt_i32 s25, 7
	s_cbranch_scc0 .LBB517_20
; %bb.2:
	s_cmp_eq_u32 s25, 8
	s_mov_b32 s27, 0
	s_cbranch_scc0 .LBB517_21
; %bb.3:
	s_mov_b32 s11, 0
	s_lshl_b32 s6, s10, 11
	s_mov_b32 s7, s11
	s_lshr_b64 s[4:5], s[14:15], 11
	s_lshl_b64 s[2:3], s[6:7], 1
	s_delay_alu instid0(SALU_CYCLE_1)
	s_add_u32 s8, s16, s2
	s_addc_u32 s9, s17, s3
	s_add_u32 s22, s18, s2
	s_addc_u32 s23, s19, s3
	;; [unrolled: 2-line block ×3, first 2 shown]
	s_cmp_lg_u64 s[4:5], s[10:11]
	s_cbranch_scc0 .LBB517_40
; %bb.4:
	v_dual_mov_b32 v18, 0x300 :: v_dual_lshlrev_b32 v1, 1, v0
	v_mov_b32_e32 v17, 0x100
	v_mov_b32_e32 v19, 0x500
	s_clause 0xf
	global_load_u16 v2, v1, s[22:23]
	global_load_u16 v3, v1, s[22:23] offset:512
	global_load_u16 v4, v1, s[22:23] offset:1024
	global_load_u16 v5, v1, s[8:9]
	global_load_u16 v6, v1, s[8:9] offset:512
	global_load_u16 v7, v1, s[8:9] offset:1024
	;; [unrolled: 1-line block ×12, first 2 shown]
	s_waitcnt vmcnt(12)
	v_cmp_ne_u16_e64 s2, v5, v2
	s_waitcnt vmcnt(11)
	v_cmp_ne_u16_e32 vcc_lo, v6, v3
	s_waitcnt vmcnt(10)
	v_cmp_ne_u16_e64 s3, v7, v4
	s_waitcnt vmcnt(7)
	v_cmp_ne_u16_e64 s4, v9, v10
	v_cndmask_b32_e32 v3, 0x200, v17, vcc_lo
	s_waitcnt vmcnt(6)
	v_cmp_ne_u16_e64 s5, v8, v11
	s_delay_alu instid0(VALU_DEP_2) | instskip(NEXT) | instid1(VALU_DEP_2)
	v_cndmask_b32_e64 v3, v3, 0, s2
	v_cndmask_b32_e64 v2, 0x400, v18, s5
	s_or_b32 s2, s2, vcc_lo
	s_waitcnt vmcnt(4)
	v_cmp_ne_u16_e32 vcc_lo, v12, v13
	s_or_b32 s2, s2, s3
	s_delay_alu instid0(SALU_CYCLE_1)
	v_cndmask_b32_e64 v2, v2, v3, s2
	s_or_b32 s3, s2, s5
	v_cndmask_b32_e32 v4, 0x600, v19, vcc_lo
	s_waitcnt vmcnt(2)
	v_cmp_ne_u16_e64 s2, v15, v14
	s_or_b32 s3, s3, s4
	s_waitcnt vmcnt(0)
	v_cmp_ne_u16_e64 s4, v16, v1
	v_cndmask_b32_e64 v2, v4, v2, s3
	s_or_b32 s3, s3, vcc_lo
	s_delay_alu instid0(SALU_CYCLE_1) | instskip(NEXT) | instid1(VALU_DEP_1)
	s_or_b32 vcc_lo, s3, s2
	v_cndmask_b32_e32 v1, 0x700, v2, vcc_lo
	s_or_b32 s3, vcc_lo, s4
	v_add_co_u32 v2, s2, s26, v0
	v_cndmask_b32_e64 v5, 0, 1, s3
	v_add_co_ci_u32_e64 v3, null, s28, 0, s2
	s_delay_alu instid0(VALU_DEP_3) | instskip(NEXT) | instid1(VALU_DEP_3)
	v_add_co_u32 v1, vcc_lo, v2, v1
	v_mov_b32_dpp v6, v5 quad_perm:[1,0,3,2] row_mask:0xf bank_mask:0xf
	s_delay_alu instid0(VALU_DEP_3) | instskip(NEXT) | instid1(VALU_DEP_3)
	v_add_co_ci_u32_e32 v2, vcc_lo, 0, v3, vcc_lo
	v_mov_b32_dpp v3, v1 quad_perm:[1,0,3,2] row_mask:0xf bank_mask:0xf
	s_mov_b32 s4, exec_lo
	s_delay_alu instid0(VALU_DEP_3) | instskip(NEXT) | instid1(VALU_DEP_3)
	v_and_b32_e32 v7, 1, v6
	v_mov_b32_dpp v4, v2 quad_perm:[1,0,3,2] row_mask:0xf bank_mask:0xf
	s_delay_alu instid0(VALU_DEP_2)
	v_cmpx_eq_u32_e32 1, v7
; %bb.5:
	v_cndmask_b32_e64 v5, v6, 1, s3
	s_delay_alu instid0(VALU_DEP_3) | instskip(NEXT) | instid1(VALU_DEP_2)
	v_cmp_lt_i64_e32 vcc_lo, v[1:2], v[3:4]
	v_and_b32_e32 v6, 1, v5
	v_and_b32_e32 v5, 0xff, v5
	s_and_b32 vcc_lo, s3, vcc_lo
	s_and_not1_b32 s3, s3, exec_lo
	v_dual_cndmask_b32 v2, v4, v2 :: v_dual_cndmask_b32 v1, v3, v1
	v_cmp_eq_u32_e64 s2, 1, v6
	s_delay_alu instid0(VALU_DEP_1) | instskip(NEXT) | instid1(SALU_CYCLE_1)
	s_and_b32 s2, s2, exec_lo
	s_or_b32 s3, s3, s2
; %bb.6:
	s_or_b32 exec_lo, exec_lo, s4
	v_mov_b32_dpp v6, v5 quad_perm:[2,3,0,1] row_mask:0xf bank_mask:0xf
	v_mov_b32_dpp v3, v1 quad_perm:[2,3,0,1] row_mask:0xf bank_mask:0xf
	;; [unrolled: 1-line block ×3, first 2 shown]
	s_mov_b32 s4, exec_lo
	s_delay_alu instid0(VALU_DEP_3) | instskip(NEXT) | instid1(VALU_DEP_1)
	v_and_b32_e32 v7, 1, v6
	v_cmpx_eq_u32_e32 1, v7
; %bb.7:
	v_cndmask_b32_e64 v5, v6, 1, s3
	v_cmp_lt_i64_e32 vcc_lo, v[1:2], v[3:4]
	s_delay_alu instid0(VALU_DEP_2)
	v_and_b32_e32 v6, 1, v5
	v_and_b32_e32 v5, 0xff, v5
	s_and_b32 vcc_lo, s3, vcc_lo
	s_and_not1_b32 s3, s3, exec_lo
	v_dual_cndmask_b32 v2, v4, v2 :: v_dual_cndmask_b32 v1, v3, v1
	v_cmp_eq_u32_e64 s2, 1, v6
	s_delay_alu instid0(VALU_DEP_1) | instskip(NEXT) | instid1(SALU_CYCLE_1)
	s_and_b32 s2, s2, exec_lo
	s_or_b32 s3, s3, s2
; %bb.8:
	s_or_b32 exec_lo, exec_lo, s4
	v_mov_b32_dpp v6, v5 row_ror:4 row_mask:0xf bank_mask:0xf
	v_mov_b32_dpp v3, v1 row_ror:4 row_mask:0xf bank_mask:0xf
	;; [unrolled: 1-line block ×3, first 2 shown]
	s_mov_b32 s4, exec_lo
	s_delay_alu instid0(VALU_DEP_3) | instskip(NEXT) | instid1(VALU_DEP_1)
	v_and_b32_e32 v7, 1, v6
	v_cmpx_eq_u32_e32 1, v7
; %bb.9:
	v_cndmask_b32_e64 v5, v6, 1, s3
	v_cmp_lt_i64_e32 vcc_lo, v[1:2], v[3:4]
	s_delay_alu instid0(VALU_DEP_2)
	v_and_b32_e32 v6, 1, v5
	v_and_b32_e32 v5, 0xff, v5
	s_and_b32 vcc_lo, s3, vcc_lo
	s_and_not1_b32 s3, s3, exec_lo
	v_dual_cndmask_b32 v2, v4, v2 :: v_dual_cndmask_b32 v1, v3, v1
	v_cmp_eq_u32_e64 s2, 1, v6
	s_delay_alu instid0(VALU_DEP_1) | instskip(NEXT) | instid1(SALU_CYCLE_1)
	s_and_b32 s2, s2, exec_lo
	s_or_b32 s3, s3, s2
; %bb.10:
	s_or_b32 exec_lo, exec_lo, s4
	v_mov_b32_dpp v6, v5 row_ror:8 row_mask:0xf bank_mask:0xf
	v_mov_b32_dpp v3, v1 row_ror:8 row_mask:0xf bank_mask:0xf
	;; [unrolled: 1-line block ×3, first 2 shown]
	s_mov_b32 s4, exec_lo
	s_delay_alu instid0(VALU_DEP_3) | instskip(NEXT) | instid1(VALU_DEP_1)
	v_and_b32_e32 v7, 1, v6
	v_cmpx_eq_u32_e32 1, v7
; %bb.11:
	v_cndmask_b32_e64 v5, v6, 1, s3
	v_cmp_lt_i64_e32 vcc_lo, v[1:2], v[3:4]
	s_delay_alu instid0(VALU_DEP_2)
	v_and_b32_e32 v6, 1, v5
	v_and_b32_e32 v5, 0xff, v5
	s_and_b32 vcc_lo, s3, vcc_lo
	s_and_not1_b32 s3, s3, exec_lo
	v_dual_cndmask_b32 v2, v4, v2 :: v_dual_cndmask_b32 v1, v3, v1
	v_cmp_eq_u32_e64 s2, 1, v6
	s_delay_alu instid0(VALU_DEP_1) | instskip(NEXT) | instid1(SALU_CYCLE_1)
	s_and_b32 s2, s2, exec_lo
	s_or_b32 s3, s3, s2
; %bb.12:
	s_or_b32 exec_lo, exec_lo, s4
	ds_swizzle_b32 v6, v5 offset:swizzle(BROADCAST,32,15)
	ds_swizzle_b32 v3, v1 offset:swizzle(BROADCAST,32,15)
	;; [unrolled: 1-line block ×3, first 2 shown]
	s_mov_b32 s2, exec_lo
	s_waitcnt lgkmcnt(2)
	v_and_b32_e32 v7, 1, v6
	s_delay_alu instid0(VALU_DEP_1)
	v_cmpx_eq_u32_e32 1, v7
	s_cbranch_execz .LBB517_14
; %bb.13:
	s_waitcnt lgkmcnt(0)
	v_cmp_lt_i64_e32 vcc_lo, v[1:2], v[3:4]
	v_and_b32_e32 v5, 0xff, v6
	s_delay_alu instid0(VALU_DEP_1)
	v_cndmask_b32_e64 v5, v5, 1, s3
	s_and_b32 vcc_lo, s3, vcc_lo
	v_dual_cndmask_b32 v1, v3, v1 :: v_dual_cndmask_b32 v2, v4, v2
.LBB517_14:
	s_or_b32 exec_lo, exec_lo, s2
	s_waitcnt lgkmcnt(1)
	v_mov_b32_e32 v3, 0
	s_mov_b32 s2, exec_lo
	ds_bpermute_b32 v6, v3, v5 offset:124
	ds_bpermute_b32 v1, v3, v1 offset:124
	;; [unrolled: 1-line block ×3, first 2 shown]
	v_mbcnt_lo_u32_b32 v3, -1, 0
	s_delay_alu instid0(VALU_DEP_1)
	v_cmpx_eq_u32_e32 0, v3
	s_cbranch_execz .LBB517_16
; %bb.15:
	s_waitcnt lgkmcnt(3)
	v_lshrrev_b32_e32 v4, 1, v0
	s_delay_alu instid0(VALU_DEP_1)
	v_and_b32_e32 v4, 0x70, v4
	s_waitcnt lgkmcnt(2)
	ds_store_b8 v4, v6 offset:384
	s_waitcnt lgkmcnt(1)
	ds_store_b64 v4, v[1:2] offset:392
.LBB517_16:
	s_or_b32 exec_lo, exec_lo, s2
	s_delay_alu instid0(SALU_CYCLE_1)
	s_mov_b32 s4, exec_lo
	s_waitcnt lgkmcnt(0)
	s_barrier
	buffer_gl0_inv
	v_cmpx_gt_u32_e32 32, v0
	s_cbranch_execz .LBB517_18
; %bb.17:
	v_and_b32_e32 v6, 7, v3
	s_delay_alu instid0(VALU_DEP_1)
	v_lshlrev_b32_e32 v1, 4, v6
	v_cmp_ne_u32_e32 vcc_lo, 7, v6
	ds_load_u8 v7, v1 offset:384
	ds_load_b64 v[1:2], v1 offset:392
	v_add_co_ci_u32_e32 v4, vcc_lo, 0, v3, vcc_lo
	v_cmp_gt_u32_e32 vcc_lo, 6, v6
	s_delay_alu instid0(VALU_DEP_2)
	v_lshlrev_b32_e32 v5, 2, v4
	v_cndmask_b32_e64 v10, 0, 1, vcc_lo
	s_waitcnt lgkmcnt(1)
	v_and_b32_e32 v4, 0xff, v7
	v_and_b32_e32 v11, 1, v7
	ds_bpermute_b32 v8, v5, v4
	s_waitcnt lgkmcnt(1)
	ds_bpermute_b32 v4, v5, v1
	ds_bpermute_b32 v5, v5, v2
	v_cmp_eq_u32_e64 s3, 1, v11
	s_waitcnt lgkmcnt(2)
	v_and_b32_e32 v9, 1, v8
	s_waitcnt lgkmcnt(0)
	v_cmp_lt_i64_e64 s2, v[4:5], v[1:2]
	s_delay_alu instid0(VALU_DEP_2) | instskip(SKIP_2) | instid1(VALU_DEP_4)
	v_cmp_eq_u32_e32 vcc_lo, 1, v9
	v_lshlrev_b32_e32 v9, 1, v10
	v_cndmask_b32_e64 v7, v7, 1, vcc_lo
	s_and_b32 vcc_lo, vcc_lo, s2
	v_dual_cndmask_b32 v1, v1, v4 :: v_dual_cndmask_b32 v2, v2, v5
	s_delay_alu instid0(VALU_DEP_2) | instskip(SKIP_2) | instid1(VALU_DEP_4)
	v_cndmask_b32_e64 v7, v8, v7, s3
	v_add_lshl_u32 v8, v9, v3, 2
	v_cmp_gt_u32_e32 vcc_lo, 4, v6
	v_cndmask_b32_e64 v1, v4, v1, s3
	v_cndmask_b32_e64 v2, v5, v2, s3
	v_and_b32_e32 v9, 0xff, v7
	v_and_b32_e32 v10, 1, v7
	v_cndmask_b32_e64 v6, 0, 1, vcc_lo
	ds_bpermute_b32 v4, v8, v1
	ds_bpermute_b32 v5, v8, v2
	ds_bpermute_b32 v9, v8, v9
	v_cmp_eq_u32_e64 s3, 1, v10
	s_waitcnt lgkmcnt(1)
	v_cmp_lt_i64_e64 s2, v[4:5], v[1:2]
	s_waitcnt lgkmcnt(0)
	v_and_b32_e32 v8, 1, v9
	s_delay_alu instid0(VALU_DEP_1) | instskip(SKIP_1) | instid1(VALU_DEP_4)
	v_cmp_eq_u32_e32 vcc_lo, 1, v8
	v_cndmask_b32_e64 v7, v7, 1, vcc_lo
	s_and_b32 vcc_lo, vcc_lo, s2
	v_dual_cndmask_b32 v1, v1, v4 :: v_dual_cndmask_b32 v2, v2, v5
	s_delay_alu instid0(VALU_DEP_2) | instskip(NEXT) | instid1(VALU_DEP_2)
	v_cndmask_b32_e64 v7, v9, v7, s3
	v_cndmask_b32_e64 v1, v4, v1, s3
	v_lshlrev_b32_e32 v6, 2, v6
	s_delay_alu instid0(VALU_DEP_4) | instskip(NEXT) | instid1(VALU_DEP_2)
	v_cndmask_b32_e64 v2, v5, v2, s3
	v_add_lshl_u32 v6, v6, v3, 2
	v_and_b32_e32 v3, 0xff, v7
	ds_bpermute_b32 v4, v6, v2
	ds_bpermute_b32 v5, v6, v3
	;; [unrolled: 1-line block ×3, first 2 shown]
	s_waitcnt lgkmcnt(1)
	v_and_b32_e32 v6, 1, v5
	s_waitcnt lgkmcnt(0)
	v_cmp_lt_i64_e32 vcc_lo, v[3:4], v[1:2]
	s_delay_alu instid0(VALU_DEP_2) | instskip(SKIP_1) | instid1(VALU_DEP_2)
	v_cmp_eq_u32_e64 s2, 1, v6
	v_and_b32_e32 v6, 1, v7
	v_cndmask_b32_e64 v7, v7, 1, s2
	s_and_b32 vcc_lo, s2, vcc_lo
	s_delay_alu instid0(VALU_DEP_2) | instskip(SKIP_1) | instid1(VALU_DEP_2)
	v_cmp_eq_u32_e64 s2, 1, v6
	v_dual_cndmask_b32 v1, v1, v3 :: v_dual_cndmask_b32 v2, v2, v4
	v_cndmask_b32_e64 v5, v5, v7, s2
	s_delay_alu instid0(VALU_DEP_2) | instskip(NEXT) | instid1(VALU_DEP_3)
	v_cndmask_b32_e64 v1, v3, v1, s2
	v_cndmask_b32_e64 v2, v4, v2, s2
	s_delay_alu instid0(VALU_DEP_3)
	v_and_b32_e32 v6, 0xff, v5
.LBB517_18:
	s_or_b32 exec_lo, exec_lo, s4
	s_branch .LBB517_85
.LBB517_19:
	s_mov_b32 s26, 0
                                        ; implicit-def: $vgpr3_vgpr4
                                        ; implicit-def: $vgpr5
	s_cbranch_execnz .LBB517_129
	s_branch .LBB517_200
.LBB517_20:
	s_mov_b32 s27, -1
.LBB517_21:
	s_mov_b32 s26, 0
                                        ; implicit-def: $vgpr3_vgpr4
                                        ; implicit-def: $vgpr5
	s_and_b32 vcc_lo, exec_lo, s27
	s_cbranch_vccz .LBB517_90
.LBB517_22:
	s_cmp_eq_u32 s25, 4
	s_cbranch_scc0 .LBB517_39
; %bb.23:
	s_mov_b32 s11, 0
	s_lshl_b32 s22, s10, 10
	s_mov_b32 s23, s11
	s_lshr_b64 s[28:29], s[14:15], 10
	s_lshl_b64 s[2:3], s[22:23], 1
	s_delay_alu instid0(SALU_CYCLE_1)
	s_add_u32 s6, s16, s2
	s_addc_u32 s7, s17, s3
	s_add_u32 s8, s18, s2
	s_addc_u32 s9, s19, s3
	;; [unrolled: 2-line block ×3, first 2 shown]
	s_cmp_lg_u64 s[28:29], s[10:11]
	s_cbranch_scc0 .LBB517_91
; %bb.24:
	v_mov_b32_e32 v9, 0x100
	v_lshlrev_b32_e32 v1, 1, v0
	global_load_u16 v2, v1, s[8:9] offset:512
	s_waitcnt lgkmcnt(1)
	global_load_u16 v3, v1, s[6:7] offset:512
	s_waitcnt lgkmcnt(0)
	s_clause 0x5
	global_load_u16 v4, v1, s[6:7]
	global_load_u16 v5, v1, s[8:9]
	global_load_u16 v6, v1, s[6:7] offset:1024
	global_load_u16 v7, v1, s[8:9] offset:1024
	;; [unrolled: 1-line block ×4, first 2 shown]
	s_waitcnt vmcnt(6)
	v_cmp_ne_u16_e32 vcc_lo, v3, v2
	s_waitcnt vmcnt(4)
	v_cmp_ne_u16_e64 s2, v4, v5
	s_waitcnt vmcnt(2)
	v_cmp_ne_u16_e64 s3, v6, v7
	v_cndmask_b32_e32 v2, 0x200, v9, vcc_lo
	s_waitcnt vmcnt(0)
	v_cmp_ne_u16_e64 s4, v1, v8
	s_delay_alu instid0(VALU_DEP_2) | instskip(SKIP_1) | instid1(SALU_CYCLE_1)
	v_cndmask_b32_e64 v2, v2, 0, s2
	s_or_b32 s2, s2, vcc_lo
	s_or_b32 vcc_lo, s2, s3
	s_delay_alu instid0(VALU_DEP_1) | instskip(SKIP_4) | instid1(VALU_DEP_3)
	v_cndmask_b32_e32 v1, 0x300, v2, vcc_lo
	s_or_b32 s3, vcc_lo, s4
	v_add_co_u32 v2, s2, s5, v0
	v_cndmask_b32_e64 v5, 0, 1, s3
	v_add_co_ci_u32_e64 v3, null, s23, 0, s2
	v_add_co_u32 v1, vcc_lo, v2, v1
	s_delay_alu instid0(VALU_DEP_3) | instskip(NEXT) | instid1(VALU_DEP_3)
	v_mov_b32_dpp v6, v5 quad_perm:[1,0,3,2] row_mask:0xf bank_mask:0xf
	v_add_co_ci_u32_e32 v2, vcc_lo, 0, v3, vcc_lo
	s_delay_alu instid0(VALU_DEP_3) | instskip(SKIP_1) | instid1(VALU_DEP_3)
	v_mov_b32_dpp v3, v1 quad_perm:[1,0,3,2] row_mask:0xf bank_mask:0xf
	s_mov_b32 s4, exec_lo
	v_and_b32_e32 v7, 1, v6
	s_delay_alu instid0(VALU_DEP_3) | instskip(NEXT) | instid1(VALU_DEP_2)
	v_mov_b32_dpp v4, v2 quad_perm:[1,0,3,2] row_mask:0xf bank_mask:0xf
	v_cmpx_eq_u32_e32 1, v7
; %bb.25:
	v_cndmask_b32_e64 v5, v6, 1, s3
	s_delay_alu instid0(VALU_DEP_3) | instskip(NEXT) | instid1(VALU_DEP_2)
	v_cmp_lt_i64_e32 vcc_lo, v[1:2], v[3:4]
	v_and_b32_e32 v6, 1, v5
	v_and_b32_e32 v5, 0xff, v5
	s_and_b32 vcc_lo, s3, vcc_lo
	s_and_not1_b32 s3, s3, exec_lo
	v_dual_cndmask_b32 v2, v4, v2 :: v_dual_cndmask_b32 v1, v3, v1
	v_cmp_eq_u32_e64 s2, 1, v6
	s_delay_alu instid0(VALU_DEP_1) | instskip(NEXT) | instid1(SALU_CYCLE_1)
	s_and_b32 s2, s2, exec_lo
	s_or_b32 s3, s3, s2
; %bb.26:
	s_or_b32 exec_lo, exec_lo, s4
	v_mov_b32_dpp v6, v5 quad_perm:[2,3,0,1] row_mask:0xf bank_mask:0xf
	v_mov_b32_dpp v3, v1 quad_perm:[2,3,0,1] row_mask:0xf bank_mask:0xf
	;; [unrolled: 1-line block ×3, first 2 shown]
	s_mov_b32 s4, exec_lo
	s_delay_alu instid0(VALU_DEP_3) | instskip(NEXT) | instid1(VALU_DEP_1)
	v_and_b32_e32 v7, 1, v6
	v_cmpx_eq_u32_e32 1, v7
; %bb.27:
	v_cndmask_b32_e64 v5, v6, 1, s3
	v_cmp_lt_i64_e32 vcc_lo, v[1:2], v[3:4]
	s_delay_alu instid0(VALU_DEP_2)
	v_and_b32_e32 v6, 1, v5
	v_and_b32_e32 v5, 0xff, v5
	s_and_b32 vcc_lo, s3, vcc_lo
	s_and_not1_b32 s3, s3, exec_lo
	v_dual_cndmask_b32 v2, v4, v2 :: v_dual_cndmask_b32 v1, v3, v1
	v_cmp_eq_u32_e64 s2, 1, v6
	s_delay_alu instid0(VALU_DEP_1) | instskip(NEXT) | instid1(SALU_CYCLE_1)
	s_and_b32 s2, s2, exec_lo
	s_or_b32 s3, s3, s2
; %bb.28:
	s_or_b32 exec_lo, exec_lo, s4
	v_mov_b32_dpp v6, v5 row_ror:4 row_mask:0xf bank_mask:0xf
	v_mov_b32_dpp v3, v1 row_ror:4 row_mask:0xf bank_mask:0xf
	;; [unrolled: 1-line block ×3, first 2 shown]
	s_mov_b32 s4, exec_lo
	s_delay_alu instid0(VALU_DEP_3) | instskip(NEXT) | instid1(VALU_DEP_1)
	v_and_b32_e32 v7, 1, v6
	v_cmpx_eq_u32_e32 1, v7
; %bb.29:
	v_cndmask_b32_e64 v5, v6, 1, s3
	v_cmp_lt_i64_e32 vcc_lo, v[1:2], v[3:4]
	s_delay_alu instid0(VALU_DEP_2)
	v_and_b32_e32 v6, 1, v5
	v_and_b32_e32 v5, 0xff, v5
	s_and_b32 vcc_lo, s3, vcc_lo
	s_and_not1_b32 s3, s3, exec_lo
	v_dual_cndmask_b32 v2, v4, v2 :: v_dual_cndmask_b32 v1, v3, v1
	v_cmp_eq_u32_e64 s2, 1, v6
	s_delay_alu instid0(VALU_DEP_1) | instskip(NEXT) | instid1(SALU_CYCLE_1)
	s_and_b32 s2, s2, exec_lo
	s_or_b32 s3, s3, s2
; %bb.30:
	s_or_b32 exec_lo, exec_lo, s4
	v_mov_b32_dpp v6, v5 row_ror:8 row_mask:0xf bank_mask:0xf
	v_mov_b32_dpp v3, v1 row_ror:8 row_mask:0xf bank_mask:0xf
	;; [unrolled: 1-line block ×3, first 2 shown]
	s_mov_b32 s4, exec_lo
	s_delay_alu instid0(VALU_DEP_3) | instskip(NEXT) | instid1(VALU_DEP_1)
	v_and_b32_e32 v7, 1, v6
	v_cmpx_eq_u32_e32 1, v7
; %bb.31:
	v_cndmask_b32_e64 v5, v6, 1, s3
	v_cmp_lt_i64_e32 vcc_lo, v[1:2], v[3:4]
	s_delay_alu instid0(VALU_DEP_2)
	v_and_b32_e32 v6, 1, v5
	v_and_b32_e32 v5, 0xff, v5
	s_and_b32 vcc_lo, s3, vcc_lo
	s_and_not1_b32 s3, s3, exec_lo
	v_dual_cndmask_b32 v2, v4, v2 :: v_dual_cndmask_b32 v1, v3, v1
	v_cmp_eq_u32_e64 s2, 1, v6
	s_delay_alu instid0(VALU_DEP_1) | instskip(NEXT) | instid1(SALU_CYCLE_1)
	s_and_b32 s2, s2, exec_lo
	s_or_b32 s3, s3, s2
; %bb.32:
	s_or_b32 exec_lo, exec_lo, s4
	ds_swizzle_b32 v6, v5 offset:swizzle(BROADCAST,32,15)
	ds_swizzle_b32 v3, v1 offset:swizzle(BROADCAST,32,15)
	;; [unrolled: 1-line block ×3, first 2 shown]
	s_mov_b32 s2, exec_lo
	s_waitcnt lgkmcnt(2)
	v_and_b32_e32 v7, 1, v6
	s_delay_alu instid0(VALU_DEP_1)
	v_cmpx_eq_u32_e32 1, v7
	s_cbranch_execz .LBB517_34
; %bb.33:
	s_waitcnt lgkmcnt(0)
	v_cmp_lt_i64_e32 vcc_lo, v[1:2], v[3:4]
	v_and_b32_e32 v5, 0xff, v6
	s_delay_alu instid0(VALU_DEP_1)
	v_cndmask_b32_e64 v5, v5, 1, s3
	s_and_b32 vcc_lo, s3, vcc_lo
	v_dual_cndmask_b32 v1, v3, v1 :: v_dual_cndmask_b32 v2, v4, v2
.LBB517_34:
	s_or_b32 exec_lo, exec_lo, s2
	s_waitcnt lgkmcnt(1)
	v_mov_b32_e32 v3, 0
	s_mov_b32 s2, exec_lo
	ds_bpermute_b32 v6, v3, v5 offset:124
	ds_bpermute_b32 v1, v3, v1 offset:124
	;; [unrolled: 1-line block ×3, first 2 shown]
	v_mbcnt_lo_u32_b32 v3, -1, 0
	s_delay_alu instid0(VALU_DEP_1)
	v_cmpx_eq_u32_e32 0, v3
	s_cbranch_execz .LBB517_36
; %bb.35:
	s_waitcnt lgkmcnt(3)
	v_lshrrev_b32_e32 v4, 1, v0
	s_delay_alu instid0(VALU_DEP_1)
	v_and_b32_e32 v4, 0x70, v4
	s_waitcnt lgkmcnt(2)
	ds_store_b8 v4, v6 offset:256
	s_waitcnt lgkmcnt(1)
	ds_store_b64 v4, v[1:2] offset:264
.LBB517_36:
	s_or_b32 exec_lo, exec_lo, s2
	s_delay_alu instid0(SALU_CYCLE_1)
	s_mov_b32 s4, exec_lo
	s_waitcnt lgkmcnt(0)
	s_barrier
	buffer_gl0_inv
	v_cmpx_gt_u32_e32 32, v0
	s_cbranch_execz .LBB517_38
; %bb.37:
	v_and_b32_e32 v6, 7, v3
	s_delay_alu instid0(VALU_DEP_1)
	v_lshlrev_b32_e32 v1, 4, v6
	v_cmp_ne_u32_e32 vcc_lo, 7, v6
	ds_load_u8 v7, v1 offset:256
	ds_load_b64 v[1:2], v1 offset:264
	v_add_co_ci_u32_e32 v4, vcc_lo, 0, v3, vcc_lo
	v_cmp_gt_u32_e32 vcc_lo, 6, v6
	s_delay_alu instid0(VALU_DEP_2)
	v_lshlrev_b32_e32 v5, 2, v4
	v_cndmask_b32_e64 v10, 0, 1, vcc_lo
	s_waitcnt lgkmcnt(1)
	v_and_b32_e32 v4, 0xff, v7
	v_and_b32_e32 v11, 1, v7
	ds_bpermute_b32 v8, v5, v4
	s_waitcnt lgkmcnt(1)
	ds_bpermute_b32 v4, v5, v1
	ds_bpermute_b32 v5, v5, v2
	v_cmp_eq_u32_e64 s3, 1, v11
	s_waitcnt lgkmcnt(2)
	v_and_b32_e32 v9, 1, v8
	s_waitcnt lgkmcnt(0)
	v_cmp_lt_i64_e64 s2, v[4:5], v[1:2]
	s_delay_alu instid0(VALU_DEP_2) | instskip(SKIP_2) | instid1(VALU_DEP_4)
	v_cmp_eq_u32_e32 vcc_lo, 1, v9
	v_lshlrev_b32_e32 v9, 1, v10
	v_cndmask_b32_e64 v7, v7, 1, vcc_lo
	s_and_b32 vcc_lo, vcc_lo, s2
	v_dual_cndmask_b32 v1, v1, v4 :: v_dual_cndmask_b32 v2, v2, v5
	s_delay_alu instid0(VALU_DEP_2) | instskip(SKIP_2) | instid1(VALU_DEP_4)
	v_cndmask_b32_e64 v7, v8, v7, s3
	v_add_lshl_u32 v8, v9, v3, 2
	v_cmp_gt_u32_e32 vcc_lo, 4, v6
	v_cndmask_b32_e64 v1, v4, v1, s3
	v_cndmask_b32_e64 v2, v5, v2, s3
	v_and_b32_e32 v9, 0xff, v7
	v_and_b32_e32 v10, 1, v7
	v_cndmask_b32_e64 v6, 0, 1, vcc_lo
	ds_bpermute_b32 v4, v8, v1
	ds_bpermute_b32 v5, v8, v2
	;; [unrolled: 1-line block ×3, first 2 shown]
	v_cmp_eq_u32_e64 s3, 1, v10
	s_waitcnt lgkmcnt(1)
	v_cmp_lt_i64_e64 s2, v[4:5], v[1:2]
	s_waitcnt lgkmcnt(0)
	v_and_b32_e32 v8, 1, v9
	s_delay_alu instid0(VALU_DEP_1) | instskip(SKIP_1) | instid1(VALU_DEP_4)
	v_cmp_eq_u32_e32 vcc_lo, 1, v8
	v_cndmask_b32_e64 v7, v7, 1, vcc_lo
	s_and_b32 vcc_lo, vcc_lo, s2
	v_dual_cndmask_b32 v1, v1, v4 :: v_dual_cndmask_b32 v2, v2, v5
	s_delay_alu instid0(VALU_DEP_2) | instskip(NEXT) | instid1(VALU_DEP_2)
	v_cndmask_b32_e64 v7, v9, v7, s3
	v_cndmask_b32_e64 v1, v4, v1, s3
	v_lshlrev_b32_e32 v6, 2, v6
	s_delay_alu instid0(VALU_DEP_4) | instskip(NEXT) | instid1(VALU_DEP_2)
	v_cndmask_b32_e64 v2, v5, v2, s3
	v_add_lshl_u32 v6, v6, v3, 2
	v_and_b32_e32 v3, 0xff, v7
	ds_bpermute_b32 v4, v6, v2
	ds_bpermute_b32 v5, v6, v3
	;; [unrolled: 1-line block ×3, first 2 shown]
	s_waitcnt lgkmcnt(1)
	v_and_b32_e32 v6, 1, v5
	s_waitcnt lgkmcnt(0)
	v_cmp_lt_i64_e32 vcc_lo, v[3:4], v[1:2]
	s_delay_alu instid0(VALU_DEP_2) | instskip(SKIP_1) | instid1(VALU_DEP_2)
	v_cmp_eq_u32_e64 s2, 1, v6
	v_and_b32_e32 v6, 1, v7
	v_cndmask_b32_e64 v7, v7, 1, s2
	s_and_b32 vcc_lo, s2, vcc_lo
	s_delay_alu instid0(VALU_DEP_2) | instskip(SKIP_1) | instid1(VALU_DEP_2)
	v_cmp_eq_u32_e64 s2, 1, v6
	v_dual_cndmask_b32 v1, v1, v3 :: v_dual_cndmask_b32 v2, v2, v4
	v_cndmask_b32_e64 v5, v5, v7, s2
	s_delay_alu instid0(VALU_DEP_2) | instskip(NEXT) | instid1(VALU_DEP_3)
	v_cndmask_b32_e64 v1, v3, v1, s2
	v_cndmask_b32_e64 v2, v4, v2, s2
	s_delay_alu instid0(VALU_DEP_3)
	v_and_b32_e32 v6, 0xff, v5
.LBB517_38:
	s_or_b32 exec_lo, exec_lo, s4
	s_branch .LBB517_124
.LBB517_39:
                                        ; implicit-def: $vgpr3_vgpr4
                                        ; implicit-def: $vgpr5
	s_branch .LBB517_200
.LBB517_40:
                                        ; implicit-def: $vgpr1_vgpr2
                                        ; implicit-def: $vgpr6
	s_cbranch_execz .LBB517_85
; %bb.41:
	v_mov_b32_e32 v9, 0
	v_dual_mov_b32 v10, 0 :: v_dual_mov_b32 v21, 0
	s_delay_alu instid0(VALU_DEP_2) | instskip(SKIP_2) | instid1(VALU_DEP_3)
	v_mov_b32_e32 v1, v9
	v_mov_b32_e32 v17, 0
	s_sub_i32 s29, s14, s6
	v_mov_b32_e32 v2, v10
	s_mov_b32 s2, exec_lo
	v_cmpx_gt_u32_e64 s29, v0
	s_cbranch_execz .LBB517_43
; %bb.42:
	v_lshlrev_b32_e32 v1, 1, v0
	s_clause 0x1
	global_load_u16 v3, v1, s[8:9]
	global_load_u16 v4, v1, s[22:23]
	v_add_co_u32 v1, s3, s26, v0
	s_delay_alu instid0(VALU_DEP_1)
	v_add_co_ci_u32_e64 v2, null, s28, 0, s3
	s_waitcnt vmcnt(0)
	v_cmp_ne_u16_e32 vcc_lo, v3, v4
	v_cndmask_b32_e64 v17, 0, 1, vcc_lo
.LBB517_43:
	s_or_b32 exec_lo, exec_lo, s2
	v_or_b32_e32 v3, 0x100, v0
	s_delay_alu instid0(VALU_DEP_1) | instskip(NEXT) | instid1(VALU_DEP_1)
	v_cmp_gt_u32_e64 s7, s29, v3
	s_and_saveexec_b32 s2, s7
	s_cbranch_execz .LBB517_45
; %bb.44:
	v_lshlrev_b32_e32 v4, 1, v0
	v_add_co_u32 v9, s3, s26, v3
	s_delay_alu instid0(VALU_DEP_1)
	v_add_co_ci_u32_e64 v10, null, s28, 0, s3
	s_clause 0x1
	global_load_u16 v5, v4, s[8:9] offset:512
	global_load_u16 v4, v4, s[22:23] offset:512
	s_waitcnt vmcnt(0)
	v_cmp_ne_u16_e32 vcc_lo, v5, v4
	v_cndmask_b32_e64 v21, 0, 1, vcc_lo
.LBB517_45:
	s_or_b32 exec_lo, exec_lo, s2
	v_dual_mov_b32 v7, 0 :: v_dual_mov_b32 v20, 0
	v_mov_b32_e32 v8, 0
	v_or_b32_e32 v3, 0x200, v0
	v_mov_b32_e32 v24, 0
	s_delay_alu instid0(VALU_DEP_3) | instskip(NEXT) | instid1(VALU_DEP_3)
	v_dual_mov_b32 v16, v8 :: v_dual_mov_b32 v15, v7
	v_cmp_gt_u32_e64 s6, s29, v3
	s_delay_alu instid0(VALU_DEP_1)
	s_and_saveexec_b32 s2, s6
	s_cbranch_execz .LBB517_47
; %bb.46:
	v_lshlrev_b32_e32 v4, 1, v0
	v_add_co_u32 v15, s3, s26, v3
	s_delay_alu instid0(VALU_DEP_1)
	v_add_co_ci_u32_e64 v16, null, s28, 0, s3
	s_clause 0x1
	global_load_u16 v5, v4, s[8:9] offset:1024
	global_load_u16 v4, v4, s[22:23] offset:1024
	s_waitcnt vmcnt(0)
	v_cmp_ne_u16_e32 vcc_lo, v5, v4
	v_cndmask_b32_e64 v24, 0, 1, vcc_lo
.LBB517_47:
	s_or_b32 exec_lo, exec_lo, s2
	v_or_b32_e32 v3, 0x300, v0
	s_delay_alu instid0(VALU_DEP_1) | instskip(NEXT) | instid1(VALU_DEP_1)
	v_cmp_gt_u32_e64 s5, s29, v3
	s_and_saveexec_b32 s2, s5
	s_cbranch_execz .LBB517_49
; %bb.48:
	v_lshlrev_b32_e32 v4, 1, v0
	v_add_co_u32 v7, s3, s26, v3
	s_delay_alu instid0(VALU_DEP_1)
	v_add_co_ci_u32_e64 v8, null, s28, 0, s3
	s_clause 0x1
	global_load_u16 v5, v4, s[8:9] offset:1536
	global_load_u16 v4, v4, s[22:23] offset:1536
	s_waitcnt vmcnt(0)
	v_cmp_ne_u16_e32 vcc_lo, v5, v4
	v_cndmask_b32_e64 v20, 0, 1, vcc_lo
.LBB517_49:
	s_or_b32 exec_lo, exec_lo, s2
	v_mov_b32_e32 v5, 0
	v_dual_mov_b32 v6, 0 :: v_dual_mov_b32 v19, 0
	v_or_b32_e32 v3, 0x400, v0
	s_delay_alu instid0(VALU_DEP_2) | instskip(NEXT) | instid1(VALU_DEP_4)
	v_dual_mov_b32 v23, 0 :: v_dual_mov_b32 v14, v6
	v_mov_b32_e32 v13, v5
	s_delay_alu instid0(VALU_DEP_3) | instskip(NEXT) | instid1(VALU_DEP_1)
	v_cmp_gt_u32_e64 s4, s29, v3
	s_and_saveexec_b32 s2, s4
	s_cbranch_execz .LBB517_51
; %bb.50:
	v_lshlrev_b32_e32 v4, 1, v0
	v_add_co_u32 v13, s3, s26, v3
	s_delay_alu instid0(VALU_DEP_1)
	v_add_co_ci_u32_e64 v14, null, s28, 0, s3
	s_clause 0x1
	global_load_u16 v11, v4, s[8:9] offset:2048
	global_load_u16 v4, v4, s[22:23] offset:2048
	s_waitcnt vmcnt(0)
	v_cmp_ne_u16_e32 vcc_lo, v11, v4
	v_cndmask_b32_e64 v23, 0, 1, vcc_lo
.LBB517_51:
	s_or_b32 exec_lo, exec_lo, s2
	v_or_b32_e32 v3, 0x500, v0
	s_delay_alu instid0(VALU_DEP_1) | instskip(NEXT) | instid1(VALU_DEP_1)
	v_cmp_gt_u32_e64 s3, s29, v3
	s_and_saveexec_b32 s2, s3
	s_cbranch_execz .LBB517_53
; %bb.52:
	v_lshlrev_b32_e32 v4, 1, v0
	v_add_co_u32 v5, s30, s26, v3
	s_delay_alu instid0(VALU_DEP_1)
	v_add_co_ci_u32_e64 v6, null, s28, 0, s30
	s_clause 0x1
	global_load_u16 v11, v4, s[8:9] offset:2560
	global_load_u16 v4, v4, s[22:23] offset:2560
	s_waitcnt vmcnt(0)
	v_cmp_ne_u16_e32 vcc_lo, v11, v4
	v_cndmask_b32_e64 v19, 0, 1, vcc_lo
.LBB517_53:
	s_or_b32 exec_lo, exec_lo, s2
	v_dual_mov_b32 v3, 0 :: v_dual_mov_b32 v18, 0
	v_mov_b32_e32 v4, 0
	v_or_b32_e32 v25, 0x600, v0
	v_mov_b32_e32 v22, 0
	s_delay_alu instid0(VALU_DEP_3) | instskip(NEXT) | instid1(VALU_DEP_3)
	v_dual_mov_b32 v12, v4 :: v_dual_mov_b32 v11, v3
	v_cmp_gt_u32_e64 s2, s29, v25
	s_delay_alu instid0(VALU_DEP_1)
	s_and_saveexec_b32 s30, s2
	s_cbranch_execz .LBB517_55
; %bb.54:
	v_lshlrev_b32_e32 v11, 1, v0
	s_clause 0x1
	global_load_u16 v22, v11, s[8:9] offset:3072
	global_load_u16 v26, v11, s[22:23] offset:3072
	v_add_co_u32 v11, s31, s26, v25
	s_delay_alu instid0(VALU_DEP_1)
	v_add_co_ci_u32_e64 v12, null, s28, 0, s31
	s_waitcnt vmcnt(0)
	v_cmp_ne_u16_e32 vcc_lo, v22, v26
	v_cndmask_b32_e64 v22, 0, 1, vcc_lo
.LBB517_55:
	s_or_b32 exec_lo, exec_lo, s30
	v_or_b32_e32 v25, 0x700, v0
	s_delay_alu instid0(VALU_DEP_1)
	v_cmp_gt_u32_e32 vcc_lo, s29, v25
	s_and_saveexec_b32 s30, vcc_lo
	s_cbranch_execnz .LBB517_232
; %bb.56:
	s_or_b32 exec_lo, exec_lo, s30
	s_and_saveexec_b32 s9, s7
	s_cbranch_execnz .LBB517_233
.LBB517_57:
	s_or_b32 exec_lo, exec_lo, s9
	s_and_saveexec_b32 s8, s6
	s_cbranch_execnz .LBB517_234
.LBB517_58:
	s_or_b32 exec_lo, exec_lo, s8
	s_and_saveexec_b32 s7, s5
	s_cbranch_execnz .LBB517_235
.LBB517_59:
	s_or_b32 exec_lo, exec_lo, s7
	s_and_saveexec_b32 s6, s4
	s_cbranch_execnz .LBB517_236
.LBB517_60:
	s_or_b32 exec_lo, exec_lo, s6
	s_and_saveexec_b32 s5, s3
	s_cbranch_execnz .LBB517_237
.LBB517_61:
	s_or_b32 exec_lo, exec_lo, s5
	s_and_saveexec_b32 s4, s2
	s_cbranch_execnz .LBB517_238
.LBB517_62:
	s_or_b32 exec_lo, exec_lo, s4
	s_and_saveexec_b32 s3, vcc_lo
.LBB517_63:
	v_and_b32_e32 v5, 1, v18
	v_cmp_lt_i64_e32 vcc_lo, v[3:4], v[1:2]
	s_delay_alu instid0(VALU_DEP_2) | instskip(NEXT) | instid1(VALU_DEP_1)
	v_cmp_eq_u32_e64 s2, 1, v5
	s_and_b32 vcc_lo, s2, vcc_lo
	v_cndmask_b32_e64 v6, v17, 1, s2
	v_dual_cndmask_b32 v2, v2, v4 :: v_dual_and_b32 v5, 1, v17
	v_cndmask_b32_e32 v1, v1, v3, vcc_lo
	s_delay_alu instid0(VALU_DEP_2) | instskip(NEXT) | instid1(VALU_DEP_3)
	v_cmp_eq_u32_e32 vcc_lo, 1, v5
	v_cndmask_b32_e32 v2, v4, v2, vcc_lo
	v_cndmask_b32_e32 v17, v18, v6, vcc_lo
	s_delay_alu instid0(VALU_DEP_4)
	v_cndmask_b32_e32 v1, v3, v1, vcc_lo
.LBB517_64:
	s_or_b32 exec_lo, exec_lo, s3
	v_mbcnt_lo_u32_b32 v5, -1, 0
	v_and_b32_e32 v7, 0xe0, v0
	s_min_u32 s3, s29, 0x100
	v_and_b32_e32 v6, 0xffff, v17
	s_delay_alu instid0(VALU_DEP_3) | instskip(NEXT) | instid1(VALU_DEP_3)
	v_cmp_ne_u32_e32 vcc_lo, 31, v5
	v_sub_nc_u32_e64 v8, s3, v7 clamp
	v_add_nc_u32_e32 v7, 1, v5
	v_add_co_ci_u32_e32 v3, vcc_lo, 0, v5, vcc_lo
	s_delay_alu instid0(VALU_DEP_2) | instskip(NEXT) | instid1(VALU_DEP_2)
	v_cmp_lt_u32_e32 vcc_lo, v7, v8
	v_dual_mov_b32 v7, v6 :: v_dual_lshlrev_b32 v4, 2, v3
	ds_bpermute_b32 v9, v4, v6
	ds_bpermute_b32 v3, v4, v1
	;; [unrolled: 1-line block ×3, first 2 shown]
	s_and_saveexec_b32 s2, vcc_lo
	s_delay_alu instid0(SALU_CYCLE_1)
	s_xor_b32 s4, exec_lo, s2
	s_cbranch_execz .LBB517_66
; %bb.65:
	s_waitcnt lgkmcnt(2)
	v_and_b32_e32 v7, 1, v9
	s_waitcnt lgkmcnt(0)
	v_cmp_lt_i64_e32 vcc_lo, v[3:4], v[1:2]
	s_delay_alu instid0(VALU_DEP_2) | instskip(SKIP_1) | instid1(VALU_DEP_2)
	v_cmp_eq_u32_e64 s2, 1, v7
	v_and_b32_e32 v7, 1, v17
	v_cndmask_b32_e64 v6, v6, 1, s2
	s_and_b32 vcc_lo, s2, vcc_lo
	s_delay_alu instid0(VALU_DEP_2) | instskip(SKIP_1) | instid1(VALU_DEP_2)
	v_cmp_eq_u32_e64 s2, 1, v7
	v_dual_cndmask_b32 v2, v2, v4 :: v_dual_cndmask_b32 v1, v1, v3
	v_cndmask_b32_e64 v7, v9, v6, s2
	s_delay_alu instid0(VALU_DEP_2) | instskip(NEXT) | instid1(VALU_DEP_3)
	v_cndmask_b32_e64 v2, v4, v2, s2
	v_cndmask_b32_e64 v1, v3, v1, s2
	s_delay_alu instid0(VALU_DEP_3)
	v_and_b32_e32 v6, 0xff, v7
.LBB517_66:
	s_or_b32 exec_lo, exec_lo, s4
	v_cmp_gt_u32_e32 vcc_lo, 30, v5
	v_add_nc_u32_e32 v10, 2, v5
	s_mov_b32 s4, exec_lo
	s_waitcnt lgkmcnt(1)
	v_cndmask_b32_e64 v3, 0, 1, vcc_lo
	s_delay_alu instid0(VALU_DEP_1) | instskip(SKIP_1) | instid1(VALU_DEP_1)
	v_lshlrev_b32_e32 v3, 1, v3
	s_waitcnt lgkmcnt(0)
	v_add_lshl_u32 v4, v3, v5, 2
	ds_bpermute_b32 v9, v4, v6
	ds_bpermute_b32 v3, v4, v1
	ds_bpermute_b32 v4, v4, v2
	v_cmpx_lt_u32_e64 v10, v8
	s_cbranch_execz .LBB517_68
; %bb.67:
	s_waitcnt lgkmcnt(2)
	v_and_b32_e32 v6, 1, v9
	s_waitcnt lgkmcnt(0)
	v_cmp_lt_i64_e32 vcc_lo, v[3:4], v[1:2]
	s_delay_alu instid0(VALU_DEP_2) | instskip(SKIP_1) | instid1(VALU_DEP_2)
	v_cmp_eq_u32_e64 s2, 1, v6
	v_and_b32_e32 v6, 1, v7
	v_cndmask_b32_e64 v7, v7, 1, s2
	s_and_b32 vcc_lo, s2, vcc_lo
	s_delay_alu instid0(VALU_DEP_2) | instskip(SKIP_1) | instid1(VALU_DEP_2)
	v_cmp_eq_u32_e64 s2, 1, v6
	v_dual_cndmask_b32 v1, v1, v3 :: v_dual_cndmask_b32 v2, v2, v4
	v_cndmask_b32_e64 v7, v9, v7, s2
	s_delay_alu instid0(VALU_DEP_2) | instskip(NEXT) | instid1(VALU_DEP_3)
	v_cndmask_b32_e64 v1, v3, v1, s2
	v_cndmask_b32_e64 v2, v4, v2, s2
	s_delay_alu instid0(VALU_DEP_3)
	v_and_b32_e32 v6, 0xff, v7
.LBB517_68:
	s_or_b32 exec_lo, exec_lo, s4
	v_cmp_gt_u32_e32 vcc_lo, 28, v5
	v_add_nc_u32_e32 v10, 4, v5
	s_mov_b32 s4, exec_lo
	s_waitcnt lgkmcnt(1)
	v_cndmask_b32_e64 v3, 0, 1, vcc_lo
	s_delay_alu instid0(VALU_DEP_1) | instskip(SKIP_1) | instid1(VALU_DEP_1)
	v_lshlrev_b32_e32 v3, 2, v3
	s_waitcnt lgkmcnt(0)
	v_add_lshl_u32 v4, v3, v5, 2
	ds_bpermute_b32 v9, v4, v6
	ds_bpermute_b32 v3, v4, v1
	ds_bpermute_b32 v4, v4, v2
	v_cmpx_lt_u32_e64 v10, v8
	;; [unrolled: 35-line block ×4, first 2 shown]
	s_cbranch_execz .LBB517_74
; %bb.73:
	s_waitcnt lgkmcnt(2)
	v_and_b32_e32 v6, 1, v9
	s_waitcnt lgkmcnt(0)
	v_cmp_lt_i64_e32 vcc_lo, v[3:4], v[1:2]
	s_delay_alu instid0(VALU_DEP_2) | instskip(SKIP_1) | instid1(VALU_DEP_2)
	v_cmp_eq_u32_e64 s2, 1, v6
	v_and_b32_e32 v6, 1, v7
	v_cndmask_b32_e64 v7, v7, 1, s2
	s_and_b32 vcc_lo, s2, vcc_lo
	s_delay_alu instid0(VALU_DEP_2) | instskip(SKIP_1) | instid1(VALU_DEP_2)
	v_cmp_eq_u32_e64 s2, 1, v6
	v_dual_cndmask_b32 v1, v1, v3 :: v_dual_cndmask_b32 v2, v2, v4
	v_cndmask_b32_e64 v7, v9, v7, s2
	s_delay_alu instid0(VALU_DEP_2) | instskip(NEXT) | instid1(VALU_DEP_3)
	v_cndmask_b32_e64 v1, v3, v1, s2
	v_cndmask_b32_e64 v2, v4, v2, s2
	s_delay_alu instid0(VALU_DEP_3)
	v_and_b32_e32 v6, 0xff, v7
.LBB517_74:
	s_or_b32 exec_lo, exec_lo, s4
	s_delay_alu instid0(SALU_CYCLE_1)
	s_mov_b32 s2, exec_lo
	v_cmpx_eq_u32_e32 0, v5
	s_cbranch_execz .LBB517_76
; %bb.75:
	s_waitcnt lgkmcnt(1)
	v_lshrrev_b32_e32 v3, 1, v0
	s_delay_alu instid0(VALU_DEP_1)
	v_and_b32_e32 v3, 0x70, v3
	ds_store_b8 v3, v7 offset:512
	ds_store_b64 v3, v[1:2] offset:520
.LBB517_76:
	s_or_b32 exec_lo, exec_lo, s2
	s_delay_alu instid0(SALU_CYCLE_1)
	s_mov_b32 s4, exec_lo
	s_waitcnt lgkmcnt(0)
	s_barrier
	buffer_gl0_inv
	v_cmpx_gt_u32_e32 8, v0
	s_cbranch_execz .LBB517_84
; %bb.77:
	v_lshlrev_b32_e32 v1, 4, v5
	v_and_b32_e32 v8, 7, v5
	s_add_i32 s3, s3, 31
	s_mov_b32 s5, exec_lo
	s_lshr_b32 s3, s3, 5
	ds_load_u8 v7, v1 offset:512
	ds_load_b64 v[1:2], v1 offset:520
	v_cmp_ne_u32_e32 vcc_lo, 7, v8
	v_add_nc_u32_e32 v10, 1, v8
	v_add_co_ci_u32_e32 v3, vcc_lo, 0, v5, vcc_lo
	s_delay_alu instid0(VALU_DEP_1)
	v_lshlrev_b32_e32 v4, 2, v3
	s_waitcnt lgkmcnt(1)
	v_and_b32_e32 v6, 0xff, v7
	s_waitcnt lgkmcnt(0)
	ds_bpermute_b32 v3, v4, v1
	ds_bpermute_b32 v9, v4, v6
	;; [unrolled: 1-line block ×3, first 2 shown]
	v_cmpx_gt_u32_e64 s3, v10
	s_cbranch_execz .LBB517_79
; %bb.78:
	s_waitcnt lgkmcnt(1)
	v_and_b32_e32 v6, 1, v9
	s_waitcnt lgkmcnt(0)
	v_cmp_lt_i64_e32 vcc_lo, v[3:4], v[1:2]
	s_delay_alu instid0(VALU_DEP_2) | instskip(SKIP_1) | instid1(VALU_DEP_2)
	v_cmp_eq_u32_e64 s2, 1, v6
	v_and_b32_e32 v6, 1, v7
	v_cndmask_b32_e64 v7, v7, 1, s2
	s_and_b32 vcc_lo, s2, vcc_lo
	s_delay_alu instid0(VALU_DEP_2) | instskip(SKIP_1) | instid1(VALU_DEP_2)
	v_cmp_eq_u32_e64 s2, 1, v6
	v_dual_cndmask_b32 v1, v1, v3 :: v_dual_cndmask_b32 v2, v2, v4
	v_cndmask_b32_e64 v7, v9, v7, s2
	s_delay_alu instid0(VALU_DEP_2) | instskip(NEXT) | instid1(VALU_DEP_3)
	v_cndmask_b32_e64 v1, v3, v1, s2
	v_cndmask_b32_e64 v2, v4, v2, s2
	s_delay_alu instid0(VALU_DEP_3)
	v_and_b32_e32 v6, 0xff, v7
.LBB517_79:
	s_or_b32 exec_lo, exec_lo, s5
	v_cmp_gt_u32_e32 vcc_lo, 6, v8
	v_add_nc_u32_e32 v10, 2, v8
	s_mov_b32 s5, exec_lo
	s_waitcnt lgkmcnt(2)
	v_cndmask_b32_e64 v3, 0, 1, vcc_lo
	s_delay_alu instid0(VALU_DEP_1) | instskip(SKIP_1) | instid1(VALU_DEP_1)
	v_lshlrev_b32_e32 v3, 1, v3
	s_waitcnt lgkmcnt(0)
	v_add_lshl_u32 v4, v3, v5, 2
	ds_bpermute_b32 v9, v4, v6
	ds_bpermute_b32 v3, v4, v1
	ds_bpermute_b32 v4, v4, v2
	v_cmpx_gt_u32_e64 s3, v10
	s_cbranch_execz .LBB517_81
; %bb.80:
	s_waitcnt lgkmcnt(2)
	v_and_b32_e32 v6, 1, v9
	s_waitcnt lgkmcnt(0)
	v_cmp_lt_i64_e32 vcc_lo, v[3:4], v[1:2]
	s_delay_alu instid0(VALU_DEP_2) | instskip(SKIP_1) | instid1(VALU_DEP_2)
	v_cmp_eq_u32_e64 s2, 1, v6
	v_and_b32_e32 v6, 1, v7
	v_cndmask_b32_e64 v7, v7, 1, s2
	s_and_b32 vcc_lo, s2, vcc_lo
	s_delay_alu instid0(VALU_DEP_2) | instskip(SKIP_1) | instid1(VALU_DEP_2)
	v_cmp_eq_u32_e64 s2, 1, v6
	v_dual_cndmask_b32 v1, v1, v3 :: v_dual_cndmask_b32 v2, v2, v4
	v_cndmask_b32_e64 v7, v9, v7, s2
	s_delay_alu instid0(VALU_DEP_2) | instskip(NEXT) | instid1(VALU_DEP_3)
	v_cndmask_b32_e64 v1, v3, v1, s2
	v_cndmask_b32_e64 v2, v4, v2, s2
	s_delay_alu instid0(VALU_DEP_3)
	v_and_b32_e32 v6, 0xff, v7
.LBB517_81:
	s_or_b32 exec_lo, exec_lo, s5
	v_cmp_gt_u32_e32 vcc_lo, 4, v8
	v_add_nc_u32_e32 v8, 4, v8
	s_waitcnt lgkmcnt(1)
	v_cndmask_b32_e64 v3, 0, 1, vcc_lo
	s_delay_alu instid0(VALU_DEP_2) | instskip(NEXT) | instid1(VALU_DEP_2)
	v_cmp_gt_u32_e32 vcc_lo, s3, v8
	v_lshlrev_b32_e32 v3, 2, v3
	s_waitcnt lgkmcnt(0)
	s_delay_alu instid0(VALU_DEP_1)
	v_add_lshl_u32 v4, v3, v5, 2
	ds_bpermute_b32 v5, v4, v6
	ds_bpermute_b32 v3, v4, v1
	;; [unrolled: 1-line block ×3, first 2 shown]
	s_and_saveexec_b32 s3, vcc_lo
	s_cbranch_execz .LBB517_83
; %bb.82:
	s_waitcnt lgkmcnt(2)
	v_and_b32_e32 v6, 1, v5
	s_waitcnt lgkmcnt(0)
	v_cmp_lt_i64_e32 vcc_lo, v[3:4], v[1:2]
	s_delay_alu instid0(VALU_DEP_2) | instskip(SKIP_1) | instid1(VALU_DEP_2)
	v_cmp_eq_u32_e64 s2, 1, v6
	v_and_b32_e32 v6, 1, v7
	v_cndmask_b32_e64 v7, v7, 1, s2
	s_and_b32 vcc_lo, s2, vcc_lo
	s_delay_alu instid0(VALU_DEP_2) | instskip(SKIP_1) | instid1(VALU_DEP_2)
	v_cmp_eq_u32_e64 s2, 1, v6
	v_dual_cndmask_b32 v1, v1, v3 :: v_dual_cndmask_b32 v2, v2, v4
	v_cndmask_b32_e64 v5, v5, v7, s2
	s_delay_alu instid0(VALU_DEP_2) | instskip(NEXT) | instid1(VALU_DEP_3)
	v_cndmask_b32_e64 v1, v3, v1, s2
	v_cndmask_b32_e64 v2, v4, v2, s2
	s_delay_alu instid0(VALU_DEP_3)
	v_and_b32_e32 v6, 0xff, v5
.LBB517_83:
	s_or_b32 exec_lo, exec_lo, s3
.LBB517_84:
	s_delay_alu instid0(SALU_CYCLE_1)
	s_or_b32 exec_lo, exec_lo, s4
.LBB517_85:
	s_mov_b32 s26, 0
                                        ; implicit-def: $vgpr3_vgpr4
                                        ; implicit-def: $vgpr5
	s_mov_b32 s2, exec_lo
	v_cmpx_eq_u32_e32 0, v0
	s_xor_b32 s4, exec_lo, s2
	s_cbranch_execz .LBB517_89
; %bb.86:
	s_waitcnt lgkmcnt(0)
	v_dual_mov_b32 v3, s20 :: v_dual_mov_b32 v4, s21
	v_mov_b32_e32 v5, s24
	s_cmp_eq_u64 s[14:15], 0
	s_cbranch_scc1 .LBB517_88
; %bb.87:
	v_and_b32_e32 v3, 1, v6
	v_cmp_gt_i64_e32 vcc_lo, s[20:21], v[1:2]
	s_bitcmp1_b32 s24, 0
	s_cselect_b32 s3, -1, 0
	s_delay_alu instid0(VALU_DEP_2) | instskip(NEXT) | instid1(VALU_DEP_1)
	v_cmp_eq_u32_e64 s2, 1, v3
	s_and_b32 vcc_lo, s2, vcc_lo
	v_cndmask_b32_e64 v3, s24, 1, s2
	v_cndmask_b32_e32 v7, s20, v1, vcc_lo
	v_cndmask_b32_e32 v4, s21, v2, vcc_lo
	s_delay_alu instid0(VALU_DEP_3) | instskip(NEXT) | instid1(VALU_DEP_3)
	v_cndmask_b32_e64 v5, v6, v3, s3
	v_cndmask_b32_e64 v3, v1, v7, s3
	s_delay_alu instid0(VALU_DEP_3)
	v_cndmask_b32_e64 v4, v2, v4, s3
.LBB517_88:
	s_mov_b32 s26, exec_lo
.LBB517_89:
	s_or_b32 exec_lo, exec_lo, s4
	s_delay_alu instid0(SALU_CYCLE_1)
	s_and_b32 vcc_lo, exec_lo, s27
	s_cbranch_vccnz .LBB517_22
.LBB517_90:
	s_branch .LBB517_200
.LBB517_91:
                                        ; implicit-def: $vgpr1_vgpr2
                                        ; implicit-def: $vgpr6
	s_cbranch_execz .LBB517_124
; %bb.92:
	s_waitcnt lgkmcnt(2)
	v_mov_b32_e32 v5, 0
	v_dual_mov_b32 v6, 0 :: v_dual_mov_b32 v11, 0
	s_delay_alu instid0(VALU_DEP_2) | instskip(SKIP_2) | instid1(VALU_DEP_3)
	v_mov_b32_e32 v1, v5
	v_mov_b32_e32 v9, 0
	s_sub_i32 s22, s14, s22
	v_mov_b32_e32 v2, v6
	s_mov_b32 s2, exec_lo
	v_cmpx_gt_u32_e64 s22, v0
	s_cbranch_execz .LBB517_94
; %bb.93:
	v_lshlrev_b32_e32 v1, 1, v0
	s_waitcnt lgkmcnt(1)
	global_load_u16 v3, v1, s[6:7]
	s_waitcnt lgkmcnt(0)
	global_load_u16 v4, v1, s[8:9]
	v_add_co_u32 v1, s3, s5, v0
	s_delay_alu instid0(VALU_DEP_1)
	v_add_co_ci_u32_e64 v2, null, s23, 0, s3
	s_waitcnt vmcnt(0)
	v_cmp_ne_u16_e32 vcc_lo, v3, v4
	v_cndmask_b32_e64 v9, 0, 1, vcc_lo
.LBB517_94:
	s_or_b32 exec_lo, exec_lo, s2
	s_waitcnt lgkmcnt(1)
	v_or_b32_e32 v3, 0x100, v0
	s_delay_alu instid0(VALU_DEP_1) | instskip(NEXT) | instid1(VALU_DEP_1)
	v_cmp_gt_u32_e64 s3, s22, v3
	s_and_saveexec_b32 s2, s3
	s_cbranch_execz .LBB517_96
; %bb.95:
	s_waitcnt lgkmcnt(0)
	v_lshlrev_b32_e32 v4, 1, v0
	v_add_co_u32 v5, s4, s5, v3
	s_delay_alu instid0(VALU_DEP_1)
	v_add_co_ci_u32_e64 v6, null, s23, 0, s4
	s_clause 0x1
	global_load_u16 v7, v4, s[6:7] offset:512
	global_load_u16 v4, v4, s[8:9] offset:512
	s_waitcnt vmcnt(0)
	v_cmp_ne_u16_e32 vcc_lo, v7, v4
	v_cndmask_b32_e64 v11, 0, 1, vcc_lo
.LBB517_96:
	s_or_b32 exec_lo, exec_lo, s2
	s_waitcnt lgkmcnt(0)
	v_dual_mov_b32 v3, 0 :: v_dual_mov_b32 v10, 0
	v_mov_b32_e32 v4, 0
	v_or_b32_e32 v13, 0x200, v0
	v_mov_b32_e32 v12, 0
	s_delay_alu instid0(VALU_DEP_3) | instskip(NEXT) | instid1(VALU_DEP_3)
	v_dual_mov_b32 v8, v4 :: v_dual_mov_b32 v7, v3
	v_cmp_gt_u32_e64 s2, s22, v13
	s_delay_alu instid0(VALU_DEP_1)
	s_and_saveexec_b32 s4, s2
	s_cbranch_execz .LBB517_98
; %bb.97:
	v_lshlrev_b32_e32 v7, 1, v0
	s_clause 0x1
	global_load_u16 v12, v7, s[6:7] offset:1024
	global_load_u16 v14, v7, s[8:9] offset:1024
	v_add_co_u32 v7, s27, s5, v13
	s_delay_alu instid0(VALU_DEP_1)
	v_add_co_ci_u32_e64 v8, null, s23, 0, s27
	s_waitcnt vmcnt(0)
	v_cmp_ne_u16_e32 vcc_lo, v12, v14
	v_cndmask_b32_e64 v12, 0, 1, vcc_lo
.LBB517_98:
	s_or_b32 exec_lo, exec_lo, s4
	v_or_b32_e32 v13, 0x300, v0
	s_delay_alu instid0(VALU_DEP_1)
	v_cmp_gt_u32_e32 vcc_lo, s22, v13
	s_and_saveexec_b32 s27, vcc_lo
	s_cbranch_execnz .LBB517_239
; %bb.99:
	s_or_b32 exec_lo, exec_lo, s27
	s_and_saveexec_b32 s5, s3
	s_cbranch_execnz .LBB517_240
.LBB517_100:
	s_or_b32 exec_lo, exec_lo, s5
	s_and_saveexec_b32 s4, s2
	s_cbranch_execnz .LBB517_241
.LBB517_101:
	s_or_b32 exec_lo, exec_lo, s4
	s_and_saveexec_b32 s3, vcc_lo
.LBB517_102:
	v_and_b32_e32 v5, 1, v10
	v_cmp_lt_i64_e32 vcc_lo, v[3:4], v[1:2]
	s_delay_alu instid0(VALU_DEP_2) | instskip(NEXT) | instid1(VALU_DEP_1)
	v_cmp_eq_u32_e64 s2, 1, v5
	s_and_b32 vcc_lo, s2, vcc_lo
	v_cndmask_b32_e64 v6, v9, 1, s2
	v_dual_cndmask_b32 v2, v2, v4 :: v_dual_and_b32 v5, 1, v9
	v_cndmask_b32_e32 v1, v1, v3, vcc_lo
	s_delay_alu instid0(VALU_DEP_2) | instskip(NEXT) | instid1(VALU_DEP_3)
	v_cmp_eq_u32_e32 vcc_lo, 1, v5
	v_cndmask_b32_e32 v2, v4, v2, vcc_lo
	v_cndmask_b32_e32 v9, v10, v6, vcc_lo
	s_delay_alu instid0(VALU_DEP_4)
	v_cndmask_b32_e32 v1, v3, v1, vcc_lo
.LBB517_103:
	s_or_b32 exec_lo, exec_lo, s3
	v_mbcnt_lo_u32_b32 v5, -1, 0
	v_and_b32_e32 v7, 0xe0, v0
	s_min_u32 s3, s22, 0x100
	v_and_b32_e32 v6, 0xffff, v9
	s_delay_alu instid0(VALU_DEP_3) | instskip(NEXT) | instid1(VALU_DEP_3)
	v_cmp_ne_u32_e32 vcc_lo, 31, v5
	v_sub_nc_u32_e64 v8, s3, v7 clamp
	v_add_nc_u32_e32 v7, 1, v5
	v_add_co_ci_u32_e32 v3, vcc_lo, 0, v5, vcc_lo
	s_delay_alu instid0(VALU_DEP_2) | instskip(NEXT) | instid1(VALU_DEP_2)
	v_cmp_lt_u32_e32 vcc_lo, v7, v8
	v_dual_mov_b32 v7, v6 :: v_dual_lshlrev_b32 v4, 2, v3
	ds_bpermute_b32 v10, v4, v6
	ds_bpermute_b32 v3, v4, v1
	;; [unrolled: 1-line block ×3, first 2 shown]
	s_and_saveexec_b32 s2, vcc_lo
	s_delay_alu instid0(SALU_CYCLE_1)
	s_xor_b32 s4, exec_lo, s2
	s_cbranch_execz .LBB517_105
; %bb.104:
	s_waitcnt lgkmcnt(2)
	v_and_b32_e32 v7, 1, v10
	s_waitcnt lgkmcnt(0)
	v_cmp_lt_i64_e32 vcc_lo, v[3:4], v[1:2]
	s_delay_alu instid0(VALU_DEP_2) | instskip(SKIP_1) | instid1(VALU_DEP_2)
	v_cmp_eq_u32_e64 s2, 1, v7
	v_and_b32_e32 v7, 1, v9
	v_cndmask_b32_e64 v6, v6, 1, s2
	s_and_b32 vcc_lo, s2, vcc_lo
	s_delay_alu instid0(VALU_DEP_2) | instskip(SKIP_1) | instid1(VALU_DEP_2)
	v_cmp_eq_u32_e64 s2, 1, v7
	v_dual_cndmask_b32 v2, v2, v4 :: v_dual_cndmask_b32 v1, v1, v3
	v_cndmask_b32_e64 v7, v10, v6, s2
	s_delay_alu instid0(VALU_DEP_2) | instskip(NEXT) | instid1(VALU_DEP_3)
	v_cndmask_b32_e64 v2, v4, v2, s2
	v_cndmask_b32_e64 v1, v3, v1, s2
	s_delay_alu instid0(VALU_DEP_3)
	v_and_b32_e32 v6, 0xff, v7
.LBB517_105:
	s_or_b32 exec_lo, exec_lo, s4
	v_cmp_gt_u32_e32 vcc_lo, 30, v5
	s_waitcnt lgkmcnt(2)
	v_add_nc_u32_e32 v10, 2, v5
	s_mov_b32 s4, exec_lo
	s_waitcnt lgkmcnt(1)
	v_cndmask_b32_e64 v3, 0, 1, vcc_lo
	s_delay_alu instid0(VALU_DEP_1) | instskip(SKIP_1) | instid1(VALU_DEP_1)
	v_lshlrev_b32_e32 v3, 1, v3
	s_waitcnt lgkmcnt(0)
	v_add_lshl_u32 v4, v3, v5, 2
	ds_bpermute_b32 v9, v4, v6
	ds_bpermute_b32 v3, v4, v1
	ds_bpermute_b32 v4, v4, v2
	v_cmpx_lt_u32_e64 v10, v8
	s_cbranch_execz .LBB517_107
; %bb.106:
	s_waitcnt lgkmcnt(2)
	v_and_b32_e32 v6, 1, v9
	s_waitcnt lgkmcnt(0)
	v_cmp_lt_i64_e32 vcc_lo, v[3:4], v[1:2]
	s_delay_alu instid0(VALU_DEP_2) | instskip(SKIP_1) | instid1(VALU_DEP_2)
	v_cmp_eq_u32_e64 s2, 1, v6
	v_and_b32_e32 v6, 1, v7
	v_cndmask_b32_e64 v7, v7, 1, s2
	s_and_b32 vcc_lo, s2, vcc_lo
	s_delay_alu instid0(VALU_DEP_2) | instskip(SKIP_1) | instid1(VALU_DEP_2)
	v_cmp_eq_u32_e64 s2, 1, v6
	v_dual_cndmask_b32 v1, v1, v3 :: v_dual_cndmask_b32 v2, v2, v4
	v_cndmask_b32_e64 v7, v9, v7, s2
	s_delay_alu instid0(VALU_DEP_2) | instskip(NEXT) | instid1(VALU_DEP_3)
	v_cndmask_b32_e64 v1, v3, v1, s2
	v_cndmask_b32_e64 v2, v4, v2, s2
	s_delay_alu instid0(VALU_DEP_3)
	v_and_b32_e32 v6, 0xff, v7
.LBB517_107:
	s_or_b32 exec_lo, exec_lo, s4
	v_cmp_gt_u32_e32 vcc_lo, 28, v5
	v_add_nc_u32_e32 v10, 4, v5
	s_mov_b32 s4, exec_lo
	s_waitcnt lgkmcnt(1)
	v_cndmask_b32_e64 v3, 0, 1, vcc_lo
	s_delay_alu instid0(VALU_DEP_1) | instskip(SKIP_1) | instid1(VALU_DEP_1)
	v_lshlrev_b32_e32 v3, 2, v3
	s_waitcnt lgkmcnt(0)
	v_add_lshl_u32 v4, v3, v5, 2
	ds_bpermute_b32 v9, v4, v6
	ds_bpermute_b32 v3, v4, v1
	ds_bpermute_b32 v4, v4, v2
	v_cmpx_lt_u32_e64 v10, v8
	s_cbranch_execz .LBB517_109
; %bb.108:
	s_waitcnt lgkmcnt(2)
	v_and_b32_e32 v6, 1, v9
	s_waitcnt lgkmcnt(0)
	v_cmp_lt_i64_e32 vcc_lo, v[3:4], v[1:2]
	s_delay_alu instid0(VALU_DEP_2) | instskip(SKIP_1) | instid1(VALU_DEP_2)
	v_cmp_eq_u32_e64 s2, 1, v6
	v_and_b32_e32 v6, 1, v7
	v_cndmask_b32_e64 v7, v7, 1, s2
	s_and_b32 vcc_lo, s2, vcc_lo
	s_delay_alu instid0(VALU_DEP_2) | instskip(SKIP_1) | instid1(VALU_DEP_2)
	v_cmp_eq_u32_e64 s2, 1, v6
	v_dual_cndmask_b32 v1, v1, v3 :: v_dual_cndmask_b32 v2, v2, v4
	v_cndmask_b32_e64 v7, v9, v7, s2
	s_delay_alu instid0(VALU_DEP_2) | instskip(NEXT) | instid1(VALU_DEP_3)
	v_cndmask_b32_e64 v1, v3, v1, s2
	v_cndmask_b32_e64 v2, v4, v2, s2
	s_delay_alu instid0(VALU_DEP_3)
	v_and_b32_e32 v6, 0xff, v7
.LBB517_109:
	s_or_b32 exec_lo, exec_lo, s4
	v_cmp_gt_u32_e32 vcc_lo, 24, v5
	;; [unrolled: 35-line block ×3, first 2 shown]
	v_add_nc_u32_e32 v10, 16, v5
	s_mov_b32 s4, exec_lo
	s_waitcnt lgkmcnt(1)
	v_cndmask_b32_e64 v3, 0, 1, vcc_lo
	s_delay_alu instid0(VALU_DEP_1) | instskip(SKIP_1) | instid1(VALU_DEP_1)
	v_lshlrev_b32_e32 v3, 4, v3
	s_waitcnt lgkmcnt(0)
	v_add_lshl_u32 v4, v3, v5, 2
	ds_bpermute_b32 v9, v4, v6
	ds_bpermute_b32 v3, v4, v1
	ds_bpermute_b32 v4, v4, v2
	v_cmpx_lt_u32_e64 v10, v8
	s_cbranch_execz .LBB517_113
; %bb.112:
	s_waitcnt lgkmcnt(2)
	v_and_b32_e32 v6, 1, v9
	s_waitcnt lgkmcnt(0)
	v_cmp_lt_i64_e32 vcc_lo, v[3:4], v[1:2]
	s_delay_alu instid0(VALU_DEP_2) | instskip(SKIP_1) | instid1(VALU_DEP_2)
	v_cmp_eq_u32_e64 s2, 1, v6
	v_and_b32_e32 v6, 1, v7
	v_cndmask_b32_e64 v7, v7, 1, s2
	s_and_b32 vcc_lo, s2, vcc_lo
	s_delay_alu instid0(VALU_DEP_2) | instskip(SKIP_1) | instid1(VALU_DEP_2)
	v_cmp_eq_u32_e64 s2, 1, v6
	v_dual_cndmask_b32 v1, v1, v3 :: v_dual_cndmask_b32 v2, v2, v4
	v_cndmask_b32_e64 v7, v9, v7, s2
	s_delay_alu instid0(VALU_DEP_2) | instskip(NEXT) | instid1(VALU_DEP_3)
	v_cndmask_b32_e64 v1, v3, v1, s2
	v_cndmask_b32_e64 v2, v4, v2, s2
	s_delay_alu instid0(VALU_DEP_3)
	v_and_b32_e32 v6, 0xff, v7
.LBB517_113:
	s_or_b32 exec_lo, exec_lo, s4
	s_delay_alu instid0(SALU_CYCLE_1)
	s_mov_b32 s2, exec_lo
	v_cmpx_eq_u32_e32 0, v5
	s_cbranch_execz .LBB517_115
; %bb.114:
	s_waitcnt lgkmcnt(1)
	v_lshrrev_b32_e32 v3, 1, v0
	s_delay_alu instid0(VALU_DEP_1)
	v_and_b32_e32 v3, 0x70, v3
	ds_store_b8 v3, v7 offset:512
	ds_store_b64 v3, v[1:2] offset:520
.LBB517_115:
	s_or_b32 exec_lo, exec_lo, s2
	s_delay_alu instid0(SALU_CYCLE_1)
	s_mov_b32 s4, exec_lo
	s_waitcnt lgkmcnt(0)
	s_barrier
	buffer_gl0_inv
	v_cmpx_gt_u32_e32 8, v0
	s_cbranch_execz .LBB517_123
; %bb.116:
	v_lshlrev_b32_e32 v1, 4, v5
	v_and_b32_e32 v8, 7, v5
	s_add_i32 s3, s3, 31
	s_mov_b32 s5, exec_lo
	s_lshr_b32 s3, s3, 5
	ds_load_u8 v7, v1 offset:512
	ds_load_b64 v[1:2], v1 offset:520
	v_cmp_ne_u32_e32 vcc_lo, 7, v8
	v_add_nc_u32_e32 v10, 1, v8
	v_add_co_ci_u32_e32 v3, vcc_lo, 0, v5, vcc_lo
	s_delay_alu instid0(VALU_DEP_1)
	v_lshlrev_b32_e32 v4, 2, v3
	s_waitcnt lgkmcnt(1)
	v_and_b32_e32 v6, 0xff, v7
	s_waitcnt lgkmcnt(0)
	ds_bpermute_b32 v3, v4, v1
	ds_bpermute_b32 v9, v4, v6
	;; [unrolled: 1-line block ×3, first 2 shown]
	v_cmpx_gt_u32_e64 s3, v10
	s_cbranch_execz .LBB517_118
; %bb.117:
	s_waitcnt lgkmcnt(1)
	v_and_b32_e32 v6, 1, v9
	s_waitcnt lgkmcnt(0)
	v_cmp_lt_i64_e32 vcc_lo, v[3:4], v[1:2]
	s_delay_alu instid0(VALU_DEP_2) | instskip(SKIP_1) | instid1(VALU_DEP_2)
	v_cmp_eq_u32_e64 s2, 1, v6
	v_and_b32_e32 v6, 1, v7
	v_cndmask_b32_e64 v7, v7, 1, s2
	s_and_b32 vcc_lo, s2, vcc_lo
	s_delay_alu instid0(VALU_DEP_2) | instskip(SKIP_1) | instid1(VALU_DEP_2)
	v_cmp_eq_u32_e64 s2, 1, v6
	v_dual_cndmask_b32 v1, v1, v3 :: v_dual_cndmask_b32 v2, v2, v4
	v_cndmask_b32_e64 v7, v9, v7, s2
	s_delay_alu instid0(VALU_DEP_2) | instskip(NEXT) | instid1(VALU_DEP_3)
	v_cndmask_b32_e64 v1, v3, v1, s2
	v_cndmask_b32_e64 v2, v4, v2, s2
	s_delay_alu instid0(VALU_DEP_3)
	v_and_b32_e32 v6, 0xff, v7
.LBB517_118:
	s_or_b32 exec_lo, exec_lo, s5
	v_cmp_gt_u32_e32 vcc_lo, 6, v8
	v_add_nc_u32_e32 v10, 2, v8
	s_mov_b32 s5, exec_lo
	s_waitcnt lgkmcnt(2)
	v_cndmask_b32_e64 v3, 0, 1, vcc_lo
	s_delay_alu instid0(VALU_DEP_1) | instskip(SKIP_1) | instid1(VALU_DEP_1)
	v_lshlrev_b32_e32 v3, 1, v3
	s_waitcnt lgkmcnt(0)
	v_add_lshl_u32 v4, v3, v5, 2
	ds_bpermute_b32 v9, v4, v6
	ds_bpermute_b32 v3, v4, v1
	ds_bpermute_b32 v4, v4, v2
	v_cmpx_gt_u32_e64 s3, v10
	s_cbranch_execz .LBB517_120
; %bb.119:
	s_waitcnt lgkmcnt(2)
	v_and_b32_e32 v6, 1, v9
	s_waitcnt lgkmcnt(0)
	v_cmp_lt_i64_e32 vcc_lo, v[3:4], v[1:2]
	s_delay_alu instid0(VALU_DEP_2) | instskip(SKIP_1) | instid1(VALU_DEP_2)
	v_cmp_eq_u32_e64 s2, 1, v6
	v_and_b32_e32 v6, 1, v7
	v_cndmask_b32_e64 v7, v7, 1, s2
	s_and_b32 vcc_lo, s2, vcc_lo
	s_delay_alu instid0(VALU_DEP_2) | instskip(SKIP_1) | instid1(VALU_DEP_2)
	v_cmp_eq_u32_e64 s2, 1, v6
	v_dual_cndmask_b32 v1, v1, v3 :: v_dual_cndmask_b32 v2, v2, v4
	v_cndmask_b32_e64 v7, v9, v7, s2
	s_delay_alu instid0(VALU_DEP_2) | instskip(NEXT) | instid1(VALU_DEP_3)
	v_cndmask_b32_e64 v1, v3, v1, s2
	v_cndmask_b32_e64 v2, v4, v2, s2
	s_delay_alu instid0(VALU_DEP_3)
	v_and_b32_e32 v6, 0xff, v7
.LBB517_120:
	s_or_b32 exec_lo, exec_lo, s5
	v_cmp_gt_u32_e32 vcc_lo, 4, v8
	v_add_nc_u32_e32 v8, 4, v8
	s_waitcnt lgkmcnt(1)
	v_cndmask_b32_e64 v3, 0, 1, vcc_lo
	s_delay_alu instid0(VALU_DEP_2) | instskip(NEXT) | instid1(VALU_DEP_2)
	v_cmp_gt_u32_e32 vcc_lo, s3, v8
	v_lshlrev_b32_e32 v3, 2, v3
	s_waitcnt lgkmcnt(0)
	s_delay_alu instid0(VALU_DEP_1)
	v_add_lshl_u32 v4, v3, v5, 2
	ds_bpermute_b32 v5, v4, v6
	ds_bpermute_b32 v3, v4, v1
	;; [unrolled: 1-line block ×3, first 2 shown]
	s_and_saveexec_b32 s3, vcc_lo
	s_cbranch_execz .LBB517_122
; %bb.121:
	s_waitcnt lgkmcnt(2)
	v_and_b32_e32 v6, 1, v5
	s_waitcnt lgkmcnt(0)
	v_cmp_lt_i64_e32 vcc_lo, v[3:4], v[1:2]
	s_delay_alu instid0(VALU_DEP_2) | instskip(SKIP_1) | instid1(VALU_DEP_2)
	v_cmp_eq_u32_e64 s2, 1, v6
	v_and_b32_e32 v6, 1, v7
	v_cndmask_b32_e64 v7, v7, 1, s2
	s_and_b32 vcc_lo, s2, vcc_lo
	s_delay_alu instid0(VALU_DEP_2) | instskip(SKIP_1) | instid1(VALU_DEP_2)
	v_cmp_eq_u32_e64 s2, 1, v6
	v_dual_cndmask_b32 v1, v1, v3 :: v_dual_cndmask_b32 v2, v2, v4
	v_cndmask_b32_e64 v5, v5, v7, s2
	s_delay_alu instid0(VALU_DEP_2) | instskip(NEXT) | instid1(VALU_DEP_3)
	v_cndmask_b32_e64 v1, v3, v1, s2
	v_cndmask_b32_e64 v2, v4, v2, s2
	s_delay_alu instid0(VALU_DEP_3)
	v_and_b32_e32 v6, 0xff, v5
.LBB517_122:
	s_or_b32 exec_lo, exec_lo, s3
.LBB517_123:
	s_delay_alu instid0(SALU_CYCLE_1)
	s_or_b32 exec_lo, exec_lo, s4
.LBB517_124:
                                        ; implicit-def: $vgpr3_vgpr4
                                        ; implicit-def: $vgpr5
	s_delay_alu instid0(SALU_CYCLE_1)
	s_mov_b32 s2, exec_lo
	v_cmpx_eq_u32_e32 0, v0
	s_xor_b32 s4, exec_lo, s2
	s_cbranch_execz .LBB517_128
; %bb.125:
	s_waitcnt lgkmcnt(0)
	v_dual_mov_b32 v3, s20 :: v_dual_mov_b32 v4, s21
	v_mov_b32_e32 v5, s24
	s_cmp_eq_u64 s[14:15], 0
	s_cbranch_scc1 .LBB517_127
; %bb.126:
	v_and_b32_e32 v3, 1, v6
	v_cmp_gt_i64_e32 vcc_lo, s[20:21], v[1:2]
	s_bitcmp1_b32 s24, 0
	s_cselect_b32 s3, -1, 0
	s_delay_alu instid0(VALU_DEP_2) | instskip(NEXT) | instid1(VALU_DEP_1)
	v_cmp_eq_u32_e64 s2, 1, v3
	s_and_b32 vcc_lo, s2, vcc_lo
	v_cndmask_b32_e64 v3, s24, 1, s2
	v_cndmask_b32_e32 v7, s20, v1, vcc_lo
	v_cndmask_b32_e32 v4, s21, v2, vcc_lo
	s_delay_alu instid0(VALU_DEP_3) | instskip(NEXT) | instid1(VALU_DEP_3)
	v_cndmask_b32_e64 v5, v6, v3, s3
	v_cndmask_b32_e64 v3, v1, v7, s3
	s_delay_alu instid0(VALU_DEP_3)
	v_cndmask_b32_e64 v4, v2, v4, s3
.LBB517_127:
	s_or_b32 s26, s26, exec_lo
.LBB517_128:
	s_or_b32 exec_lo, exec_lo, s4
	s_branch .LBB517_200
.LBB517_129:
	s_cmp_gt_i32 s25, 1
	s_cbranch_scc0 .LBB517_147
; %bb.130:
	s_cmp_eq_u32 s25, 2
	s_cbranch_scc0 .LBB517_148
; %bb.131:
	s_mov_b32 s11, 0
	s_lshl_b32 s8, s10, 9
	s_mov_b32 s9, s11
	s_lshr_b64 s[28:29], s[14:15], 9
	s_lshl_b64 s[2:3], s[8:9], 1
	s_delay_alu instid0(SALU_CYCLE_1)
	s_add_u32 s4, s16, s2
	s_addc_u32 s5, s17, s3
	s_add_u32 s6, s18, s2
	s_addc_u32 s7, s19, s3
	;; [unrolled: 2-line block ×3, first 2 shown]
	s_cmp_lg_u64 s[28:29], s[10:11]
	s_cbranch_scc0 .LBB517_149
; %bb.132:
	v_lshlrev_b32_e32 v1, 1, v0
	v_add_co_u32 v7, s2, s9, v0
	s_waitcnt lgkmcnt(2)
	v_add_co_ci_u32_e64 v5, null, s22, 0, s2
	global_load_u16 v2, v1, s[6:7] offset:512
	s_waitcnt lgkmcnt(1)
	global_load_u16 v3, v1, s[6:7]
	s_waitcnt lgkmcnt(0)
	s_clause 0x1
	global_load_u16 v4, v1, s[4:5] offset:512
	global_load_u16 v1, v1, s[4:5]
	v_add_co_u32 v8, vcc_lo, 0x100, v7
	v_add_co_ci_u32_e32 v6, vcc_lo, 0, v5, vcc_lo
	s_mov_b32 s23, exec_lo
	s_waitcnt vmcnt(1)
	v_cmp_ne_u16_e32 vcc_lo, v4, v2
	s_waitcnt vmcnt(0)
	v_cmp_ne_u16_e64 s2, v1, v3
	s_delay_alu instid0(VALU_DEP_1) | instskip(SKIP_3) | instid1(VALU_DEP_3)
	s_or_b32 s3, s2, vcc_lo
	v_cndmask_b32_e64 v2, v6, v5, s2
	v_cndmask_b32_e64 v5, 0, 1, s3
	v_cndmask_b32_e64 v1, v8, v7, s2
	v_mov_b32_dpp v4, v2 quad_perm:[1,0,3,2] row_mask:0xf bank_mask:0xf
	s_delay_alu instid0(VALU_DEP_3) | instskip(NEXT) | instid1(VALU_DEP_3)
	v_mov_b32_dpp v6, v5 quad_perm:[1,0,3,2] row_mask:0xf bank_mask:0xf
	v_mov_b32_dpp v3, v1 quad_perm:[1,0,3,2] row_mask:0xf bank_mask:0xf
	s_delay_alu instid0(VALU_DEP_2) | instskip(NEXT) | instid1(VALU_DEP_1)
	v_and_b32_e32 v7, 1, v6
	v_cmpx_eq_u32_e32 1, v7
; %bb.133:
	v_cndmask_b32_e64 v5, v6, 1, s3
	s_delay_alu instid0(VALU_DEP_4) | instskip(NEXT) | instid1(VALU_DEP_2)
	v_cmp_lt_i64_e32 vcc_lo, v[1:2], v[3:4]
	v_and_b32_e32 v6, 1, v5
	v_and_b32_e32 v5, 0xff, v5
	s_and_b32 vcc_lo, s3, vcc_lo
	s_and_not1_b32 s3, s3, exec_lo
	v_dual_cndmask_b32 v2, v4, v2 :: v_dual_cndmask_b32 v1, v3, v1
	v_cmp_eq_u32_e64 s2, 1, v6
	s_delay_alu instid0(VALU_DEP_1) | instskip(NEXT) | instid1(SALU_CYCLE_1)
	s_and_b32 s2, s2, exec_lo
	s_or_b32 s3, s3, s2
; %bb.134:
	s_or_b32 exec_lo, exec_lo, s23
	v_mov_b32_dpp v6, v5 quad_perm:[2,3,0,1] row_mask:0xf bank_mask:0xf
	v_mov_b32_dpp v3, v1 quad_perm:[2,3,0,1] row_mask:0xf bank_mask:0xf
	;; [unrolled: 1-line block ×3, first 2 shown]
	s_mov_b32 s23, exec_lo
	s_delay_alu instid0(VALU_DEP_3) | instskip(NEXT) | instid1(VALU_DEP_1)
	v_and_b32_e32 v7, 1, v6
	v_cmpx_eq_u32_e32 1, v7
; %bb.135:
	v_cndmask_b32_e64 v5, v6, 1, s3
	v_cmp_lt_i64_e32 vcc_lo, v[1:2], v[3:4]
	s_delay_alu instid0(VALU_DEP_2)
	v_and_b32_e32 v6, 1, v5
	v_and_b32_e32 v5, 0xff, v5
	s_and_b32 vcc_lo, s3, vcc_lo
	s_and_not1_b32 s3, s3, exec_lo
	v_dual_cndmask_b32 v2, v4, v2 :: v_dual_cndmask_b32 v1, v3, v1
	v_cmp_eq_u32_e64 s2, 1, v6
	s_delay_alu instid0(VALU_DEP_1) | instskip(NEXT) | instid1(SALU_CYCLE_1)
	s_and_b32 s2, s2, exec_lo
	s_or_b32 s3, s3, s2
; %bb.136:
	s_or_b32 exec_lo, exec_lo, s23
	v_mov_b32_dpp v6, v5 row_ror:4 row_mask:0xf bank_mask:0xf
	v_mov_b32_dpp v3, v1 row_ror:4 row_mask:0xf bank_mask:0xf
	;; [unrolled: 1-line block ×3, first 2 shown]
	s_mov_b32 s23, exec_lo
	s_delay_alu instid0(VALU_DEP_3) | instskip(NEXT) | instid1(VALU_DEP_1)
	v_and_b32_e32 v7, 1, v6
	v_cmpx_eq_u32_e32 1, v7
; %bb.137:
	v_cndmask_b32_e64 v5, v6, 1, s3
	v_cmp_lt_i64_e32 vcc_lo, v[1:2], v[3:4]
	s_delay_alu instid0(VALU_DEP_2)
	v_and_b32_e32 v6, 1, v5
	v_and_b32_e32 v5, 0xff, v5
	s_and_b32 vcc_lo, s3, vcc_lo
	s_and_not1_b32 s3, s3, exec_lo
	v_dual_cndmask_b32 v2, v4, v2 :: v_dual_cndmask_b32 v1, v3, v1
	v_cmp_eq_u32_e64 s2, 1, v6
	s_delay_alu instid0(VALU_DEP_1) | instskip(NEXT) | instid1(SALU_CYCLE_1)
	s_and_b32 s2, s2, exec_lo
	s_or_b32 s3, s3, s2
; %bb.138:
	s_or_b32 exec_lo, exec_lo, s23
	v_mov_b32_dpp v6, v5 row_ror:8 row_mask:0xf bank_mask:0xf
	v_mov_b32_dpp v3, v1 row_ror:8 row_mask:0xf bank_mask:0xf
	;; [unrolled: 1-line block ×3, first 2 shown]
	s_mov_b32 s23, exec_lo
	s_delay_alu instid0(VALU_DEP_3) | instskip(NEXT) | instid1(VALU_DEP_1)
	v_and_b32_e32 v7, 1, v6
	v_cmpx_eq_u32_e32 1, v7
; %bb.139:
	v_cndmask_b32_e64 v5, v6, 1, s3
	v_cmp_lt_i64_e32 vcc_lo, v[1:2], v[3:4]
	s_delay_alu instid0(VALU_DEP_2)
	v_and_b32_e32 v6, 1, v5
	v_and_b32_e32 v5, 0xff, v5
	s_and_b32 vcc_lo, s3, vcc_lo
	s_and_not1_b32 s3, s3, exec_lo
	v_dual_cndmask_b32 v2, v4, v2 :: v_dual_cndmask_b32 v1, v3, v1
	v_cmp_eq_u32_e64 s2, 1, v6
	s_delay_alu instid0(VALU_DEP_1) | instskip(NEXT) | instid1(SALU_CYCLE_1)
	s_and_b32 s2, s2, exec_lo
	s_or_b32 s3, s3, s2
; %bb.140:
	s_or_b32 exec_lo, exec_lo, s23
	ds_swizzle_b32 v6, v5 offset:swizzle(BROADCAST,32,15)
	ds_swizzle_b32 v3, v1 offset:swizzle(BROADCAST,32,15)
	;; [unrolled: 1-line block ×3, first 2 shown]
	s_mov_b32 s2, exec_lo
	s_waitcnt lgkmcnt(2)
	v_and_b32_e32 v7, 1, v6
	s_delay_alu instid0(VALU_DEP_1)
	v_cmpx_eq_u32_e32 1, v7
	s_cbranch_execz .LBB517_142
; %bb.141:
	s_waitcnt lgkmcnt(0)
	v_cmp_lt_i64_e32 vcc_lo, v[1:2], v[3:4]
	v_and_b32_e32 v5, 0xff, v6
	s_delay_alu instid0(VALU_DEP_1)
	v_cndmask_b32_e64 v5, v5, 1, s3
	s_and_b32 vcc_lo, s3, vcc_lo
	v_dual_cndmask_b32 v1, v3, v1 :: v_dual_cndmask_b32 v2, v4, v2
.LBB517_142:
	s_or_b32 exec_lo, exec_lo, s2
	s_waitcnt lgkmcnt(1)
	v_mov_b32_e32 v3, 0
	s_mov_b32 s2, exec_lo
	ds_bpermute_b32 v6, v3, v5 offset:124
	ds_bpermute_b32 v1, v3, v1 offset:124
	;; [unrolled: 1-line block ×3, first 2 shown]
	v_mbcnt_lo_u32_b32 v3, -1, 0
	s_delay_alu instid0(VALU_DEP_1)
	v_cmpx_eq_u32_e32 0, v3
	s_cbranch_execz .LBB517_144
; %bb.143:
	s_waitcnt lgkmcnt(3)
	v_lshrrev_b32_e32 v4, 1, v0
	s_delay_alu instid0(VALU_DEP_1)
	v_and_b32_e32 v4, 0x70, v4
	s_waitcnt lgkmcnt(2)
	ds_store_b8 v4, v6 offset:128
	s_waitcnt lgkmcnt(1)
	ds_store_b64 v4, v[1:2] offset:136
.LBB517_144:
	s_or_b32 exec_lo, exec_lo, s2
	s_delay_alu instid0(SALU_CYCLE_1)
	s_mov_b32 s23, exec_lo
	s_waitcnt lgkmcnt(0)
	s_barrier
	buffer_gl0_inv
	v_cmpx_gt_u32_e32 32, v0
	s_cbranch_execz .LBB517_146
; %bb.145:
	v_and_b32_e32 v6, 7, v3
	s_delay_alu instid0(VALU_DEP_1)
	v_lshlrev_b32_e32 v1, 4, v6
	v_cmp_ne_u32_e32 vcc_lo, 7, v6
	ds_load_u8 v7, v1 offset:128
	ds_load_b64 v[1:2], v1 offset:136
	v_add_co_ci_u32_e32 v4, vcc_lo, 0, v3, vcc_lo
	v_cmp_gt_u32_e32 vcc_lo, 6, v6
	s_delay_alu instid0(VALU_DEP_2)
	v_lshlrev_b32_e32 v5, 2, v4
	v_cndmask_b32_e64 v10, 0, 1, vcc_lo
	s_waitcnt lgkmcnt(1)
	v_and_b32_e32 v4, 0xff, v7
	v_and_b32_e32 v11, 1, v7
	ds_bpermute_b32 v8, v5, v4
	s_waitcnt lgkmcnt(1)
	ds_bpermute_b32 v4, v5, v1
	ds_bpermute_b32 v5, v5, v2
	v_cmp_eq_u32_e64 s3, 1, v11
	s_waitcnt lgkmcnt(2)
	v_and_b32_e32 v9, 1, v8
	s_waitcnt lgkmcnt(0)
	v_cmp_lt_i64_e64 s2, v[4:5], v[1:2]
	s_delay_alu instid0(VALU_DEP_2) | instskip(SKIP_2) | instid1(VALU_DEP_4)
	v_cmp_eq_u32_e32 vcc_lo, 1, v9
	v_lshlrev_b32_e32 v9, 1, v10
	v_cndmask_b32_e64 v7, v7, 1, vcc_lo
	s_and_b32 vcc_lo, vcc_lo, s2
	v_dual_cndmask_b32 v1, v1, v4 :: v_dual_cndmask_b32 v2, v2, v5
	s_delay_alu instid0(VALU_DEP_2) | instskip(SKIP_2) | instid1(VALU_DEP_4)
	v_cndmask_b32_e64 v7, v8, v7, s3
	v_add_lshl_u32 v8, v9, v3, 2
	v_cmp_gt_u32_e32 vcc_lo, 4, v6
	v_cndmask_b32_e64 v1, v4, v1, s3
	v_cndmask_b32_e64 v2, v5, v2, s3
	v_and_b32_e32 v9, 0xff, v7
	v_and_b32_e32 v10, 1, v7
	v_cndmask_b32_e64 v6, 0, 1, vcc_lo
	ds_bpermute_b32 v4, v8, v1
	ds_bpermute_b32 v5, v8, v2
	;; [unrolled: 1-line block ×3, first 2 shown]
	v_cmp_eq_u32_e64 s3, 1, v10
	s_waitcnt lgkmcnt(1)
	v_cmp_lt_i64_e64 s2, v[4:5], v[1:2]
	s_waitcnt lgkmcnt(0)
	v_and_b32_e32 v8, 1, v9
	s_delay_alu instid0(VALU_DEP_1) | instskip(SKIP_1) | instid1(VALU_DEP_4)
	v_cmp_eq_u32_e32 vcc_lo, 1, v8
	v_cndmask_b32_e64 v7, v7, 1, vcc_lo
	s_and_b32 vcc_lo, vcc_lo, s2
	v_dual_cndmask_b32 v1, v1, v4 :: v_dual_cndmask_b32 v2, v2, v5
	s_delay_alu instid0(VALU_DEP_2) | instskip(NEXT) | instid1(VALU_DEP_2)
	v_cndmask_b32_e64 v7, v9, v7, s3
	v_cndmask_b32_e64 v1, v4, v1, s3
	v_lshlrev_b32_e32 v6, 2, v6
	s_delay_alu instid0(VALU_DEP_4) | instskip(NEXT) | instid1(VALU_DEP_2)
	v_cndmask_b32_e64 v2, v5, v2, s3
	v_add_lshl_u32 v6, v6, v3, 2
	v_and_b32_e32 v3, 0xff, v7
	ds_bpermute_b32 v4, v6, v2
	ds_bpermute_b32 v5, v6, v3
	;; [unrolled: 1-line block ×3, first 2 shown]
	s_waitcnt lgkmcnt(1)
	v_and_b32_e32 v6, 1, v5
	s_waitcnt lgkmcnt(0)
	v_cmp_lt_i64_e32 vcc_lo, v[3:4], v[1:2]
	s_delay_alu instid0(VALU_DEP_2) | instskip(SKIP_1) | instid1(VALU_DEP_2)
	v_cmp_eq_u32_e64 s2, 1, v6
	v_and_b32_e32 v6, 1, v7
	v_cndmask_b32_e64 v7, v7, 1, s2
	s_and_b32 vcc_lo, s2, vcc_lo
	s_delay_alu instid0(VALU_DEP_2) | instskip(SKIP_1) | instid1(VALU_DEP_2)
	v_cmp_eq_u32_e64 s2, 1, v6
	v_dual_cndmask_b32 v1, v1, v3 :: v_dual_cndmask_b32 v2, v2, v4
	v_cndmask_b32_e64 v5, v5, v7, s2
	s_delay_alu instid0(VALU_DEP_2) | instskip(NEXT) | instid1(VALU_DEP_3)
	v_cndmask_b32_e64 v1, v3, v1, s2
	v_cndmask_b32_e64 v2, v4, v2, s2
	s_delay_alu instid0(VALU_DEP_3)
	v_and_b32_e32 v6, 0xff, v5
.LBB517_146:
	s_or_b32 exec_lo, exec_lo, s23
	s_branch .LBB517_177
.LBB517_147:
                                        ; implicit-def: $vgpr3_vgpr4
                                        ; implicit-def: $vgpr5
	s_cbranch_execnz .LBB517_182
	s_branch .LBB517_200
.LBB517_148:
                                        ; implicit-def: $vgpr3_vgpr4
                                        ; implicit-def: $vgpr5
	s_branch .LBB517_200
.LBB517_149:
                                        ; implicit-def: $vgpr1_vgpr2
                                        ; implicit-def: $vgpr6
	s_cbranch_execz .LBB517_177
; %bb.150:
	s_waitcnt lgkmcnt(0)
	v_mov_b32_e32 v3, 0
	v_dual_mov_b32 v4, 0 :: v_dual_mov_b32 v5, 0
	s_delay_alu instid0(VALU_DEP_2) | instskip(SKIP_2) | instid1(VALU_DEP_3)
	v_mov_b32_e32 v1, v3
	v_mov_b32_e32 v7, 0
	s_sub_i32 s3, s14, s8
	v_mov_b32_e32 v2, v4
	s_mov_b32 s2, exec_lo
	v_cmpx_gt_u32_e64 s3, v0
	s_cbranch_execz .LBB517_152
; %bb.151:
	v_lshlrev_b32_e32 v1, 1, v0
	s_clause 0x1
	global_load_u16 v6, v1, s[4:5]
	global_load_u16 v7, v1, s[6:7]
	v_add_co_u32 v1, s8, s9, v0
	s_delay_alu instid0(VALU_DEP_1)
	v_add_co_ci_u32_e64 v2, null, s22, 0, s8
	s_waitcnt vmcnt(0)
	v_cmp_ne_u16_e32 vcc_lo, v6, v7
	v_cndmask_b32_e64 v7, 0, 1, vcc_lo
.LBB517_152:
	s_or_b32 exec_lo, exec_lo, s2
	v_or_b32_e32 v6, 0x100, v0
	s_delay_alu instid0(VALU_DEP_1)
	v_cmp_gt_u32_e32 vcc_lo, s3, v6
	s_and_saveexec_b32 s8, vcc_lo
	s_cbranch_execz .LBB517_154
; %bb.153:
	v_lshlrev_b32_e32 v3, 1, v0
	s_clause 0x1
	global_load_u16 v5, v3, s[4:5] offset:512
	global_load_u16 v8, v3, s[6:7] offset:512
	v_add_co_u32 v3, s2, s9, v6
	s_delay_alu instid0(VALU_DEP_1) | instskip(SKIP_2) | instid1(VALU_DEP_1)
	v_add_co_ci_u32_e64 v4, null, s22, 0, s2
	s_waitcnt vmcnt(0)
	v_cmp_ne_u16_e64 s2, v5, v8
	v_cndmask_b32_e64 v5, 0, 1, s2
.LBB517_154:
	s_or_b32 exec_lo, exec_lo, s8
	s_and_saveexec_b32 s4, vcc_lo
; %bb.155:
	s_delay_alu instid0(VALU_DEP_1) | instskip(SKIP_1) | instid1(VALU_DEP_2)
	v_and_b32_e32 v6, 1, v5
	v_cmp_lt_i64_e32 vcc_lo, v[3:4], v[1:2]
	v_cmp_eq_u32_e64 s2, 1, v6
	s_delay_alu instid0(VALU_DEP_1) | instskip(SKIP_4) | instid1(VALU_DEP_3)
	s_and_b32 vcc_lo, s2, vcc_lo
	v_cndmask_b32_e32 v1, v1, v3, vcc_lo
	v_and_b32_e32 v6, 1, v7
	v_cndmask_b32_e64 v7, v7, 1, s2
	v_cndmask_b32_e32 v2, v2, v4, vcc_lo
	v_cmp_eq_u32_e32 vcc_lo, 1, v6
	s_delay_alu instid0(VALU_DEP_2)
	v_dual_cndmask_b32 v7, v5, v7 :: v_dual_cndmask_b32 v2, v4, v2
	v_cndmask_b32_e32 v1, v3, v1, vcc_lo
; %bb.156:
	s_or_b32 exec_lo, exec_lo, s4
	v_mbcnt_lo_u32_b32 v5, -1, 0
	s_delay_alu instid0(VALU_DEP_3)
	v_and_b32_e32 v6, 0xffff, v7
	v_and_b32_e32 v8, 0xe0, v0
	s_min_u32 s3, s3, 0x100
	s_mov_b32 s4, exec_lo
	v_cmp_ne_u32_e32 vcc_lo, 31, v5
	v_add_nc_u32_e32 v10, 1, v5
	v_sub_nc_u32_e64 v8, s3, v8 clamp
	v_add_co_ci_u32_e32 v3, vcc_lo, 0, v5, vcc_lo
	s_delay_alu instid0(VALU_DEP_1)
	v_lshlrev_b32_e32 v4, 2, v3
	ds_bpermute_b32 v9, v4, v6
	ds_bpermute_b32 v3, v4, v1
	ds_bpermute_b32 v4, v4, v2
	v_cmpx_lt_u32_e64 v10, v8
	s_cbranch_execz .LBB517_158
; %bb.157:
	s_waitcnt lgkmcnt(2)
	v_and_b32_e32 v6, 1, v9
	s_waitcnt lgkmcnt(0)
	v_cmp_lt_i64_e32 vcc_lo, v[3:4], v[1:2]
	s_delay_alu instid0(VALU_DEP_2) | instskip(SKIP_1) | instid1(VALU_DEP_2)
	v_cmp_eq_u32_e64 s2, 1, v6
	v_and_b32_e32 v6, 1, v7
	v_cndmask_b32_e64 v7, v7, 1, s2
	s_and_b32 vcc_lo, s2, vcc_lo
	s_delay_alu instid0(VALU_DEP_2) | instskip(SKIP_1) | instid1(VALU_DEP_2)
	v_cmp_eq_u32_e64 s2, 1, v6
	v_dual_cndmask_b32 v1, v1, v3 :: v_dual_cndmask_b32 v2, v2, v4
	v_cndmask_b32_e64 v7, v9, v7, s2
	s_delay_alu instid0(VALU_DEP_2) | instskip(NEXT) | instid1(VALU_DEP_3)
	v_cndmask_b32_e64 v1, v3, v1, s2
	v_cndmask_b32_e64 v2, v4, v2, s2
	s_delay_alu instid0(VALU_DEP_3)
	v_and_b32_e32 v6, 0xff, v7
.LBB517_158:
	s_or_b32 exec_lo, exec_lo, s4
	v_cmp_gt_u32_e32 vcc_lo, 30, v5
	v_add_nc_u32_e32 v10, 2, v5
	s_mov_b32 s4, exec_lo
	s_waitcnt lgkmcnt(1)
	v_cndmask_b32_e64 v3, 0, 1, vcc_lo
	s_delay_alu instid0(VALU_DEP_1) | instskip(SKIP_1) | instid1(VALU_DEP_1)
	v_lshlrev_b32_e32 v3, 1, v3
	s_waitcnt lgkmcnt(0)
	v_add_lshl_u32 v4, v3, v5, 2
	ds_bpermute_b32 v9, v4, v6
	ds_bpermute_b32 v3, v4, v1
	ds_bpermute_b32 v4, v4, v2
	v_cmpx_lt_u32_e64 v10, v8
	s_cbranch_execz .LBB517_160
; %bb.159:
	s_waitcnt lgkmcnt(2)
	v_and_b32_e32 v6, 1, v9
	s_waitcnt lgkmcnt(0)
	v_cmp_lt_i64_e32 vcc_lo, v[3:4], v[1:2]
	s_delay_alu instid0(VALU_DEP_2) | instskip(SKIP_1) | instid1(VALU_DEP_2)
	v_cmp_eq_u32_e64 s2, 1, v6
	v_and_b32_e32 v6, 1, v7
	v_cndmask_b32_e64 v7, v7, 1, s2
	s_and_b32 vcc_lo, s2, vcc_lo
	s_delay_alu instid0(VALU_DEP_2) | instskip(SKIP_1) | instid1(VALU_DEP_2)
	v_cmp_eq_u32_e64 s2, 1, v6
	v_dual_cndmask_b32 v1, v1, v3 :: v_dual_cndmask_b32 v2, v2, v4
	v_cndmask_b32_e64 v7, v9, v7, s2
	s_delay_alu instid0(VALU_DEP_2) | instskip(NEXT) | instid1(VALU_DEP_3)
	v_cndmask_b32_e64 v1, v3, v1, s2
	v_cndmask_b32_e64 v2, v4, v2, s2
	s_delay_alu instid0(VALU_DEP_3)
	v_and_b32_e32 v6, 0xff, v7
.LBB517_160:
	s_or_b32 exec_lo, exec_lo, s4
	v_cmp_gt_u32_e32 vcc_lo, 28, v5
	v_add_nc_u32_e32 v10, 4, v5
	s_mov_b32 s4, exec_lo
	s_waitcnt lgkmcnt(1)
	v_cndmask_b32_e64 v3, 0, 1, vcc_lo
	s_delay_alu instid0(VALU_DEP_1) | instskip(SKIP_1) | instid1(VALU_DEP_1)
	v_lshlrev_b32_e32 v3, 2, v3
	s_waitcnt lgkmcnt(0)
	v_add_lshl_u32 v4, v3, v5, 2
	;; [unrolled: 35-line block ×4, first 2 shown]
	ds_bpermute_b32 v9, v4, v6
	ds_bpermute_b32 v3, v4, v1
	;; [unrolled: 1-line block ×3, first 2 shown]
	v_cmpx_lt_u32_e64 v10, v8
	s_cbranch_execz .LBB517_166
; %bb.165:
	s_waitcnt lgkmcnt(2)
	v_and_b32_e32 v6, 1, v9
	s_waitcnt lgkmcnt(0)
	v_cmp_lt_i64_e32 vcc_lo, v[3:4], v[1:2]
	s_delay_alu instid0(VALU_DEP_2) | instskip(SKIP_1) | instid1(VALU_DEP_2)
	v_cmp_eq_u32_e64 s2, 1, v6
	v_and_b32_e32 v6, 1, v7
	v_cndmask_b32_e64 v7, v7, 1, s2
	s_and_b32 vcc_lo, s2, vcc_lo
	s_delay_alu instid0(VALU_DEP_2) | instskip(SKIP_1) | instid1(VALU_DEP_2)
	v_cmp_eq_u32_e64 s2, 1, v6
	v_dual_cndmask_b32 v1, v1, v3 :: v_dual_cndmask_b32 v2, v2, v4
	v_cndmask_b32_e64 v7, v9, v7, s2
	s_delay_alu instid0(VALU_DEP_2) | instskip(NEXT) | instid1(VALU_DEP_3)
	v_cndmask_b32_e64 v1, v3, v1, s2
	v_cndmask_b32_e64 v2, v4, v2, s2
	s_delay_alu instid0(VALU_DEP_3)
	v_and_b32_e32 v6, 0xff, v7
.LBB517_166:
	s_or_b32 exec_lo, exec_lo, s4
	s_delay_alu instid0(SALU_CYCLE_1)
	s_mov_b32 s2, exec_lo
	v_cmpx_eq_u32_e32 0, v5
	s_cbranch_execz .LBB517_168
; %bb.167:
	s_waitcnt lgkmcnt(1)
	v_lshrrev_b32_e32 v3, 1, v0
	s_delay_alu instid0(VALU_DEP_1)
	v_and_b32_e32 v3, 0x70, v3
	ds_store_b8 v3, v7 offset:512
	ds_store_b64 v3, v[1:2] offset:520
.LBB517_168:
	s_or_b32 exec_lo, exec_lo, s2
	s_delay_alu instid0(SALU_CYCLE_1)
	s_mov_b32 s4, exec_lo
	s_waitcnt lgkmcnt(0)
	s_barrier
	buffer_gl0_inv
	v_cmpx_gt_u32_e32 8, v0
	s_cbranch_execz .LBB517_176
; %bb.169:
	v_lshlrev_b32_e32 v1, 4, v5
	v_and_b32_e32 v8, 7, v5
	s_add_i32 s3, s3, 31
	s_mov_b32 s5, exec_lo
	s_lshr_b32 s3, s3, 5
	ds_load_u8 v7, v1 offset:512
	ds_load_b64 v[1:2], v1 offset:520
	v_cmp_ne_u32_e32 vcc_lo, 7, v8
	v_add_nc_u32_e32 v10, 1, v8
	v_add_co_ci_u32_e32 v3, vcc_lo, 0, v5, vcc_lo
	s_delay_alu instid0(VALU_DEP_1)
	v_lshlrev_b32_e32 v4, 2, v3
	s_waitcnt lgkmcnt(1)
	v_and_b32_e32 v6, 0xff, v7
	s_waitcnt lgkmcnt(0)
	ds_bpermute_b32 v3, v4, v1
	ds_bpermute_b32 v9, v4, v6
	;; [unrolled: 1-line block ×3, first 2 shown]
	v_cmpx_gt_u32_e64 s3, v10
	s_cbranch_execz .LBB517_171
; %bb.170:
	s_waitcnt lgkmcnt(1)
	v_and_b32_e32 v6, 1, v9
	s_waitcnt lgkmcnt(0)
	v_cmp_lt_i64_e32 vcc_lo, v[3:4], v[1:2]
	s_delay_alu instid0(VALU_DEP_2) | instskip(SKIP_1) | instid1(VALU_DEP_2)
	v_cmp_eq_u32_e64 s2, 1, v6
	v_and_b32_e32 v6, 1, v7
	v_cndmask_b32_e64 v7, v7, 1, s2
	s_and_b32 vcc_lo, s2, vcc_lo
	s_delay_alu instid0(VALU_DEP_2) | instskip(SKIP_1) | instid1(VALU_DEP_2)
	v_cmp_eq_u32_e64 s2, 1, v6
	v_dual_cndmask_b32 v1, v1, v3 :: v_dual_cndmask_b32 v2, v2, v4
	v_cndmask_b32_e64 v7, v9, v7, s2
	s_delay_alu instid0(VALU_DEP_2) | instskip(NEXT) | instid1(VALU_DEP_3)
	v_cndmask_b32_e64 v1, v3, v1, s2
	v_cndmask_b32_e64 v2, v4, v2, s2
	s_delay_alu instid0(VALU_DEP_3)
	v_and_b32_e32 v6, 0xff, v7
.LBB517_171:
	s_or_b32 exec_lo, exec_lo, s5
	v_cmp_gt_u32_e32 vcc_lo, 6, v8
	v_add_nc_u32_e32 v10, 2, v8
	s_mov_b32 s5, exec_lo
	s_waitcnt lgkmcnt(2)
	v_cndmask_b32_e64 v3, 0, 1, vcc_lo
	s_delay_alu instid0(VALU_DEP_1) | instskip(SKIP_1) | instid1(VALU_DEP_1)
	v_lshlrev_b32_e32 v3, 1, v3
	s_waitcnt lgkmcnt(0)
	v_add_lshl_u32 v4, v3, v5, 2
	ds_bpermute_b32 v9, v4, v6
	ds_bpermute_b32 v3, v4, v1
	;; [unrolled: 1-line block ×3, first 2 shown]
	v_cmpx_gt_u32_e64 s3, v10
	s_cbranch_execz .LBB517_173
; %bb.172:
	s_waitcnt lgkmcnt(2)
	v_and_b32_e32 v6, 1, v9
	s_waitcnt lgkmcnt(0)
	v_cmp_lt_i64_e32 vcc_lo, v[3:4], v[1:2]
	s_delay_alu instid0(VALU_DEP_2) | instskip(SKIP_1) | instid1(VALU_DEP_2)
	v_cmp_eq_u32_e64 s2, 1, v6
	v_and_b32_e32 v6, 1, v7
	v_cndmask_b32_e64 v7, v7, 1, s2
	s_and_b32 vcc_lo, s2, vcc_lo
	s_delay_alu instid0(VALU_DEP_2) | instskip(SKIP_1) | instid1(VALU_DEP_2)
	v_cmp_eq_u32_e64 s2, 1, v6
	v_dual_cndmask_b32 v1, v1, v3 :: v_dual_cndmask_b32 v2, v2, v4
	v_cndmask_b32_e64 v7, v9, v7, s2
	s_delay_alu instid0(VALU_DEP_2) | instskip(NEXT) | instid1(VALU_DEP_3)
	v_cndmask_b32_e64 v1, v3, v1, s2
	v_cndmask_b32_e64 v2, v4, v2, s2
	s_delay_alu instid0(VALU_DEP_3)
	v_and_b32_e32 v6, 0xff, v7
.LBB517_173:
	s_or_b32 exec_lo, exec_lo, s5
	v_cmp_gt_u32_e32 vcc_lo, 4, v8
	v_add_nc_u32_e32 v8, 4, v8
	s_waitcnt lgkmcnt(1)
	v_cndmask_b32_e64 v3, 0, 1, vcc_lo
	s_delay_alu instid0(VALU_DEP_2) | instskip(NEXT) | instid1(VALU_DEP_2)
	v_cmp_gt_u32_e32 vcc_lo, s3, v8
	v_lshlrev_b32_e32 v3, 2, v3
	s_waitcnt lgkmcnt(0)
	s_delay_alu instid0(VALU_DEP_1)
	v_add_lshl_u32 v4, v3, v5, 2
	ds_bpermute_b32 v5, v4, v6
	ds_bpermute_b32 v3, v4, v1
	;; [unrolled: 1-line block ×3, first 2 shown]
	s_and_saveexec_b32 s3, vcc_lo
	s_cbranch_execz .LBB517_175
; %bb.174:
	s_waitcnt lgkmcnt(2)
	v_and_b32_e32 v6, 1, v5
	s_waitcnt lgkmcnt(0)
	v_cmp_lt_i64_e32 vcc_lo, v[3:4], v[1:2]
	s_delay_alu instid0(VALU_DEP_2) | instskip(SKIP_1) | instid1(VALU_DEP_2)
	v_cmp_eq_u32_e64 s2, 1, v6
	v_and_b32_e32 v6, 1, v7
	v_cndmask_b32_e64 v7, v7, 1, s2
	s_and_b32 vcc_lo, s2, vcc_lo
	s_delay_alu instid0(VALU_DEP_2) | instskip(SKIP_1) | instid1(VALU_DEP_2)
	v_cmp_eq_u32_e64 s2, 1, v6
	v_dual_cndmask_b32 v1, v1, v3 :: v_dual_cndmask_b32 v2, v2, v4
	v_cndmask_b32_e64 v5, v5, v7, s2
	s_delay_alu instid0(VALU_DEP_2) | instskip(NEXT) | instid1(VALU_DEP_3)
	v_cndmask_b32_e64 v1, v3, v1, s2
	v_cndmask_b32_e64 v2, v4, v2, s2
	s_delay_alu instid0(VALU_DEP_3)
	v_and_b32_e32 v6, 0xff, v5
.LBB517_175:
	s_or_b32 exec_lo, exec_lo, s3
.LBB517_176:
	s_delay_alu instid0(SALU_CYCLE_1)
	s_or_b32 exec_lo, exec_lo, s4
.LBB517_177:
                                        ; implicit-def: $vgpr3_vgpr4
                                        ; implicit-def: $vgpr5
	s_delay_alu instid0(SALU_CYCLE_1)
	s_mov_b32 s2, exec_lo
	v_cmpx_eq_u32_e32 0, v0
	s_xor_b32 s4, exec_lo, s2
	s_cbranch_execz .LBB517_181
; %bb.178:
	s_waitcnt lgkmcnt(0)
	v_dual_mov_b32 v3, s20 :: v_dual_mov_b32 v4, s21
	v_mov_b32_e32 v5, s24
	s_cmp_eq_u64 s[14:15], 0
	s_cbranch_scc1 .LBB517_180
; %bb.179:
	v_and_b32_e32 v3, 1, v6
	v_cmp_gt_i64_e32 vcc_lo, s[20:21], v[1:2]
	s_bitcmp1_b32 s24, 0
	s_cselect_b32 s3, -1, 0
	s_delay_alu instid0(VALU_DEP_2) | instskip(NEXT) | instid1(VALU_DEP_1)
	v_cmp_eq_u32_e64 s2, 1, v3
	s_and_b32 vcc_lo, s2, vcc_lo
	v_cndmask_b32_e64 v3, s24, 1, s2
	v_cndmask_b32_e32 v7, s20, v1, vcc_lo
	v_cndmask_b32_e32 v4, s21, v2, vcc_lo
	s_delay_alu instid0(VALU_DEP_3) | instskip(NEXT) | instid1(VALU_DEP_3)
	v_cndmask_b32_e64 v5, v6, v3, s3
	v_cndmask_b32_e64 v3, v1, v7, s3
	s_delay_alu instid0(VALU_DEP_3)
	v_cndmask_b32_e64 v4, v2, v4, s3
.LBB517_180:
	s_or_b32 s26, s26, exec_lo
.LBB517_181:
	s_or_b32 exec_lo, exec_lo, s4
	s_branch .LBB517_200
.LBB517_182:
	s_cmp_eq_u32 s25, 1
	s_cbranch_scc0 .LBB517_199
; %bb.183:
	s_mov_b32 s5, 0
	s_lshr_b64 s[2:3], s[14:15], 8
	s_mov_b32 s11, s5
	s_lshl_b32 s4, s10, 8
	s_cmp_lg_u64 s[2:3], s[10:11]
	s_cbranch_scc0 .LBB517_203
; %bb.184:
	s_lshl_b64 s[2:3], s[4:5], 1
	v_lshlrev_b32_e32 v1, 1, v0
	s_add_u32 s6, s16, s2
	s_addc_u32 s7, s17, s3
	s_add_u32 s2, s18, s2
	s_addc_u32 s3, s19, s3
	s_clause 0x1
	global_load_u16 v2, v1, s[6:7]
	global_load_u16 v1, v1, s[2:3]
	s_add_u32 s2, s12, s4
	s_addc_u32 s3, s13, 0
	s_waitcnt vmcnt(0)
	v_cmp_ne_u16_e32 vcc_lo, v2, v1
	v_cndmask_b32_e64 v1, 0, 1, vcc_lo
	v_cndmask_b32_e64 v6, 0, 1, vcc_lo
	s_waitcnt lgkmcnt(2)
	s_delay_alu instid0(VALU_DEP_2) | instskip(SKIP_1) | instid1(VALU_DEP_1)
	v_mov_b32_dpp v5, v1 quad_perm:[1,0,3,2] row_mask:0xf bank_mask:0xf
	v_add_co_u32 v1, s2, s2, v0
	v_add_co_ci_u32_e64 v2, null, s3, 0, s2
	s_delay_alu instid0(VALU_DEP_3) | instskip(SKIP_1) | instid1(VALU_DEP_3)
	v_and_b32_e32 v7, 1, v5
	s_waitcnt lgkmcnt(1)
	v_mov_b32_dpp v3, v1 quad_perm:[1,0,3,2] row_mask:0xf bank_mask:0xf
	s_mov_b32 s3, exec_lo
	s_waitcnt lgkmcnt(0)
	v_mov_b32_dpp v4, v2 quad_perm:[1,0,3,2] row_mask:0xf bank_mask:0xf
	v_cmpx_eq_u32_e32 1, v7
; %bb.185:
	s_delay_alu instid0(VALU_DEP_2) | instskip(SKIP_1) | instid1(VALU_DEP_2)
	v_cmp_lt_i64_e64 s2, v[1:2], v[3:4]
	v_cndmask_b32_e64 v6, v5, 1, vcc_lo
	s_and_b32 vcc_lo, vcc_lo, s2
	v_dual_cndmask_b32 v2, v4, v2 :: v_dual_cndmask_b32 v1, v3, v1
; %bb.186:
	s_or_b32 exec_lo, exec_lo, s3
	s_delay_alu instid0(VALU_DEP_2) | instskip(SKIP_1) | instid1(VALU_DEP_3)
	v_and_b32_e32 v5, 0xff, v6
	v_and_b32_e32 v6, 1, v6
	v_mov_b32_dpp v3, v1 quad_perm:[2,3,0,1] row_mask:0xf bank_mask:0xf
	v_mov_b32_dpp v4, v2 quad_perm:[2,3,0,1] row_mask:0xf bank_mask:0xf
	s_mov_b32 s6, exec_lo
	v_mov_b32_dpp v7, v5 quad_perm:[2,3,0,1] row_mask:0xf bank_mask:0xf
	v_cmp_eq_u32_e64 s3, 1, v6
	s_delay_alu instid0(VALU_DEP_2) | instskip(NEXT) | instid1(VALU_DEP_1)
	v_and_b32_e32 v8, 1, v7
	v_cmpx_eq_u32_e32 1, v8
; %bb.187:
	s_delay_alu instid0(VALU_DEP_3) | instskip(SKIP_1) | instid1(VALU_DEP_2)
	v_cndmask_b32_e64 v5, v7, 1, s3
	v_cmp_lt_i64_e32 vcc_lo, v[1:2], v[3:4]
	v_and_b32_e32 v6, 1, v5
	v_and_b32_e32 v5, 0xff, v5
	s_and_b32 vcc_lo, s3, vcc_lo
	s_and_not1_b32 s3, s3, exec_lo
	v_dual_cndmask_b32 v2, v4, v2 :: v_dual_cndmask_b32 v1, v3, v1
	v_cmp_eq_u32_e64 s2, 1, v6
	s_delay_alu instid0(VALU_DEP_1) | instskip(NEXT) | instid1(SALU_CYCLE_1)
	s_and_b32 s2, s2, exec_lo
	s_or_b32 s3, s3, s2
; %bb.188:
	s_or_b32 exec_lo, exec_lo, s6
	v_mov_b32_dpp v6, v5 row_ror:4 row_mask:0xf bank_mask:0xf
	v_mov_b32_dpp v3, v1 row_ror:4 row_mask:0xf bank_mask:0xf
	v_mov_b32_dpp v4, v2 row_ror:4 row_mask:0xf bank_mask:0xf
	s_mov_b32 s6, exec_lo
	s_delay_alu instid0(VALU_DEP_3) | instskip(NEXT) | instid1(VALU_DEP_1)
	v_and_b32_e32 v7, 1, v6
	v_cmpx_eq_u32_e32 1, v7
; %bb.189:
	v_cndmask_b32_e64 v5, v6, 1, s3
	v_cmp_lt_i64_e32 vcc_lo, v[1:2], v[3:4]
	s_delay_alu instid0(VALU_DEP_2)
	v_and_b32_e32 v6, 1, v5
	v_and_b32_e32 v5, 0xff, v5
	s_and_b32 vcc_lo, s3, vcc_lo
	s_and_not1_b32 s3, s3, exec_lo
	v_dual_cndmask_b32 v2, v4, v2 :: v_dual_cndmask_b32 v1, v3, v1
	v_cmp_eq_u32_e64 s2, 1, v6
	s_delay_alu instid0(VALU_DEP_1) | instskip(NEXT) | instid1(SALU_CYCLE_1)
	s_and_b32 s2, s2, exec_lo
	s_or_b32 s3, s3, s2
; %bb.190:
	s_or_b32 exec_lo, exec_lo, s6
	v_mov_b32_dpp v6, v5 row_ror:8 row_mask:0xf bank_mask:0xf
	v_mov_b32_dpp v3, v1 row_ror:8 row_mask:0xf bank_mask:0xf
	;; [unrolled: 1-line block ×3, first 2 shown]
	s_mov_b32 s6, exec_lo
	s_delay_alu instid0(VALU_DEP_3) | instskip(NEXT) | instid1(VALU_DEP_1)
	v_and_b32_e32 v7, 1, v6
	v_cmpx_eq_u32_e32 1, v7
; %bb.191:
	v_cndmask_b32_e64 v5, v6, 1, s3
	v_cmp_lt_i64_e32 vcc_lo, v[1:2], v[3:4]
	s_delay_alu instid0(VALU_DEP_2)
	v_and_b32_e32 v6, 1, v5
	v_and_b32_e32 v5, 0xff, v5
	s_and_b32 vcc_lo, s3, vcc_lo
	s_and_not1_b32 s3, s3, exec_lo
	v_dual_cndmask_b32 v2, v4, v2 :: v_dual_cndmask_b32 v1, v3, v1
	v_cmp_eq_u32_e64 s2, 1, v6
	s_delay_alu instid0(VALU_DEP_1) | instskip(NEXT) | instid1(SALU_CYCLE_1)
	s_and_b32 s2, s2, exec_lo
	s_or_b32 s3, s3, s2
; %bb.192:
	s_or_b32 exec_lo, exec_lo, s6
	ds_swizzle_b32 v6, v5 offset:swizzle(BROADCAST,32,15)
	ds_swizzle_b32 v3, v1 offset:swizzle(BROADCAST,32,15)
	;; [unrolled: 1-line block ×3, first 2 shown]
	s_mov_b32 s2, exec_lo
	s_waitcnt lgkmcnt(2)
	v_and_b32_e32 v7, 1, v6
	s_delay_alu instid0(VALU_DEP_1)
	v_cmpx_eq_u32_e32 1, v7
	s_cbranch_execz .LBB517_194
; %bb.193:
	s_waitcnt lgkmcnt(0)
	v_cmp_lt_i64_e32 vcc_lo, v[1:2], v[3:4]
	v_and_b32_e32 v5, 0xff, v6
	s_delay_alu instid0(VALU_DEP_1)
	v_cndmask_b32_e64 v5, v5, 1, s3
	s_and_b32 vcc_lo, s3, vcc_lo
	v_dual_cndmask_b32 v1, v3, v1 :: v_dual_cndmask_b32 v2, v4, v2
.LBB517_194:
	s_or_b32 exec_lo, exec_lo, s2
	s_waitcnt lgkmcnt(1)
	v_mov_b32_e32 v3, 0
	s_mov_b32 s2, exec_lo
	ds_bpermute_b32 v6, v3, v5 offset:124
	ds_bpermute_b32 v1, v3, v1 offset:124
	;; [unrolled: 1-line block ×3, first 2 shown]
	v_mbcnt_lo_u32_b32 v3, -1, 0
	s_delay_alu instid0(VALU_DEP_1)
	v_cmpx_eq_u32_e32 0, v3
	s_cbranch_execz .LBB517_196
; %bb.195:
	s_waitcnt lgkmcnt(3)
	v_lshrrev_b32_e32 v4, 1, v0
	s_delay_alu instid0(VALU_DEP_1)
	v_and_b32_e32 v4, 0x70, v4
	s_waitcnt lgkmcnt(2)
	ds_store_b8 v4, v6
	s_waitcnt lgkmcnt(1)
	ds_store_b64 v4, v[1:2] offset:8
.LBB517_196:
	s_or_b32 exec_lo, exec_lo, s2
	s_delay_alu instid0(SALU_CYCLE_1)
	s_mov_b32 s6, exec_lo
	s_waitcnt lgkmcnt(0)
	s_barrier
	buffer_gl0_inv
	v_cmpx_gt_u32_e32 32, v0
	s_cbranch_execz .LBB517_198
; %bb.197:
	v_and_b32_e32 v6, 7, v3
	s_delay_alu instid0(VALU_DEP_1)
	v_lshlrev_b32_e32 v1, 4, v6
	v_cmp_ne_u32_e32 vcc_lo, 7, v6
	ds_load_u8 v7, v1
	ds_load_b64 v[1:2], v1 offset:8
	v_add_co_ci_u32_e32 v4, vcc_lo, 0, v3, vcc_lo
	v_cmp_gt_u32_e32 vcc_lo, 6, v6
	s_delay_alu instid0(VALU_DEP_2)
	v_lshlrev_b32_e32 v5, 2, v4
	v_cndmask_b32_e64 v10, 0, 1, vcc_lo
	s_waitcnt lgkmcnt(1)
	v_and_b32_e32 v4, 0xff, v7
	v_and_b32_e32 v11, 1, v7
	ds_bpermute_b32 v8, v5, v4
	s_waitcnt lgkmcnt(1)
	ds_bpermute_b32 v4, v5, v1
	ds_bpermute_b32 v5, v5, v2
	v_cmp_eq_u32_e64 s3, 1, v11
	s_waitcnt lgkmcnt(2)
	v_and_b32_e32 v9, 1, v8
	s_waitcnt lgkmcnt(0)
	v_cmp_lt_i64_e64 s2, v[4:5], v[1:2]
	s_delay_alu instid0(VALU_DEP_2) | instskip(SKIP_2) | instid1(VALU_DEP_4)
	v_cmp_eq_u32_e32 vcc_lo, 1, v9
	v_lshlrev_b32_e32 v9, 1, v10
	v_cndmask_b32_e64 v7, v7, 1, vcc_lo
	s_and_b32 vcc_lo, vcc_lo, s2
	v_dual_cndmask_b32 v1, v1, v4 :: v_dual_cndmask_b32 v2, v2, v5
	s_delay_alu instid0(VALU_DEP_2) | instskip(SKIP_2) | instid1(VALU_DEP_4)
	v_cndmask_b32_e64 v7, v8, v7, s3
	v_add_lshl_u32 v8, v9, v3, 2
	v_cmp_gt_u32_e32 vcc_lo, 4, v6
	v_cndmask_b32_e64 v1, v4, v1, s3
	v_cndmask_b32_e64 v2, v5, v2, s3
	v_and_b32_e32 v9, 0xff, v7
	v_and_b32_e32 v10, 1, v7
	v_cndmask_b32_e64 v6, 0, 1, vcc_lo
	ds_bpermute_b32 v4, v8, v1
	ds_bpermute_b32 v5, v8, v2
	;; [unrolled: 1-line block ×3, first 2 shown]
	v_cmp_eq_u32_e64 s3, 1, v10
	s_waitcnt lgkmcnt(1)
	v_cmp_lt_i64_e64 s2, v[4:5], v[1:2]
	s_waitcnt lgkmcnt(0)
	v_and_b32_e32 v8, 1, v9
	s_delay_alu instid0(VALU_DEP_1) | instskip(SKIP_1) | instid1(VALU_DEP_4)
	v_cmp_eq_u32_e32 vcc_lo, 1, v8
	v_cndmask_b32_e64 v7, v7, 1, vcc_lo
	s_and_b32 vcc_lo, vcc_lo, s2
	v_dual_cndmask_b32 v1, v1, v4 :: v_dual_cndmask_b32 v2, v2, v5
	s_delay_alu instid0(VALU_DEP_2) | instskip(NEXT) | instid1(VALU_DEP_2)
	v_cndmask_b32_e64 v7, v9, v7, s3
	v_cndmask_b32_e64 v1, v4, v1, s3
	v_lshlrev_b32_e32 v6, 2, v6
	s_delay_alu instid0(VALU_DEP_4) | instskip(NEXT) | instid1(VALU_DEP_2)
	v_cndmask_b32_e64 v2, v5, v2, s3
	v_add_lshl_u32 v6, v6, v3, 2
	v_and_b32_e32 v3, 0xff, v7
	ds_bpermute_b32 v4, v6, v2
	ds_bpermute_b32 v5, v6, v3
	;; [unrolled: 1-line block ×3, first 2 shown]
	s_waitcnt lgkmcnt(1)
	v_and_b32_e32 v6, 1, v5
	s_waitcnt lgkmcnt(0)
	v_cmp_lt_i64_e32 vcc_lo, v[3:4], v[1:2]
	s_delay_alu instid0(VALU_DEP_2) | instskip(SKIP_1) | instid1(VALU_DEP_2)
	v_cmp_eq_u32_e64 s2, 1, v6
	v_and_b32_e32 v6, 1, v7
	v_cndmask_b32_e64 v7, v7, 1, s2
	s_and_b32 vcc_lo, s2, vcc_lo
	s_delay_alu instid0(VALU_DEP_2) | instskip(SKIP_1) | instid1(VALU_DEP_2)
	v_cmp_eq_u32_e64 s2, 1, v6
	v_dual_cndmask_b32 v1, v1, v3 :: v_dual_cndmask_b32 v2, v2, v4
	v_cndmask_b32_e64 v5, v5, v7, s2
	s_delay_alu instid0(VALU_DEP_2) | instskip(NEXT) | instid1(VALU_DEP_3)
	v_cndmask_b32_e64 v1, v3, v1, s2
	v_cndmask_b32_e64 v2, v4, v2, s2
	s_delay_alu instid0(VALU_DEP_3)
	v_and_b32_e32 v6, 0xff, v5
.LBB517_198:
	s_or_b32 exec_lo, exec_lo, s6
	s_branch .LBB517_227
.LBB517_199:
                                        ; implicit-def: $vgpr3_vgpr4
                                        ; implicit-def: $vgpr5
                                        ; implicit-def: $sgpr10_sgpr11
.LBB517_200:
	s_and_saveexec_b32 s2, s26
	s_cbranch_execz .LBB517_202
.LBB517_201:
	s_load_b64 s[0:1], s[0:1], 0x38
	s_lshl_b64 s[2:3], s[10:11], 4
	v_mov_b32_e32 v0, 0
	s_waitcnt lgkmcnt(0)
	s_add_u32 s0, s0, s2
	s_addc_u32 s1, s1, s3
	s_clause 0x1
	global_store_b8 v0, v5, s[0:1]
	global_store_b64 v0, v[3:4], s[0:1] offset:8
.LBB517_202:
	s_nop 0
	s_sendmsg sendmsg(MSG_DEALLOC_VGPRS)
	s_endpgm
.LBB517_203:
                                        ; implicit-def: $vgpr1_vgpr2
                                        ; implicit-def: $vgpr6
	s_cbranch_execz .LBB517_227
; %bb.204:
	v_mov_b32_e32 v1, 0
	v_dual_mov_b32 v2, 0 :: v_dual_mov_b32 v7, 0
	s_sub_i32 s2, s14, s4
	s_mov_b32 s3, exec_lo
	v_cmpx_gt_u32_e64 s2, v0
	s_cbranch_execz .LBB517_206
; %bb.205:
	s_lshl_b64 s[6:7], s[4:5], 1
	v_lshlrev_b32_e32 v1, 1, v0
	s_add_u32 s8, s18, s6
	s_addc_u32 s9, s19, s7
	s_add_u32 s6, s16, s6
	s_addc_u32 s7, s17, s7
	s_add_u32 s4, s12, s4
	s_waitcnt lgkmcnt(1)
	global_load_u16 v3, v1, s[6:7]
	s_waitcnt lgkmcnt(0)
	global_load_u16 v4, v1, s[8:9]
	s_addc_u32 s5, s13, 0
	v_add_co_u32 v1, s4, s4, v0
	s_delay_alu instid0(VALU_DEP_1)
	v_add_co_ci_u32_e64 v2, null, s5, 0, s4
	s_waitcnt vmcnt(0)
	v_cmp_ne_u16_e32 vcc_lo, v3, v4
	v_cndmask_b32_e64 v7, 0, 1, vcc_lo
.LBB517_206:
	s_or_b32 exec_lo, exec_lo, s3
	s_waitcnt lgkmcnt(2)
	v_mbcnt_lo_u32_b32 v5, -1, 0
	s_delay_alu instid0(VALU_DEP_2)
	v_and_b32_e32 v6, 0xffff, v7
	v_and_b32_e32 v8, 0xe0, v0
	s_min_u32 s3, s2, 0x100
	s_mov_b32 s4, exec_lo
	v_cmp_ne_u32_e32 vcc_lo, 31, v5
	v_add_nc_u32_e32 v10, 1, v5
	v_sub_nc_u32_e64 v8, s3, v8 clamp
	s_waitcnt lgkmcnt(1)
	v_add_co_ci_u32_e32 v3, vcc_lo, 0, v5, vcc_lo
	s_waitcnt lgkmcnt(0)
	s_delay_alu instid0(VALU_DEP_1)
	v_lshlrev_b32_e32 v4, 2, v3
	ds_bpermute_b32 v9, v4, v6
	ds_bpermute_b32 v3, v4, v1
	ds_bpermute_b32 v4, v4, v2
	v_cmpx_lt_u32_e64 v10, v8
	s_cbranch_execz .LBB517_208
; %bb.207:
	s_waitcnt lgkmcnt(2)
	v_and_b32_e32 v6, 1, v9
	s_waitcnt lgkmcnt(0)
	v_cmp_lt_i64_e32 vcc_lo, v[3:4], v[1:2]
	s_delay_alu instid0(VALU_DEP_2) | instskip(SKIP_1) | instid1(VALU_DEP_2)
	v_cmp_eq_u32_e64 s2, 1, v6
	v_and_b32_e32 v6, 1, v7
	v_cndmask_b32_e64 v7, v7, 1, s2
	s_and_b32 vcc_lo, s2, vcc_lo
	s_delay_alu instid0(VALU_DEP_2) | instskip(SKIP_1) | instid1(VALU_DEP_2)
	v_cmp_eq_u32_e64 s2, 1, v6
	v_dual_cndmask_b32 v1, v1, v3 :: v_dual_cndmask_b32 v2, v2, v4
	v_cndmask_b32_e64 v7, v9, v7, s2
	s_delay_alu instid0(VALU_DEP_2) | instskip(NEXT) | instid1(VALU_DEP_3)
	v_cndmask_b32_e64 v1, v3, v1, s2
	v_cndmask_b32_e64 v2, v4, v2, s2
	s_delay_alu instid0(VALU_DEP_3)
	v_and_b32_e32 v6, 0xff, v7
.LBB517_208:
	s_or_b32 exec_lo, exec_lo, s4
	v_cmp_gt_u32_e32 vcc_lo, 30, v5
	v_add_nc_u32_e32 v10, 2, v5
	s_mov_b32 s4, exec_lo
	s_waitcnt lgkmcnt(1)
	v_cndmask_b32_e64 v3, 0, 1, vcc_lo
	s_delay_alu instid0(VALU_DEP_1) | instskip(SKIP_1) | instid1(VALU_DEP_1)
	v_lshlrev_b32_e32 v3, 1, v3
	s_waitcnt lgkmcnt(0)
	v_add_lshl_u32 v4, v3, v5, 2
	ds_bpermute_b32 v9, v4, v6
	ds_bpermute_b32 v3, v4, v1
	ds_bpermute_b32 v4, v4, v2
	v_cmpx_lt_u32_e64 v10, v8
	s_cbranch_execz .LBB517_210
; %bb.209:
	s_waitcnt lgkmcnt(2)
	v_and_b32_e32 v6, 1, v9
	s_waitcnt lgkmcnt(0)
	v_cmp_lt_i64_e32 vcc_lo, v[3:4], v[1:2]
	s_delay_alu instid0(VALU_DEP_2) | instskip(SKIP_1) | instid1(VALU_DEP_2)
	v_cmp_eq_u32_e64 s2, 1, v6
	v_and_b32_e32 v6, 1, v7
	v_cndmask_b32_e64 v7, v7, 1, s2
	s_and_b32 vcc_lo, s2, vcc_lo
	s_delay_alu instid0(VALU_DEP_2) | instskip(SKIP_1) | instid1(VALU_DEP_2)
	v_cmp_eq_u32_e64 s2, 1, v6
	v_dual_cndmask_b32 v1, v1, v3 :: v_dual_cndmask_b32 v2, v2, v4
	v_cndmask_b32_e64 v7, v9, v7, s2
	s_delay_alu instid0(VALU_DEP_2) | instskip(NEXT) | instid1(VALU_DEP_3)
	v_cndmask_b32_e64 v1, v3, v1, s2
	v_cndmask_b32_e64 v2, v4, v2, s2
	s_delay_alu instid0(VALU_DEP_3)
	v_and_b32_e32 v6, 0xff, v7
.LBB517_210:
	s_or_b32 exec_lo, exec_lo, s4
	v_cmp_gt_u32_e32 vcc_lo, 28, v5
	v_add_nc_u32_e32 v10, 4, v5
	s_mov_b32 s4, exec_lo
	s_waitcnt lgkmcnt(1)
	v_cndmask_b32_e64 v3, 0, 1, vcc_lo
	s_delay_alu instid0(VALU_DEP_1) | instskip(SKIP_1) | instid1(VALU_DEP_1)
	v_lshlrev_b32_e32 v3, 2, v3
	s_waitcnt lgkmcnt(0)
	v_add_lshl_u32 v4, v3, v5, 2
	;; [unrolled: 35-line block ×4, first 2 shown]
	ds_bpermute_b32 v9, v4, v6
	ds_bpermute_b32 v3, v4, v1
	;; [unrolled: 1-line block ×3, first 2 shown]
	v_cmpx_lt_u32_e64 v10, v8
	s_cbranch_execz .LBB517_216
; %bb.215:
	s_waitcnt lgkmcnt(2)
	v_and_b32_e32 v6, 1, v9
	s_waitcnt lgkmcnt(0)
	v_cmp_lt_i64_e32 vcc_lo, v[3:4], v[1:2]
	s_delay_alu instid0(VALU_DEP_2) | instskip(SKIP_1) | instid1(VALU_DEP_2)
	v_cmp_eq_u32_e64 s2, 1, v6
	v_and_b32_e32 v6, 1, v7
	v_cndmask_b32_e64 v7, v7, 1, s2
	s_and_b32 vcc_lo, s2, vcc_lo
	s_delay_alu instid0(VALU_DEP_2) | instskip(SKIP_1) | instid1(VALU_DEP_2)
	v_cmp_eq_u32_e64 s2, 1, v6
	v_dual_cndmask_b32 v1, v1, v3 :: v_dual_cndmask_b32 v2, v2, v4
	v_cndmask_b32_e64 v7, v9, v7, s2
	s_delay_alu instid0(VALU_DEP_2) | instskip(NEXT) | instid1(VALU_DEP_3)
	v_cndmask_b32_e64 v1, v3, v1, s2
	v_cndmask_b32_e64 v2, v4, v2, s2
	s_delay_alu instid0(VALU_DEP_3)
	v_and_b32_e32 v6, 0xff, v7
.LBB517_216:
	s_or_b32 exec_lo, exec_lo, s4
	s_delay_alu instid0(SALU_CYCLE_1)
	s_mov_b32 s2, exec_lo
	v_cmpx_eq_u32_e32 0, v5
	s_cbranch_execz .LBB517_218
; %bb.217:
	s_waitcnt lgkmcnt(1)
	v_lshrrev_b32_e32 v3, 1, v0
	s_delay_alu instid0(VALU_DEP_1)
	v_and_b32_e32 v3, 0x70, v3
	ds_store_b8 v3, v7 offset:512
	ds_store_b64 v3, v[1:2] offset:520
.LBB517_218:
	s_or_b32 exec_lo, exec_lo, s2
	s_delay_alu instid0(SALU_CYCLE_1)
	s_mov_b32 s4, exec_lo
	s_waitcnt lgkmcnt(0)
	s_barrier
	buffer_gl0_inv
	v_cmpx_gt_u32_e32 8, v0
	s_cbranch_execz .LBB517_226
; %bb.219:
	v_lshlrev_b32_e32 v1, 4, v5
	v_and_b32_e32 v8, 7, v5
	s_add_i32 s3, s3, 31
	s_mov_b32 s5, exec_lo
	s_lshr_b32 s3, s3, 5
	ds_load_u8 v7, v1 offset:512
	ds_load_b64 v[1:2], v1 offset:520
	v_cmp_ne_u32_e32 vcc_lo, 7, v8
	v_add_nc_u32_e32 v10, 1, v8
	v_add_co_ci_u32_e32 v3, vcc_lo, 0, v5, vcc_lo
	s_delay_alu instid0(VALU_DEP_1)
	v_lshlrev_b32_e32 v4, 2, v3
	s_waitcnt lgkmcnt(1)
	v_and_b32_e32 v6, 0xff, v7
	s_waitcnt lgkmcnt(0)
	ds_bpermute_b32 v3, v4, v1
	ds_bpermute_b32 v9, v4, v6
	;; [unrolled: 1-line block ×3, first 2 shown]
	v_cmpx_gt_u32_e64 s3, v10
	s_cbranch_execz .LBB517_221
; %bb.220:
	s_waitcnt lgkmcnt(1)
	v_and_b32_e32 v6, 1, v9
	s_waitcnt lgkmcnt(0)
	v_cmp_lt_i64_e32 vcc_lo, v[3:4], v[1:2]
	s_delay_alu instid0(VALU_DEP_2) | instskip(SKIP_1) | instid1(VALU_DEP_2)
	v_cmp_eq_u32_e64 s2, 1, v6
	v_and_b32_e32 v6, 1, v7
	v_cndmask_b32_e64 v7, v7, 1, s2
	s_and_b32 vcc_lo, s2, vcc_lo
	s_delay_alu instid0(VALU_DEP_2) | instskip(SKIP_1) | instid1(VALU_DEP_2)
	v_cmp_eq_u32_e64 s2, 1, v6
	v_dual_cndmask_b32 v1, v1, v3 :: v_dual_cndmask_b32 v2, v2, v4
	v_cndmask_b32_e64 v7, v9, v7, s2
	s_delay_alu instid0(VALU_DEP_2) | instskip(NEXT) | instid1(VALU_DEP_3)
	v_cndmask_b32_e64 v1, v3, v1, s2
	v_cndmask_b32_e64 v2, v4, v2, s2
	s_delay_alu instid0(VALU_DEP_3)
	v_and_b32_e32 v6, 0xff, v7
.LBB517_221:
	s_or_b32 exec_lo, exec_lo, s5
	v_cmp_gt_u32_e32 vcc_lo, 6, v8
	v_add_nc_u32_e32 v10, 2, v8
	s_mov_b32 s5, exec_lo
	s_waitcnt lgkmcnt(2)
	v_cndmask_b32_e64 v3, 0, 1, vcc_lo
	s_delay_alu instid0(VALU_DEP_1) | instskip(SKIP_1) | instid1(VALU_DEP_1)
	v_lshlrev_b32_e32 v3, 1, v3
	s_waitcnt lgkmcnt(0)
	v_add_lshl_u32 v4, v3, v5, 2
	ds_bpermute_b32 v9, v4, v6
	ds_bpermute_b32 v3, v4, v1
	;; [unrolled: 1-line block ×3, first 2 shown]
	v_cmpx_gt_u32_e64 s3, v10
	s_cbranch_execz .LBB517_223
; %bb.222:
	s_waitcnt lgkmcnt(2)
	v_and_b32_e32 v6, 1, v9
	s_waitcnt lgkmcnt(0)
	v_cmp_lt_i64_e32 vcc_lo, v[3:4], v[1:2]
	s_delay_alu instid0(VALU_DEP_2) | instskip(SKIP_1) | instid1(VALU_DEP_2)
	v_cmp_eq_u32_e64 s2, 1, v6
	v_and_b32_e32 v6, 1, v7
	v_cndmask_b32_e64 v7, v7, 1, s2
	s_and_b32 vcc_lo, s2, vcc_lo
	s_delay_alu instid0(VALU_DEP_2) | instskip(SKIP_1) | instid1(VALU_DEP_2)
	v_cmp_eq_u32_e64 s2, 1, v6
	v_dual_cndmask_b32 v1, v1, v3 :: v_dual_cndmask_b32 v2, v2, v4
	v_cndmask_b32_e64 v7, v9, v7, s2
	s_delay_alu instid0(VALU_DEP_2) | instskip(NEXT) | instid1(VALU_DEP_3)
	v_cndmask_b32_e64 v1, v3, v1, s2
	v_cndmask_b32_e64 v2, v4, v2, s2
	s_delay_alu instid0(VALU_DEP_3)
	v_and_b32_e32 v6, 0xff, v7
.LBB517_223:
	s_or_b32 exec_lo, exec_lo, s5
	v_cmp_gt_u32_e32 vcc_lo, 4, v8
	v_add_nc_u32_e32 v8, 4, v8
	s_waitcnt lgkmcnt(1)
	v_cndmask_b32_e64 v3, 0, 1, vcc_lo
	s_delay_alu instid0(VALU_DEP_2) | instskip(NEXT) | instid1(VALU_DEP_2)
	v_cmp_gt_u32_e32 vcc_lo, s3, v8
	v_lshlrev_b32_e32 v3, 2, v3
	s_waitcnt lgkmcnt(0)
	s_delay_alu instid0(VALU_DEP_1)
	v_add_lshl_u32 v4, v3, v5, 2
	ds_bpermute_b32 v5, v4, v6
	ds_bpermute_b32 v3, v4, v1
	;; [unrolled: 1-line block ×3, first 2 shown]
	s_and_saveexec_b32 s3, vcc_lo
	s_cbranch_execz .LBB517_225
; %bb.224:
	s_waitcnt lgkmcnt(2)
	v_and_b32_e32 v6, 1, v5
	s_waitcnt lgkmcnt(0)
	v_cmp_lt_i64_e32 vcc_lo, v[3:4], v[1:2]
	s_delay_alu instid0(VALU_DEP_2) | instskip(SKIP_1) | instid1(VALU_DEP_2)
	v_cmp_eq_u32_e64 s2, 1, v6
	v_and_b32_e32 v6, 1, v7
	v_cndmask_b32_e64 v7, v7, 1, s2
	s_and_b32 vcc_lo, s2, vcc_lo
	s_delay_alu instid0(VALU_DEP_2) | instskip(SKIP_1) | instid1(VALU_DEP_2)
	v_cmp_eq_u32_e64 s2, 1, v6
	v_dual_cndmask_b32 v1, v1, v3 :: v_dual_cndmask_b32 v2, v2, v4
	v_cndmask_b32_e64 v5, v5, v7, s2
	s_delay_alu instid0(VALU_DEP_2) | instskip(NEXT) | instid1(VALU_DEP_3)
	v_cndmask_b32_e64 v1, v3, v1, s2
	v_cndmask_b32_e64 v2, v4, v2, s2
	s_delay_alu instid0(VALU_DEP_3)
	v_and_b32_e32 v6, 0xff, v5
.LBB517_225:
	s_or_b32 exec_lo, exec_lo, s3
.LBB517_226:
	s_delay_alu instid0(SALU_CYCLE_1)
	s_or_b32 exec_lo, exec_lo, s4
.LBB517_227:
	s_delay_alu instid0(SALU_CYCLE_1)
	s_mov_b32 s4, exec_lo
                                        ; implicit-def: $vgpr3_vgpr4
                                        ; implicit-def: $vgpr5
	v_cmpx_eq_u32_e32 0, v0
	s_cbranch_execz .LBB517_231
; %bb.228:
	s_waitcnt lgkmcnt(0)
	v_dual_mov_b32 v3, s20 :: v_dual_mov_b32 v4, s21
	v_mov_b32_e32 v5, s24
	s_cmp_eq_u64 s[14:15], 0
	s_cbranch_scc1 .LBB517_230
; %bb.229:
	v_and_b32_e32 v0, 1, v6
	v_cmp_gt_i64_e32 vcc_lo, s[20:21], v[1:2]
	s_bitcmp1_b32 s24, 0
	s_cselect_b32 s3, -1, 0
	s_delay_alu instid0(VALU_DEP_2) | instskip(NEXT) | instid1(VALU_DEP_1)
	v_cmp_eq_u32_e64 s2, 1, v0
	s_and_b32 vcc_lo, s2, vcc_lo
	v_cndmask_b32_e64 v0, s24, 1, s2
	v_cndmask_b32_e32 v3, s20, v1, vcc_lo
	v_cndmask_b32_e32 v4, s21, v2, vcc_lo
	s_delay_alu instid0(VALU_DEP_3) | instskip(NEXT) | instid1(VALU_DEP_3)
	v_cndmask_b32_e64 v5, v6, v0, s3
	v_cndmask_b32_e64 v3, v1, v3, s3
	s_delay_alu instid0(VALU_DEP_3)
	v_cndmask_b32_e64 v4, v2, v4, s3
.LBB517_230:
	s_or_b32 s26, s26, exec_lo
.LBB517_231:
	s_or_b32 exec_lo, exec_lo, s4
	s_and_saveexec_b32 s2, s26
	s_cbranch_execnz .LBB517_201
	s_branch .LBB517_202
.LBB517_232:
	v_lshlrev_b32_e32 v3, 1, v0
	s_clause 0x1
	global_load_u16 v18, v3, s[8:9] offset:3584
	global_load_u16 v26, v3, s[22:23] offset:3584
	v_add_co_u32 v3, s8, s26, v25
	s_delay_alu instid0(VALU_DEP_1) | instskip(SKIP_2) | instid1(VALU_DEP_1)
	v_add_co_ci_u32_e64 v4, null, s28, 0, s8
	s_waitcnt vmcnt(0)
	v_cmp_ne_u16_e64 s8, v18, v26
	v_cndmask_b32_e64 v18, 0, 1, s8
	s_or_b32 exec_lo, exec_lo, s30
	s_and_saveexec_b32 s9, s7
	s_cbranch_execz .LBB517_57
.LBB517_233:
	v_and_b32_e32 v25, 1, v21
	v_cmp_lt_i64_e64 s7, v[9:10], v[1:2]
	s_delay_alu instid0(VALU_DEP_2) | instskip(SKIP_1) | instid1(VALU_DEP_2)
	v_cmp_eq_u32_e64 s8, 1, v25
	v_and_b32_e32 v25, 1, v17
	s_and_b32 s7, s8, s7
	v_cndmask_b32_e64 v17, v17, 1, s8
	v_cndmask_b32_e64 v1, v1, v9, s7
	;; [unrolled: 1-line block ×3, first 2 shown]
	v_cmp_eq_u32_e64 s7, 1, v25
	s_delay_alu instid0(VALU_DEP_1) | instskip(NEXT) | instid1(VALU_DEP_3)
	v_cndmask_b32_e64 v17, v21, v17, s7
	v_cndmask_b32_e64 v2, v10, v2, s7
	v_cndmask_b32_e64 v1, v9, v1, s7
	s_or_b32 exec_lo, exec_lo, s9
	s_and_saveexec_b32 s8, s6
	s_cbranch_execz .LBB517_58
.LBB517_234:
	v_and_b32_e32 v9, 1, v24
	v_cmp_lt_i64_e64 s6, v[15:16], v[1:2]
	s_delay_alu instid0(VALU_DEP_2) | instskip(SKIP_1) | instid1(VALU_DEP_2)
	v_cmp_eq_u32_e64 s7, 1, v9
	v_and_b32_e32 v9, 1, v17
	s_and_b32 s6, s7, s6
	v_cndmask_b32_e64 v10, v17, 1, s7
	v_cndmask_b32_e64 v1, v1, v15, s6
	v_cndmask_b32_e64 v2, v2, v16, s6
	v_cmp_eq_u32_e64 s6, 1, v9
	s_delay_alu instid0(VALU_DEP_1) | instskip(NEXT) | instid1(VALU_DEP_3)
	v_cndmask_b32_e64 v17, v24, v10, s6
	v_cndmask_b32_e64 v2, v16, v2, s6
	;; [unrolled: 1-line block ×3, first 2 shown]
	s_or_b32 exec_lo, exec_lo, s8
	s_and_saveexec_b32 s7, s5
	s_cbranch_execz .LBB517_59
.LBB517_235:
	v_and_b32_e32 v9, 1, v20
	v_cmp_lt_i64_e64 s5, v[7:8], v[1:2]
	s_delay_alu instid0(VALU_DEP_2) | instskip(SKIP_1) | instid1(VALU_DEP_2)
	v_cmp_eq_u32_e64 s6, 1, v9
	v_and_b32_e32 v9, 1, v17
	s_and_b32 s5, s6, s5
	v_cndmask_b32_e64 v10, v17, 1, s6
	v_cndmask_b32_e64 v1, v1, v7, s5
	;; [unrolled: 1-line block ×3, first 2 shown]
	v_cmp_eq_u32_e64 s5, 1, v9
	s_delay_alu instid0(VALU_DEP_1) | instskip(NEXT) | instid1(VALU_DEP_3)
	v_cndmask_b32_e64 v17, v20, v10, s5
	v_cndmask_b32_e64 v2, v8, v2, s5
	v_cndmask_b32_e64 v1, v7, v1, s5
	s_or_b32 exec_lo, exec_lo, s7
	s_and_saveexec_b32 s6, s4
	s_cbranch_execz .LBB517_60
.LBB517_236:
	v_and_b32_e32 v7, 1, v23
	v_cmp_lt_i64_e64 s4, v[13:14], v[1:2]
	s_delay_alu instid0(VALU_DEP_2) | instskip(SKIP_1) | instid1(VALU_DEP_2)
	v_cmp_eq_u32_e64 s5, 1, v7
	v_and_b32_e32 v7, 1, v17
	s_and_b32 s4, s5, s4
	v_cndmask_b32_e64 v8, v17, 1, s5
	v_cndmask_b32_e64 v1, v1, v13, s4
	;; [unrolled: 1-line block ×3, first 2 shown]
	v_cmp_eq_u32_e64 s4, 1, v7
	s_delay_alu instid0(VALU_DEP_1) | instskip(NEXT) | instid1(VALU_DEP_3)
	v_cndmask_b32_e64 v17, v23, v8, s4
	v_cndmask_b32_e64 v2, v14, v2, s4
	;; [unrolled: 1-line block ×3, first 2 shown]
	s_or_b32 exec_lo, exec_lo, s6
	s_and_saveexec_b32 s5, s3
	s_cbranch_execz .LBB517_61
.LBB517_237:
	v_and_b32_e32 v7, 1, v19
	v_cmp_lt_i64_e64 s3, v[5:6], v[1:2]
	s_delay_alu instid0(VALU_DEP_2) | instskip(SKIP_1) | instid1(VALU_DEP_2)
	v_cmp_eq_u32_e64 s4, 1, v7
	v_and_b32_e32 v7, 1, v17
	s_and_b32 s3, s4, s3
	v_cndmask_b32_e64 v8, v17, 1, s4
	v_cndmask_b32_e64 v1, v1, v5, s3
	;; [unrolled: 1-line block ×3, first 2 shown]
	v_cmp_eq_u32_e64 s3, 1, v7
	s_delay_alu instid0(VALU_DEP_1) | instskip(NEXT) | instid1(VALU_DEP_3)
	v_cndmask_b32_e64 v17, v19, v8, s3
	v_cndmask_b32_e64 v2, v6, v2, s3
	v_cndmask_b32_e64 v1, v5, v1, s3
	s_or_b32 exec_lo, exec_lo, s5
	s_and_saveexec_b32 s4, s2
	s_cbranch_execz .LBB517_62
.LBB517_238:
	v_and_b32_e32 v5, 1, v22
	v_cmp_lt_i64_e64 s2, v[11:12], v[1:2]
	s_delay_alu instid0(VALU_DEP_2) | instskip(SKIP_1) | instid1(VALU_DEP_2)
	v_cmp_eq_u32_e64 s3, 1, v5
	v_and_b32_e32 v5, 1, v17
	s_and_b32 s2, s3, s2
	v_cndmask_b32_e64 v6, v17, 1, s3
	v_cndmask_b32_e64 v1, v1, v11, s2
	;; [unrolled: 1-line block ×3, first 2 shown]
	v_cmp_eq_u32_e64 s2, 1, v5
	s_delay_alu instid0(VALU_DEP_1) | instskip(NEXT) | instid1(VALU_DEP_3)
	v_cndmask_b32_e64 v17, v22, v6, s2
	v_cndmask_b32_e64 v2, v12, v2, s2
	;; [unrolled: 1-line block ×3, first 2 shown]
	s_or_b32 exec_lo, exec_lo, s4
	s_and_saveexec_b32 s3, vcc_lo
	s_cbranch_execnz .LBB517_63
	s_branch .LBB517_64
.LBB517_239:
	v_lshlrev_b32_e32 v3, 1, v0
	s_clause 0x1
	global_load_u16 v10, v3, s[6:7] offset:1536
	global_load_u16 v14, v3, s[8:9] offset:1536
	v_add_co_u32 v3, s4, s5, v13
	s_delay_alu instid0(VALU_DEP_1) | instskip(SKIP_2) | instid1(VALU_DEP_1)
	v_add_co_ci_u32_e64 v4, null, s23, 0, s4
	s_waitcnt vmcnt(0)
	v_cmp_ne_u16_e64 s4, v10, v14
	v_cndmask_b32_e64 v10, 0, 1, s4
	s_or_b32 exec_lo, exec_lo, s27
	s_and_saveexec_b32 s5, s3
	s_cbranch_execz .LBB517_100
.LBB517_240:
	v_and_b32_e32 v13, 1, v11
	v_cmp_lt_i64_e64 s3, v[5:6], v[1:2]
	s_delay_alu instid0(VALU_DEP_2) | instskip(SKIP_1) | instid1(VALU_DEP_2)
	v_cmp_eq_u32_e64 s4, 1, v13
	v_and_b32_e32 v13, 1, v9
	s_and_b32 s3, s4, s3
	v_cndmask_b32_e64 v9, v9, 1, s4
	v_cndmask_b32_e64 v1, v1, v5, s3
	;; [unrolled: 1-line block ×3, first 2 shown]
	v_cmp_eq_u32_e64 s3, 1, v13
	s_delay_alu instid0(VALU_DEP_1) | instskip(NEXT) | instid1(VALU_DEP_3)
	v_cndmask_b32_e64 v9, v11, v9, s3
	v_cndmask_b32_e64 v2, v6, v2, s3
	;; [unrolled: 1-line block ×3, first 2 shown]
	s_or_b32 exec_lo, exec_lo, s5
	s_and_saveexec_b32 s4, s2
	s_cbranch_execz .LBB517_101
.LBB517_241:
	v_and_b32_e32 v5, 1, v12
	v_cmp_lt_i64_e64 s2, v[7:8], v[1:2]
	s_delay_alu instid0(VALU_DEP_2) | instskip(SKIP_1) | instid1(VALU_DEP_2)
	v_cmp_eq_u32_e64 s3, 1, v5
	v_and_b32_e32 v5, 1, v9
	s_and_b32 s2, s3, s2
	v_cndmask_b32_e64 v6, v9, 1, s3
	v_cndmask_b32_e64 v1, v1, v7, s2
	;; [unrolled: 1-line block ×3, first 2 shown]
	v_cmp_eq_u32_e64 s2, 1, v5
	s_delay_alu instid0(VALU_DEP_1) | instskip(NEXT) | instid1(VALU_DEP_3)
	v_cndmask_b32_e64 v9, v12, v6, s2
	v_cndmask_b32_e64 v2, v8, v2, s2
	;; [unrolled: 1-line block ×3, first 2 shown]
	s_or_b32 exec_lo, exec_lo, s4
	s_and_saveexec_b32 s3, vcc_lo
	s_cbranch_execnz .LBB517_102
	s_branch .LBB517_103
	.section	.rodata,"a",@progbits
	.p2align	6, 0x0
	.amdhsa_kernel _ZN7rocprim17ROCPRIM_400000_NS6detail17trampoline_kernelINS0_14default_configENS1_22reduce_config_selectorIN6thrust23THRUST_200600_302600_NS5tupleIblNS6_9null_typeES8_S8_S8_S8_S8_S8_S8_EEEEZNS1_11reduce_implILb1ES3_NS6_12zip_iteratorINS7_INS6_11hip_rocprim26transform_input_iterator_tIbNSD_35transform_pair_of_input_iterators_tIbNS6_6detail15normal_iteratorINS6_10device_ptrIKtEEEESL_NS6_8equal_toItEEEENSG_9not_fun_tINSD_8identityEEEEENSD_19counting_iterator_tIlEES8_S8_S8_S8_S8_S8_S8_S8_EEEEPS9_S9_NSD_9__find_if7functorIS9_EEEE10hipError_tPvRmT1_T2_T3_mT4_P12ihipStream_tbEUlT_E1_NS1_11comp_targetILNS1_3genE9ELNS1_11target_archE1100ELNS1_3gpuE3ELNS1_3repE0EEENS1_30default_config_static_selectorELNS0_4arch9wavefront6targetE0EEEvS14_
		.amdhsa_group_segment_fixed_size 640
		.amdhsa_private_segment_fixed_size 0
		.amdhsa_kernarg_size 88
		.amdhsa_user_sgpr_count 15
		.amdhsa_user_sgpr_dispatch_ptr 0
		.amdhsa_user_sgpr_queue_ptr 0
		.amdhsa_user_sgpr_kernarg_segment_ptr 1
		.amdhsa_user_sgpr_dispatch_id 0
		.amdhsa_user_sgpr_private_segment_size 0
		.amdhsa_wavefront_size32 1
		.amdhsa_uses_dynamic_stack 0
		.amdhsa_enable_private_segment 0
		.amdhsa_system_sgpr_workgroup_id_x 1
		.amdhsa_system_sgpr_workgroup_id_y 0
		.amdhsa_system_sgpr_workgroup_id_z 0
		.amdhsa_system_sgpr_workgroup_info 0
		.amdhsa_system_vgpr_workitem_id 0
		.amdhsa_next_free_vgpr 27
		.amdhsa_next_free_sgpr 32
		.amdhsa_reserve_vcc 1
		.amdhsa_float_round_mode_32 0
		.amdhsa_float_round_mode_16_64 0
		.amdhsa_float_denorm_mode_32 3
		.amdhsa_float_denorm_mode_16_64 3
		.amdhsa_dx10_clamp 1
		.amdhsa_ieee_mode 1
		.amdhsa_fp16_overflow 0
		.amdhsa_workgroup_processor_mode 1
		.amdhsa_memory_ordered 1
		.amdhsa_forward_progress 0
		.amdhsa_shared_vgpr_count 0
		.amdhsa_exception_fp_ieee_invalid_op 0
		.amdhsa_exception_fp_denorm_src 0
		.amdhsa_exception_fp_ieee_div_zero 0
		.amdhsa_exception_fp_ieee_overflow 0
		.amdhsa_exception_fp_ieee_underflow 0
		.amdhsa_exception_fp_ieee_inexact 0
		.amdhsa_exception_int_div_zero 0
	.end_amdhsa_kernel
	.section	.text._ZN7rocprim17ROCPRIM_400000_NS6detail17trampoline_kernelINS0_14default_configENS1_22reduce_config_selectorIN6thrust23THRUST_200600_302600_NS5tupleIblNS6_9null_typeES8_S8_S8_S8_S8_S8_S8_EEEEZNS1_11reduce_implILb1ES3_NS6_12zip_iteratorINS7_INS6_11hip_rocprim26transform_input_iterator_tIbNSD_35transform_pair_of_input_iterators_tIbNS6_6detail15normal_iteratorINS6_10device_ptrIKtEEEESL_NS6_8equal_toItEEEENSG_9not_fun_tINSD_8identityEEEEENSD_19counting_iterator_tIlEES8_S8_S8_S8_S8_S8_S8_S8_EEEEPS9_S9_NSD_9__find_if7functorIS9_EEEE10hipError_tPvRmT1_T2_T3_mT4_P12ihipStream_tbEUlT_E1_NS1_11comp_targetILNS1_3genE9ELNS1_11target_archE1100ELNS1_3gpuE3ELNS1_3repE0EEENS1_30default_config_static_selectorELNS0_4arch9wavefront6targetE0EEEvS14_,"axG",@progbits,_ZN7rocprim17ROCPRIM_400000_NS6detail17trampoline_kernelINS0_14default_configENS1_22reduce_config_selectorIN6thrust23THRUST_200600_302600_NS5tupleIblNS6_9null_typeES8_S8_S8_S8_S8_S8_S8_EEEEZNS1_11reduce_implILb1ES3_NS6_12zip_iteratorINS7_INS6_11hip_rocprim26transform_input_iterator_tIbNSD_35transform_pair_of_input_iterators_tIbNS6_6detail15normal_iteratorINS6_10device_ptrIKtEEEESL_NS6_8equal_toItEEEENSG_9not_fun_tINSD_8identityEEEEENSD_19counting_iterator_tIlEES8_S8_S8_S8_S8_S8_S8_S8_EEEEPS9_S9_NSD_9__find_if7functorIS9_EEEE10hipError_tPvRmT1_T2_T3_mT4_P12ihipStream_tbEUlT_E1_NS1_11comp_targetILNS1_3genE9ELNS1_11target_archE1100ELNS1_3gpuE3ELNS1_3repE0EEENS1_30default_config_static_selectorELNS0_4arch9wavefront6targetE0EEEvS14_,comdat
.Lfunc_end517:
	.size	_ZN7rocprim17ROCPRIM_400000_NS6detail17trampoline_kernelINS0_14default_configENS1_22reduce_config_selectorIN6thrust23THRUST_200600_302600_NS5tupleIblNS6_9null_typeES8_S8_S8_S8_S8_S8_S8_EEEEZNS1_11reduce_implILb1ES3_NS6_12zip_iteratorINS7_INS6_11hip_rocprim26transform_input_iterator_tIbNSD_35transform_pair_of_input_iterators_tIbNS6_6detail15normal_iteratorINS6_10device_ptrIKtEEEESL_NS6_8equal_toItEEEENSG_9not_fun_tINSD_8identityEEEEENSD_19counting_iterator_tIlEES8_S8_S8_S8_S8_S8_S8_S8_EEEEPS9_S9_NSD_9__find_if7functorIS9_EEEE10hipError_tPvRmT1_T2_T3_mT4_P12ihipStream_tbEUlT_E1_NS1_11comp_targetILNS1_3genE9ELNS1_11target_archE1100ELNS1_3gpuE3ELNS1_3repE0EEENS1_30default_config_static_selectorELNS0_4arch9wavefront6targetE0EEEvS14_, .Lfunc_end517-_ZN7rocprim17ROCPRIM_400000_NS6detail17trampoline_kernelINS0_14default_configENS1_22reduce_config_selectorIN6thrust23THRUST_200600_302600_NS5tupleIblNS6_9null_typeES8_S8_S8_S8_S8_S8_S8_EEEEZNS1_11reduce_implILb1ES3_NS6_12zip_iteratorINS7_INS6_11hip_rocprim26transform_input_iterator_tIbNSD_35transform_pair_of_input_iterators_tIbNS6_6detail15normal_iteratorINS6_10device_ptrIKtEEEESL_NS6_8equal_toItEEEENSG_9not_fun_tINSD_8identityEEEEENSD_19counting_iterator_tIlEES8_S8_S8_S8_S8_S8_S8_S8_EEEEPS9_S9_NSD_9__find_if7functorIS9_EEEE10hipError_tPvRmT1_T2_T3_mT4_P12ihipStream_tbEUlT_E1_NS1_11comp_targetILNS1_3genE9ELNS1_11target_archE1100ELNS1_3gpuE3ELNS1_3repE0EEENS1_30default_config_static_selectorELNS0_4arch9wavefront6targetE0EEEvS14_
                                        ; -- End function
	.section	.AMDGPU.csdata,"",@progbits
; Kernel info:
; codeLenInByte = 15880
; NumSgprs: 34
; NumVgprs: 27
; ScratchSize: 0
; MemoryBound: 0
; FloatMode: 240
; IeeeMode: 1
; LDSByteSize: 640 bytes/workgroup (compile time only)
; SGPRBlocks: 4
; VGPRBlocks: 3
; NumSGPRsForWavesPerEU: 34
; NumVGPRsForWavesPerEU: 27
; Occupancy: 16
; WaveLimiterHint : 0
; COMPUTE_PGM_RSRC2:SCRATCH_EN: 0
; COMPUTE_PGM_RSRC2:USER_SGPR: 15
; COMPUTE_PGM_RSRC2:TRAP_HANDLER: 0
; COMPUTE_PGM_RSRC2:TGID_X_EN: 1
; COMPUTE_PGM_RSRC2:TGID_Y_EN: 0
; COMPUTE_PGM_RSRC2:TGID_Z_EN: 0
; COMPUTE_PGM_RSRC2:TIDIG_COMP_CNT: 0
	.section	.text._ZN7rocprim17ROCPRIM_400000_NS6detail17trampoline_kernelINS0_14default_configENS1_22reduce_config_selectorIN6thrust23THRUST_200600_302600_NS5tupleIblNS6_9null_typeES8_S8_S8_S8_S8_S8_S8_EEEEZNS1_11reduce_implILb1ES3_NS6_12zip_iteratorINS7_INS6_11hip_rocprim26transform_input_iterator_tIbNSD_35transform_pair_of_input_iterators_tIbNS6_6detail15normal_iteratorINS6_10device_ptrIKtEEEESL_NS6_8equal_toItEEEENSG_9not_fun_tINSD_8identityEEEEENSD_19counting_iterator_tIlEES8_S8_S8_S8_S8_S8_S8_S8_EEEEPS9_S9_NSD_9__find_if7functorIS9_EEEE10hipError_tPvRmT1_T2_T3_mT4_P12ihipStream_tbEUlT_E1_NS1_11comp_targetILNS1_3genE8ELNS1_11target_archE1030ELNS1_3gpuE2ELNS1_3repE0EEENS1_30default_config_static_selectorELNS0_4arch9wavefront6targetE0EEEvS14_,"axG",@progbits,_ZN7rocprim17ROCPRIM_400000_NS6detail17trampoline_kernelINS0_14default_configENS1_22reduce_config_selectorIN6thrust23THRUST_200600_302600_NS5tupleIblNS6_9null_typeES8_S8_S8_S8_S8_S8_S8_EEEEZNS1_11reduce_implILb1ES3_NS6_12zip_iteratorINS7_INS6_11hip_rocprim26transform_input_iterator_tIbNSD_35transform_pair_of_input_iterators_tIbNS6_6detail15normal_iteratorINS6_10device_ptrIKtEEEESL_NS6_8equal_toItEEEENSG_9not_fun_tINSD_8identityEEEEENSD_19counting_iterator_tIlEES8_S8_S8_S8_S8_S8_S8_S8_EEEEPS9_S9_NSD_9__find_if7functorIS9_EEEE10hipError_tPvRmT1_T2_T3_mT4_P12ihipStream_tbEUlT_E1_NS1_11comp_targetILNS1_3genE8ELNS1_11target_archE1030ELNS1_3gpuE2ELNS1_3repE0EEENS1_30default_config_static_selectorELNS0_4arch9wavefront6targetE0EEEvS14_,comdat
	.protected	_ZN7rocprim17ROCPRIM_400000_NS6detail17trampoline_kernelINS0_14default_configENS1_22reduce_config_selectorIN6thrust23THRUST_200600_302600_NS5tupleIblNS6_9null_typeES8_S8_S8_S8_S8_S8_S8_EEEEZNS1_11reduce_implILb1ES3_NS6_12zip_iteratorINS7_INS6_11hip_rocprim26transform_input_iterator_tIbNSD_35transform_pair_of_input_iterators_tIbNS6_6detail15normal_iteratorINS6_10device_ptrIKtEEEESL_NS6_8equal_toItEEEENSG_9not_fun_tINSD_8identityEEEEENSD_19counting_iterator_tIlEES8_S8_S8_S8_S8_S8_S8_S8_EEEEPS9_S9_NSD_9__find_if7functorIS9_EEEE10hipError_tPvRmT1_T2_T3_mT4_P12ihipStream_tbEUlT_E1_NS1_11comp_targetILNS1_3genE8ELNS1_11target_archE1030ELNS1_3gpuE2ELNS1_3repE0EEENS1_30default_config_static_selectorELNS0_4arch9wavefront6targetE0EEEvS14_ ; -- Begin function _ZN7rocprim17ROCPRIM_400000_NS6detail17trampoline_kernelINS0_14default_configENS1_22reduce_config_selectorIN6thrust23THRUST_200600_302600_NS5tupleIblNS6_9null_typeES8_S8_S8_S8_S8_S8_S8_EEEEZNS1_11reduce_implILb1ES3_NS6_12zip_iteratorINS7_INS6_11hip_rocprim26transform_input_iterator_tIbNSD_35transform_pair_of_input_iterators_tIbNS6_6detail15normal_iteratorINS6_10device_ptrIKtEEEESL_NS6_8equal_toItEEEENSG_9not_fun_tINSD_8identityEEEEENSD_19counting_iterator_tIlEES8_S8_S8_S8_S8_S8_S8_S8_EEEEPS9_S9_NSD_9__find_if7functorIS9_EEEE10hipError_tPvRmT1_T2_T3_mT4_P12ihipStream_tbEUlT_E1_NS1_11comp_targetILNS1_3genE8ELNS1_11target_archE1030ELNS1_3gpuE2ELNS1_3repE0EEENS1_30default_config_static_selectorELNS0_4arch9wavefront6targetE0EEEvS14_
	.globl	_ZN7rocprim17ROCPRIM_400000_NS6detail17trampoline_kernelINS0_14default_configENS1_22reduce_config_selectorIN6thrust23THRUST_200600_302600_NS5tupleIblNS6_9null_typeES8_S8_S8_S8_S8_S8_S8_EEEEZNS1_11reduce_implILb1ES3_NS6_12zip_iteratorINS7_INS6_11hip_rocprim26transform_input_iterator_tIbNSD_35transform_pair_of_input_iterators_tIbNS6_6detail15normal_iteratorINS6_10device_ptrIKtEEEESL_NS6_8equal_toItEEEENSG_9not_fun_tINSD_8identityEEEEENSD_19counting_iterator_tIlEES8_S8_S8_S8_S8_S8_S8_S8_EEEEPS9_S9_NSD_9__find_if7functorIS9_EEEE10hipError_tPvRmT1_T2_T3_mT4_P12ihipStream_tbEUlT_E1_NS1_11comp_targetILNS1_3genE8ELNS1_11target_archE1030ELNS1_3gpuE2ELNS1_3repE0EEENS1_30default_config_static_selectorELNS0_4arch9wavefront6targetE0EEEvS14_
	.p2align	8
	.type	_ZN7rocprim17ROCPRIM_400000_NS6detail17trampoline_kernelINS0_14default_configENS1_22reduce_config_selectorIN6thrust23THRUST_200600_302600_NS5tupleIblNS6_9null_typeES8_S8_S8_S8_S8_S8_S8_EEEEZNS1_11reduce_implILb1ES3_NS6_12zip_iteratorINS7_INS6_11hip_rocprim26transform_input_iterator_tIbNSD_35transform_pair_of_input_iterators_tIbNS6_6detail15normal_iteratorINS6_10device_ptrIKtEEEESL_NS6_8equal_toItEEEENSG_9not_fun_tINSD_8identityEEEEENSD_19counting_iterator_tIlEES8_S8_S8_S8_S8_S8_S8_S8_EEEEPS9_S9_NSD_9__find_if7functorIS9_EEEE10hipError_tPvRmT1_T2_T3_mT4_P12ihipStream_tbEUlT_E1_NS1_11comp_targetILNS1_3genE8ELNS1_11target_archE1030ELNS1_3gpuE2ELNS1_3repE0EEENS1_30default_config_static_selectorELNS0_4arch9wavefront6targetE0EEEvS14_,@function
_ZN7rocprim17ROCPRIM_400000_NS6detail17trampoline_kernelINS0_14default_configENS1_22reduce_config_selectorIN6thrust23THRUST_200600_302600_NS5tupleIblNS6_9null_typeES8_S8_S8_S8_S8_S8_S8_EEEEZNS1_11reduce_implILb1ES3_NS6_12zip_iteratorINS7_INS6_11hip_rocprim26transform_input_iterator_tIbNSD_35transform_pair_of_input_iterators_tIbNS6_6detail15normal_iteratorINS6_10device_ptrIKtEEEESL_NS6_8equal_toItEEEENSG_9not_fun_tINSD_8identityEEEEENSD_19counting_iterator_tIlEES8_S8_S8_S8_S8_S8_S8_S8_EEEEPS9_S9_NSD_9__find_if7functorIS9_EEEE10hipError_tPvRmT1_T2_T3_mT4_P12ihipStream_tbEUlT_E1_NS1_11comp_targetILNS1_3genE8ELNS1_11target_archE1030ELNS1_3gpuE2ELNS1_3repE0EEENS1_30default_config_static_selectorELNS0_4arch9wavefront6targetE0EEEvS14_: ; @_ZN7rocprim17ROCPRIM_400000_NS6detail17trampoline_kernelINS0_14default_configENS1_22reduce_config_selectorIN6thrust23THRUST_200600_302600_NS5tupleIblNS6_9null_typeES8_S8_S8_S8_S8_S8_S8_EEEEZNS1_11reduce_implILb1ES3_NS6_12zip_iteratorINS7_INS6_11hip_rocprim26transform_input_iterator_tIbNSD_35transform_pair_of_input_iterators_tIbNS6_6detail15normal_iteratorINS6_10device_ptrIKtEEEESL_NS6_8equal_toItEEEENSG_9not_fun_tINSD_8identityEEEEENSD_19counting_iterator_tIlEES8_S8_S8_S8_S8_S8_S8_S8_EEEEPS9_S9_NSD_9__find_if7functorIS9_EEEE10hipError_tPvRmT1_T2_T3_mT4_P12ihipStream_tbEUlT_E1_NS1_11comp_targetILNS1_3genE8ELNS1_11target_archE1030ELNS1_3gpuE2ELNS1_3repE0EEENS1_30default_config_static_selectorELNS0_4arch9wavefront6targetE0EEEvS14_
; %bb.0:
	.section	.rodata,"a",@progbits
	.p2align	6, 0x0
	.amdhsa_kernel _ZN7rocprim17ROCPRIM_400000_NS6detail17trampoline_kernelINS0_14default_configENS1_22reduce_config_selectorIN6thrust23THRUST_200600_302600_NS5tupleIblNS6_9null_typeES8_S8_S8_S8_S8_S8_S8_EEEEZNS1_11reduce_implILb1ES3_NS6_12zip_iteratorINS7_INS6_11hip_rocprim26transform_input_iterator_tIbNSD_35transform_pair_of_input_iterators_tIbNS6_6detail15normal_iteratorINS6_10device_ptrIKtEEEESL_NS6_8equal_toItEEEENSG_9not_fun_tINSD_8identityEEEEENSD_19counting_iterator_tIlEES8_S8_S8_S8_S8_S8_S8_S8_EEEEPS9_S9_NSD_9__find_if7functorIS9_EEEE10hipError_tPvRmT1_T2_T3_mT4_P12ihipStream_tbEUlT_E1_NS1_11comp_targetILNS1_3genE8ELNS1_11target_archE1030ELNS1_3gpuE2ELNS1_3repE0EEENS1_30default_config_static_selectorELNS0_4arch9wavefront6targetE0EEEvS14_
		.amdhsa_group_segment_fixed_size 0
		.amdhsa_private_segment_fixed_size 0
		.amdhsa_kernarg_size 88
		.amdhsa_user_sgpr_count 15
		.amdhsa_user_sgpr_dispatch_ptr 0
		.amdhsa_user_sgpr_queue_ptr 0
		.amdhsa_user_sgpr_kernarg_segment_ptr 1
		.amdhsa_user_sgpr_dispatch_id 0
		.amdhsa_user_sgpr_private_segment_size 0
		.amdhsa_wavefront_size32 1
		.amdhsa_uses_dynamic_stack 0
		.amdhsa_enable_private_segment 0
		.amdhsa_system_sgpr_workgroup_id_x 1
		.amdhsa_system_sgpr_workgroup_id_y 0
		.amdhsa_system_sgpr_workgroup_id_z 0
		.amdhsa_system_sgpr_workgroup_info 0
		.amdhsa_system_vgpr_workitem_id 0
		.amdhsa_next_free_vgpr 1
		.amdhsa_next_free_sgpr 1
		.amdhsa_reserve_vcc 0
		.amdhsa_float_round_mode_32 0
		.amdhsa_float_round_mode_16_64 0
		.amdhsa_float_denorm_mode_32 3
		.amdhsa_float_denorm_mode_16_64 3
		.amdhsa_dx10_clamp 1
		.amdhsa_ieee_mode 1
		.amdhsa_fp16_overflow 0
		.amdhsa_workgroup_processor_mode 1
		.amdhsa_memory_ordered 1
		.amdhsa_forward_progress 0
		.amdhsa_shared_vgpr_count 0
		.amdhsa_exception_fp_ieee_invalid_op 0
		.amdhsa_exception_fp_denorm_src 0
		.amdhsa_exception_fp_ieee_div_zero 0
		.amdhsa_exception_fp_ieee_overflow 0
		.amdhsa_exception_fp_ieee_underflow 0
		.amdhsa_exception_fp_ieee_inexact 0
		.amdhsa_exception_int_div_zero 0
	.end_amdhsa_kernel
	.section	.text._ZN7rocprim17ROCPRIM_400000_NS6detail17trampoline_kernelINS0_14default_configENS1_22reduce_config_selectorIN6thrust23THRUST_200600_302600_NS5tupleIblNS6_9null_typeES8_S8_S8_S8_S8_S8_S8_EEEEZNS1_11reduce_implILb1ES3_NS6_12zip_iteratorINS7_INS6_11hip_rocprim26transform_input_iterator_tIbNSD_35transform_pair_of_input_iterators_tIbNS6_6detail15normal_iteratorINS6_10device_ptrIKtEEEESL_NS6_8equal_toItEEEENSG_9not_fun_tINSD_8identityEEEEENSD_19counting_iterator_tIlEES8_S8_S8_S8_S8_S8_S8_S8_EEEEPS9_S9_NSD_9__find_if7functorIS9_EEEE10hipError_tPvRmT1_T2_T3_mT4_P12ihipStream_tbEUlT_E1_NS1_11comp_targetILNS1_3genE8ELNS1_11target_archE1030ELNS1_3gpuE2ELNS1_3repE0EEENS1_30default_config_static_selectorELNS0_4arch9wavefront6targetE0EEEvS14_,"axG",@progbits,_ZN7rocprim17ROCPRIM_400000_NS6detail17trampoline_kernelINS0_14default_configENS1_22reduce_config_selectorIN6thrust23THRUST_200600_302600_NS5tupleIblNS6_9null_typeES8_S8_S8_S8_S8_S8_S8_EEEEZNS1_11reduce_implILb1ES3_NS6_12zip_iteratorINS7_INS6_11hip_rocprim26transform_input_iterator_tIbNSD_35transform_pair_of_input_iterators_tIbNS6_6detail15normal_iteratorINS6_10device_ptrIKtEEEESL_NS6_8equal_toItEEEENSG_9not_fun_tINSD_8identityEEEEENSD_19counting_iterator_tIlEES8_S8_S8_S8_S8_S8_S8_S8_EEEEPS9_S9_NSD_9__find_if7functorIS9_EEEE10hipError_tPvRmT1_T2_T3_mT4_P12ihipStream_tbEUlT_E1_NS1_11comp_targetILNS1_3genE8ELNS1_11target_archE1030ELNS1_3gpuE2ELNS1_3repE0EEENS1_30default_config_static_selectorELNS0_4arch9wavefront6targetE0EEEvS14_,comdat
.Lfunc_end518:
	.size	_ZN7rocprim17ROCPRIM_400000_NS6detail17trampoline_kernelINS0_14default_configENS1_22reduce_config_selectorIN6thrust23THRUST_200600_302600_NS5tupleIblNS6_9null_typeES8_S8_S8_S8_S8_S8_S8_EEEEZNS1_11reduce_implILb1ES3_NS6_12zip_iteratorINS7_INS6_11hip_rocprim26transform_input_iterator_tIbNSD_35transform_pair_of_input_iterators_tIbNS6_6detail15normal_iteratorINS6_10device_ptrIKtEEEESL_NS6_8equal_toItEEEENSG_9not_fun_tINSD_8identityEEEEENSD_19counting_iterator_tIlEES8_S8_S8_S8_S8_S8_S8_S8_EEEEPS9_S9_NSD_9__find_if7functorIS9_EEEE10hipError_tPvRmT1_T2_T3_mT4_P12ihipStream_tbEUlT_E1_NS1_11comp_targetILNS1_3genE8ELNS1_11target_archE1030ELNS1_3gpuE2ELNS1_3repE0EEENS1_30default_config_static_selectorELNS0_4arch9wavefront6targetE0EEEvS14_, .Lfunc_end518-_ZN7rocprim17ROCPRIM_400000_NS6detail17trampoline_kernelINS0_14default_configENS1_22reduce_config_selectorIN6thrust23THRUST_200600_302600_NS5tupleIblNS6_9null_typeES8_S8_S8_S8_S8_S8_S8_EEEEZNS1_11reduce_implILb1ES3_NS6_12zip_iteratorINS7_INS6_11hip_rocprim26transform_input_iterator_tIbNSD_35transform_pair_of_input_iterators_tIbNS6_6detail15normal_iteratorINS6_10device_ptrIKtEEEESL_NS6_8equal_toItEEEENSG_9not_fun_tINSD_8identityEEEEENSD_19counting_iterator_tIlEES8_S8_S8_S8_S8_S8_S8_S8_EEEEPS9_S9_NSD_9__find_if7functorIS9_EEEE10hipError_tPvRmT1_T2_T3_mT4_P12ihipStream_tbEUlT_E1_NS1_11comp_targetILNS1_3genE8ELNS1_11target_archE1030ELNS1_3gpuE2ELNS1_3repE0EEENS1_30default_config_static_selectorELNS0_4arch9wavefront6targetE0EEEvS14_
                                        ; -- End function
	.section	.AMDGPU.csdata,"",@progbits
; Kernel info:
; codeLenInByte = 0
; NumSgprs: 0
; NumVgprs: 0
; ScratchSize: 0
; MemoryBound: 0
; FloatMode: 240
; IeeeMode: 1
; LDSByteSize: 0 bytes/workgroup (compile time only)
; SGPRBlocks: 0
; VGPRBlocks: 0
; NumSGPRsForWavesPerEU: 1
; NumVGPRsForWavesPerEU: 1
; Occupancy: 16
; WaveLimiterHint : 0
; COMPUTE_PGM_RSRC2:SCRATCH_EN: 0
; COMPUTE_PGM_RSRC2:USER_SGPR: 15
; COMPUTE_PGM_RSRC2:TRAP_HANDLER: 0
; COMPUTE_PGM_RSRC2:TGID_X_EN: 1
; COMPUTE_PGM_RSRC2:TGID_Y_EN: 0
; COMPUTE_PGM_RSRC2:TGID_Z_EN: 0
; COMPUTE_PGM_RSRC2:TIDIG_COMP_CNT: 0
	.section	.text._ZN7rocprim17ROCPRIM_400000_NS6detail17trampoline_kernelINS0_14default_configENS1_22reduce_config_selectorIN6thrust23THRUST_200600_302600_NS5tupleIblNS6_9null_typeES8_S8_S8_S8_S8_S8_S8_EEEEZNS1_11reduce_implILb1ES3_NS6_12zip_iteratorINS7_INS6_11hip_rocprim26transform_input_iterator_tIbNSD_35transform_pair_of_input_iterators_tIbNS6_6detail15normal_iteratorINS6_10device_ptrIKxEEEESL_NS6_8equal_toIxEEEENSG_9not_fun_tINSD_8identityEEEEENSD_19counting_iterator_tIlEES8_S8_S8_S8_S8_S8_S8_S8_EEEEPS9_S9_NSD_9__find_if7functorIS9_EEEE10hipError_tPvRmT1_T2_T3_mT4_P12ihipStream_tbEUlT_E0_NS1_11comp_targetILNS1_3genE0ELNS1_11target_archE4294967295ELNS1_3gpuE0ELNS1_3repE0EEENS1_30default_config_static_selectorELNS0_4arch9wavefront6targetE0EEEvS14_,"axG",@progbits,_ZN7rocprim17ROCPRIM_400000_NS6detail17trampoline_kernelINS0_14default_configENS1_22reduce_config_selectorIN6thrust23THRUST_200600_302600_NS5tupleIblNS6_9null_typeES8_S8_S8_S8_S8_S8_S8_EEEEZNS1_11reduce_implILb1ES3_NS6_12zip_iteratorINS7_INS6_11hip_rocprim26transform_input_iterator_tIbNSD_35transform_pair_of_input_iterators_tIbNS6_6detail15normal_iteratorINS6_10device_ptrIKxEEEESL_NS6_8equal_toIxEEEENSG_9not_fun_tINSD_8identityEEEEENSD_19counting_iterator_tIlEES8_S8_S8_S8_S8_S8_S8_S8_EEEEPS9_S9_NSD_9__find_if7functorIS9_EEEE10hipError_tPvRmT1_T2_T3_mT4_P12ihipStream_tbEUlT_E0_NS1_11comp_targetILNS1_3genE0ELNS1_11target_archE4294967295ELNS1_3gpuE0ELNS1_3repE0EEENS1_30default_config_static_selectorELNS0_4arch9wavefront6targetE0EEEvS14_,comdat
	.protected	_ZN7rocprim17ROCPRIM_400000_NS6detail17trampoline_kernelINS0_14default_configENS1_22reduce_config_selectorIN6thrust23THRUST_200600_302600_NS5tupleIblNS6_9null_typeES8_S8_S8_S8_S8_S8_S8_EEEEZNS1_11reduce_implILb1ES3_NS6_12zip_iteratorINS7_INS6_11hip_rocprim26transform_input_iterator_tIbNSD_35transform_pair_of_input_iterators_tIbNS6_6detail15normal_iteratorINS6_10device_ptrIKxEEEESL_NS6_8equal_toIxEEEENSG_9not_fun_tINSD_8identityEEEEENSD_19counting_iterator_tIlEES8_S8_S8_S8_S8_S8_S8_S8_EEEEPS9_S9_NSD_9__find_if7functorIS9_EEEE10hipError_tPvRmT1_T2_T3_mT4_P12ihipStream_tbEUlT_E0_NS1_11comp_targetILNS1_3genE0ELNS1_11target_archE4294967295ELNS1_3gpuE0ELNS1_3repE0EEENS1_30default_config_static_selectorELNS0_4arch9wavefront6targetE0EEEvS14_ ; -- Begin function _ZN7rocprim17ROCPRIM_400000_NS6detail17trampoline_kernelINS0_14default_configENS1_22reduce_config_selectorIN6thrust23THRUST_200600_302600_NS5tupleIblNS6_9null_typeES8_S8_S8_S8_S8_S8_S8_EEEEZNS1_11reduce_implILb1ES3_NS6_12zip_iteratorINS7_INS6_11hip_rocprim26transform_input_iterator_tIbNSD_35transform_pair_of_input_iterators_tIbNS6_6detail15normal_iteratorINS6_10device_ptrIKxEEEESL_NS6_8equal_toIxEEEENSG_9not_fun_tINSD_8identityEEEEENSD_19counting_iterator_tIlEES8_S8_S8_S8_S8_S8_S8_S8_EEEEPS9_S9_NSD_9__find_if7functorIS9_EEEE10hipError_tPvRmT1_T2_T3_mT4_P12ihipStream_tbEUlT_E0_NS1_11comp_targetILNS1_3genE0ELNS1_11target_archE4294967295ELNS1_3gpuE0ELNS1_3repE0EEENS1_30default_config_static_selectorELNS0_4arch9wavefront6targetE0EEEvS14_
	.globl	_ZN7rocprim17ROCPRIM_400000_NS6detail17trampoline_kernelINS0_14default_configENS1_22reduce_config_selectorIN6thrust23THRUST_200600_302600_NS5tupleIblNS6_9null_typeES8_S8_S8_S8_S8_S8_S8_EEEEZNS1_11reduce_implILb1ES3_NS6_12zip_iteratorINS7_INS6_11hip_rocprim26transform_input_iterator_tIbNSD_35transform_pair_of_input_iterators_tIbNS6_6detail15normal_iteratorINS6_10device_ptrIKxEEEESL_NS6_8equal_toIxEEEENSG_9not_fun_tINSD_8identityEEEEENSD_19counting_iterator_tIlEES8_S8_S8_S8_S8_S8_S8_S8_EEEEPS9_S9_NSD_9__find_if7functorIS9_EEEE10hipError_tPvRmT1_T2_T3_mT4_P12ihipStream_tbEUlT_E0_NS1_11comp_targetILNS1_3genE0ELNS1_11target_archE4294967295ELNS1_3gpuE0ELNS1_3repE0EEENS1_30default_config_static_selectorELNS0_4arch9wavefront6targetE0EEEvS14_
	.p2align	8
	.type	_ZN7rocprim17ROCPRIM_400000_NS6detail17trampoline_kernelINS0_14default_configENS1_22reduce_config_selectorIN6thrust23THRUST_200600_302600_NS5tupleIblNS6_9null_typeES8_S8_S8_S8_S8_S8_S8_EEEEZNS1_11reduce_implILb1ES3_NS6_12zip_iteratorINS7_INS6_11hip_rocprim26transform_input_iterator_tIbNSD_35transform_pair_of_input_iterators_tIbNS6_6detail15normal_iteratorINS6_10device_ptrIKxEEEESL_NS6_8equal_toIxEEEENSG_9not_fun_tINSD_8identityEEEEENSD_19counting_iterator_tIlEES8_S8_S8_S8_S8_S8_S8_S8_EEEEPS9_S9_NSD_9__find_if7functorIS9_EEEE10hipError_tPvRmT1_T2_T3_mT4_P12ihipStream_tbEUlT_E0_NS1_11comp_targetILNS1_3genE0ELNS1_11target_archE4294967295ELNS1_3gpuE0ELNS1_3repE0EEENS1_30default_config_static_selectorELNS0_4arch9wavefront6targetE0EEEvS14_,@function
_ZN7rocprim17ROCPRIM_400000_NS6detail17trampoline_kernelINS0_14default_configENS1_22reduce_config_selectorIN6thrust23THRUST_200600_302600_NS5tupleIblNS6_9null_typeES8_S8_S8_S8_S8_S8_S8_EEEEZNS1_11reduce_implILb1ES3_NS6_12zip_iteratorINS7_INS6_11hip_rocprim26transform_input_iterator_tIbNSD_35transform_pair_of_input_iterators_tIbNS6_6detail15normal_iteratorINS6_10device_ptrIKxEEEESL_NS6_8equal_toIxEEEENSG_9not_fun_tINSD_8identityEEEEENSD_19counting_iterator_tIlEES8_S8_S8_S8_S8_S8_S8_S8_EEEEPS9_S9_NSD_9__find_if7functorIS9_EEEE10hipError_tPvRmT1_T2_T3_mT4_P12ihipStream_tbEUlT_E0_NS1_11comp_targetILNS1_3genE0ELNS1_11target_archE4294967295ELNS1_3gpuE0ELNS1_3repE0EEENS1_30default_config_static_selectorELNS0_4arch9wavefront6targetE0EEEvS14_: ; @_ZN7rocprim17ROCPRIM_400000_NS6detail17trampoline_kernelINS0_14default_configENS1_22reduce_config_selectorIN6thrust23THRUST_200600_302600_NS5tupleIblNS6_9null_typeES8_S8_S8_S8_S8_S8_S8_EEEEZNS1_11reduce_implILb1ES3_NS6_12zip_iteratorINS7_INS6_11hip_rocprim26transform_input_iterator_tIbNSD_35transform_pair_of_input_iterators_tIbNS6_6detail15normal_iteratorINS6_10device_ptrIKxEEEESL_NS6_8equal_toIxEEEENSG_9not_fun_tINSD_8identityEEEEENSD_19counting_iterator_tIlEES8_S8_S8_S8_S8_S8_S8_S8_EEEEPS9_S9_NSD_9__find_if7functorIS9_EEEE10hipError_tPvRmT1_T2_T3_mT4_P12ihipStream_tbEUlT_E0_NS1_11comp_targetILNS1_3genE0ELNS1_11target_archE4294967295ELNS1_3gpuE0ELNS1_3repE0EEENS1_30default_config_static_selectorELNS0_4arch9wavefront6targetE0EEEvS14_
; %bb.0:
	.section	.rodata,"a",@progbits
	.p2align	6, 0x0
	.amdhsa_kernel _ZN7rocprim17ROCPRIM_400000_NS6detail17trampoline_kernelINS0_14default_configENS1_22reduce_config_selectorIN6thrust23THRUST_200600_302600_NS5tupleIblNS6_9null_typeES8_S8_S8_S8_S8_S8_S8_EEEEZNS1_11reduce_implILb1ES3_NS6_12zip_iteratorINS7_INS6_11hip_rocprim26transform_input_iterator_tIbNSD_35transform_pair_of_input_iterators_tIbNS6_6detail15normal_iteratorINS6_10device_ptrIKxEEEESL_NS6_8equal_toIxEEEENSG_9not_fun_tINSD_8identityEEEEENSD_19counting_iterator_tIlEES8_S8_S8_S8_S8_S8_S8_S8_EEEEPS9_S9_NSD_9__find_if7functorIS9_EEEE10hipError_tPvRmT1_T2_T3_mT4_P12ihipStream_tbEUlT_E0_NS1_11comp_targetILNS1_3genE0ELNS1_11target_archE4294967295ELNS1_3gpuE0ELNS1_3repE0EEENS1_30default_config_static_selectorELNS0_4arch9wavefront6targetE0EEEvS14_
		.amdhsa_group_segment_fixed_size 0
		.amdhsa_private_segment_fixed_size 0
		.amdhsa_kernarg_size 104
		.amdhsa_user_sgpr_count 15
		.amdhsa_user_sgpr_dispatch_ptr 0
		.amdhsa_user_sgpr_queue_ptr 0
		.amdhsa_user_sgpr_kernarg_segment_ptr 1
		.amdhsa_user_sgpr_dispatch_id 0
		.amdhsa_user_sgpr_private_segment_size 0
		.amdhsa_wavefront_size32 1
		.amdhsa_uses_dynamic_stack 0
		.amdhsa_enable_private_segment 0
		.amdhsa_system_sgpr_workgroup_id_x 1
		.amdhsa_system_sgpr_workgroup_id_y 0
		.amdhsa_system_sgpr_workgroup_id_z 0
		.amdhsa_system_sgpr_workgroup_info 0
		.amdhsa_system_vgpr_workitem_id 0
		.amdhsa_next_free_vgpr 1
		.amdhsa_next_free_sgpr 1
		.amdhsa_reserve_vcc 0
		.amdhsa_float_round_mode_32 0
		.amdhsa_float_round_mode_16_64 0
		.amdhsa_float_denorm_mode_32 3
		.amdhsa_float_denorm_mode_16_64 3
		.amdhsa_dx10_clamp 1
		.amdhsa_ieee_mode 1
		.amdhsa_fp16_overflow 0
		.amdhsa_workgroup_processor_mode 1
		.amdhsa_memory_ordered 1
		.amdhsa_forward_progress 0
		.amdhsa_shared_vgpr_count 0
		.amdhsa_exception_fp_ieee_invalid_op 0
		.amdhsa_exception_fp_denorm_src 0
		.amdhsa_exception_fp_ieee_div_zero 0
		.amdhsa_exception_fp_ieee_overflow 0
		.amdhsa_exception_fp_ieee_underflow 0
		.amdhsa_exception_fp_ieee_inexact 0
		.amdhsa_exception_int_div_zero 0
	.end_amdhsa_kernel
	.section	.text._ZN7rocprim17ROCPRIM_400000_NS6detail17trampoline_kernelINS0_14default_configENS1_22reduce_config_selectorIN6thrust23THRUST_200600_302600_NS5tupleIblNS6_9null_typeES8_S8_S8_S8_S8_S8_S8_EEEEZNS1_11reduce_implILb1ES3_NS6_12zip_iteratorINS7_INS6_11hip_rocprim26transform_input_iterator_tIbNSD_35transform_pair_of_input_iterators_tIbNS6_6detail15normal_iteratorINS6_10device_ptrIKxEEEESL_NS6_8equal_toIxEEEENSG_9not_fun_tINSD_8identityEEEEENSD_19counting_iterator_tIlEES8_S8_S8_S8_S8_S8_S8_S8_EEEEPS9_S9_NSD_9__find_if7functorIS9_EEEE10hipError_tPvRmT1_T2_T3_mT4_P12ihipStream_tbEUlT_E0_NS1_11comp_targetILNS1_3genE0ELNS1_11target_archE4294967295ELNS1_3gpuE0ELNS1_3repE0EEENS1_30default_config_static_selectorELNS0_4arch9wavefront6targetE0EEEvS14_,"axG",@progbits,_ZN7rocprim17ROCPRIM_400000_NS6detail17trampoline_kernelINS0_14default_configENS1_22reduce_config_selectorIN6thrust23THRUST_200600_302600_NS5tupleIblNS6_9null_typeES8_S8_S8_S8_S8_S8_S8_EEEEZNS1_11reduce_implILb1ES3_NS6_12zip_iteratorINS7_INS6_11hip_rocprim26transform_input_iterator_tIbNSD_35transform_pair_of_input_iterators_tIbNS6_6detail15normal_iteratorINS6_10device_ptrIKxEEEESL_NS6_8equal_toIxEEEENSG_9not_fun_tINSD_8identityEEEEENSD_19counting_iterator_tIlEES8_S8_S8_S8_S8_S8_S8_S8_EEEEPS9_S9_NSD_9__find_if7functorIS9_EEEE10hipError_tPvRmT1_T2_T3_mT4_P12ihipStream_tbEUlT_E0_NS1_11comp_targetILNS1_3genE0ELNS1_11target_archE4294967295ELNS1_3gpuE0ELNS1_3repE0EEENS1_30default_config_static_selectorELNS0_4arch9wavefront6targetE0EEEvS14_,comdat
.Lfunc_end519:
	.size	_ZN7rocprim17ROCPRIM_400000_NS6detail17trampoline_kernelINS0_14default_configENS1_22reduce_config_selectorIN6thrust23THRUST_200600_302600_NS5tupleIblNS6_9null_typeES8_S8_S8_S8_S8_S8_S8_EEEEZNS1_11reduce_implILb1ES3_NS6_12zip_iteratorINS7_INS6_11hip_rocprim26transform_input_iterator_tIbNSD_35transform_pair_of_input_iterators_tIbNS6_6detail15normal_iteratorINS6_10device_ptrIKxEEEESL_NS6_8equal_toIxEEEENSG_9not_fun_tINSD_8identityEEEEENSD_19counting_iterator_tIlEES8_S8_S8_S8_S8_S8_S8_S8_EEEEPS9_S9_NSD_9__find_if7functorIS9_EEEE10hipError_tPvRmT1_T2_T3_mT4_P12ihipStream_tbEUlT_E0_NS1_11comp_targetILNS1_3genE0ELNS1_11target_archE4294967295ELNS1_3gpuE0ELNS1_3repE0EEENS1_30default_config_static_selectorELNS0_4arch9wavefront6targetE0EEEvS14_, .Lfunc_end519-_ZN7rocprim17ROCPRIM_400000_NS6detail17trampoline_kernelINS0_14default_configENS1_22reduce_config_selectorIN6thrust23THRUST_200600_302600_NS5tupleIblNS6_9null_typeES8_S8_S8_S8_S8_S8_S8_EEEEZNS1_11reduce_implILb1ES3_NS6_12zip_iteratorINS7_INS6_11hip_rocprim26transform_input_iterator_tIbNSD_35transform_pair_of_input_iterators_tIbNS6_6detail15normal_iteratorINS6_10device_ptrIKxEEEESL_NS6_8equal_toIxEEEENSG_9not_fun_tINSD_8identityEEEEENSD_19counting_iterator_tIlEES8_S8_S8_S8_S8_S8_S8_S8_EEEEPS9_S9_NSD_9__find_if7functorIS9_EEEE10hipError_tPvRmT1_T2_T3_mT4_P12ihipStream_tbEUlT_E0_NS1_11comp_targetILNS1_3genE0ELNS1_11target_archE4294967295ELNS1_3gpuE0ELNS1_3repE0EEENS1_30default_config_static_selectorELNS0_4arch9wavefront6targetE0EEEvS14_
                                        ; -- End function
	.section	.AMDGPU.csdata,"",@progbits
; Kernel info:
; codeLenInByte = 0
; NumSgprs: 0
; NumVgprs: 0
; ScratchSize: 0
; MemoryBound: 0
; FloatMode: 240
; IeeeMode: 1
; LDSByteSize: 0 bytes/workgroup (compile time only)
; SGPRBlocks: 0
; VGPRBlocks: 0
; NumSGPRsForWavesPerEU: 1
; NumVGPRsForWavesPerEU: 1
; Occupancy: 16
; WaveLimiterHint : 0
; COMPUTE_PGM_RSRC2:SCRATCH_EN: 0
; COMPUTE_PGM_RSRC2:USER_SGPR: 15
; COMPUTE_PGM_RSRC2:TRAP_HANDLER: 0
; COMPUTE_PGM_RSRC2:TGID_X_EN: 1
; COMPUTE_PGM_RSRC2:TGID_Y_EN: 0
; COMPUTE_PGM_RSRC2:TGID_Z_EN: 0
; COMPUTE_PGM_RSRC2:TIDIG_COMP_CNT: 0
	.section	.text._ZN7rocprim17ROCPRIM_400000_NS6detail17trampoline_kernelINS0_14default_configENS1_22reduce_config_selectorIN6thrust23THRUST_200600_302600_NS5tupleIblNS6_9null_typeES8_S8_S8_S8_S8_S8_S8_EEEEZNS1_11reduce_implILb1ES3_NS6_12zip_iteratorINS7_INS6_11hip_rocprim26transform_input_iterator_tIbNSD_35transform_pair_of_input_iterators_tIbNS6_6detail15normal_iteratorINS6_10device_ptrIKxEEEESL_NS6_8equal_toIxEEEENSG_9not_fun_tINSD_8identityEEEEENSD_19counting_iterator_tIlEES8_S8_S8_S8_S8_S8_S8_S8_EEEEPS9_S9_NSD_9__find_if7functorIS9_EEEE10hipError_tPvRmT1_T2_T3_mT4_P12ihipStream_tbEUlT_E0_NS1_11comp_targetILNS1_3genE5ELNS1_11target_archE942ELNS1_3gpuE9ELNS1_3repE0EEENS1_30default_config_static_selectorELNS0_4arch9wavefront6targetE0EEEvS14_,"axG",@progbits,_ZN7rocprim17ROCPRIM_400000_NS6detail17trampoline_kernelINS0_14default_configENS1_22reduce_config_selectorIN6thrust23THRUST_200600_302600_NS5tupleIblNS6_9null_typeES8_S8_S8_S8_S8_S8_S8_EEEEZNS1_11reduce_implILb1ES3_NS6_12zip_iteratorINS7_INS6_11hip_rocprim26transform_input_iterator_tIbNSD_35transform_pair_of_input_iterators_tIbNS6_6detail15normal_iteratorINS6_10device_ptrIKxEEEESL_NS6_8equal_toIxEEEENSG_9not_fun_tINSD_8identityEEEEENSD_19counting_iterator_tIlEES8_S8_S8_S8_S8_S8_S8_S8_EEEEPS9_S9_NSD_9__find_if7functorIS9_EEEE10hipError_tPvRmT1_T2_T3_mT4_P12ihipStream_tbEUlT_E0_NS1_11comp_targetILNS1_3genE5ELNS1_11target_archE942ELNS1_3gpuE9ELNS1_3repE0EEENS1_30default_config_static_selectorELNS0_4arch9wavefront6targetE0EEEvS14_,comdat
	.protected	_ZN7rocprim17ROCPRIM_400000_NS6detail17trampoline_kernelINS0_14default_configENS1_22reduce_config_selectorIN6thrust23THRUST_200600_302600_NS5tupleIblNS6_9null_typeES8_S8_S8_S8_S8_S8_S8_EEEEZNS1_11reduce_implILb1ES3_NS6_12zip_iteratorINS7_INS6_11hip_rocprim26transform_input_iterator_tIbNSD_35transform_pair_of_input_iterators_tIbNS6_6detail15normal_iteratorINS6_10device_ptrIKxEEEESL_NS6_8equal_toIxEEEENSG_9not_fun_tINSD_8identityEEEEENSD_19counting_iterator_tIlEES8_S8_S8_S8_S8_S8_S8_S8_EEEEPS9_S9_NSD_9__find_if7functorIS9_EEEE10hipError_tPvRmT1_T2_T3_mT4_P12ihipStream_tbEUlT_E0_NS1_11comp_targetILNS1_3genE5ELNS1_11target_archE942ELNS1_3gpuE9ELNS1_3repE0EEENS1_30default_config_static_selectorELNS0_4arch9wavefront6targetE0EEEvS14_ ; -- Begin function _ZN7rocprim17ROCPRIM_400000_NS6detail17trampoline_kernelINS0_14default_configENS1_22reduce_config_selectorIN6thrust23THRUST_200600_302600_NS5tupleIblNS6_9null_typeES8_S8_S8_S8_S8_S8_S8_EEEEZNS1_11reduce_implILb1ES3_NS6_12zip_iteratorINS7_INS6_11hip_rocprim26transform_input_iterator_tIbNSD_35transform_pair_of_input_iterators_tIbNS6_6detail15normal_iteratorINS6_10device_ptrIKxEEEESL_NS6_8equal_toIxEEEENSG_9not_fun_tINSD_8identityEEEEENSD_19counting_iterator_tIlEES8_S8_S8_S8_S8_S8_S8_S8_EEEEPS9_S9_NSD_9__find_if7functorIS9_EEEE10hipError_tPvRmT1_T2_T3_mT4_P12ihipStream_tbEUlT_E0_NS1_11comp_targetILNS1_3genE5ELNS1_11target_archE942ELNS1_3gpuE9ELNS1_3repE0EEENS1_30default_config_static_selectorELNS0_4arch9wavefront6targetE0EEEvS14_
	.globl	_ZN7rocprim17ROCPRIM_400000_NS6detail17trampoline_kernelINS0_14default_configENS1_22reduce_config_selectorIN6thrust23THRUST_200600_302600_NS5tupleIblNS6_9null_typeES8_S8_S8_S8_S8_S8_S8_EEEEZNS1_11reduce_implILb1ES3_NS6_12zip_iteratorINS7_INS6_11hip_rocprim26transform_input_iterator_tIbNSD_35transform_pair_of_input_iterators_tIbNS6_6detail15normal_iteratorINS6_10device_ptrIKxEEEESL_NS6_8equal_toIxEEEENSG_9not_fun_tINSD_8identityEEEEENSD_19counting_iterator_tIlEES8_S8_S8_S8_S8_S8_S8_S8_EEEEPS9_S9_NSD_9__find_if7functorIS9_EEEE10hipError_tPvRmT1_T2_T3_mT4_P12ihipStream_tbEUlT_E0_NS1_11comp_targetILNS1_3genE5ELNS1_11target_archE942ELNS1_3gpuE9ELNS1_3repE0EEENS1_30default_config_static_selectorELNS0_4arch9wavefront6targetE0EEEvS14_
	.p2align	8
	.type	_ZN7rocprim17ROCPRIM_400000_NS6detail17trampoline_kernelINS0_14default_configENS1_22reduce_config_selectorIN6thrust23THRUST_200600_302600_NS5tupleIblNS6_9null_typeES8_S8_S8_S8_S8_S8_S8_EEEEZNS1_11reduce_implILb1ES3_NS6_12zip_iteratorINS7_INS6_11hip_rocprim26transform_input_iterator_tIbNSD_35transform_pair_of_input_iterators_tIbNS6_6detail15normal_iteratorINS6_10device_ptrIKxEEEESL_NS6_8equal_toIxEEEENSG_9not_fun_tINSD_8identityEEEEENSD_19counting_iterator_tIlEES8_S8_S8_S8_S8_S8_S8_S8_EEEEPS9_S9_NSD_9__find_if7functorIS9_EEEE10hipError_tPvRmT1_T2_T3_mT4_P12ihipStream_tbEUlT_E0_NS1_11comp_targetILNS1_3genE5ELNS1_11target_archE942ELNS1_3gpuE9ELNS1_3repE0EEENS1_30default_config_static_selectorELNS0_4arch9wavefront6targetE0EEEvS14_,@function
_ZN7rocprim17ROCPRIM_400000_NS6detail17trampoline_kernelINS0_14default_configENS1_22reduce_config_selectorIN6thrust23THRUST_200600_302600_NS5tupleIblNS6_9null_typeES8_S8_S8_S8_S8_S8_S8_EEEEZNS1_11reduce_implILb1ES3_NS6_12zip_iteratorINS7_INS6_11hip_rocprim26transform_input_iterator_tIbNSD_35transform_pair_of_input_iterators_tIbNS6_6detail15normal_iteratorINS6_10device_ptrIKxEEEESL_NS6_8equal_toIxEEEENSG_9not_fun_tINSD_8identityEEEEENSD_19counting_iterator_tIlEES8_S8_S8_S8_S8_S8_S8_S8_EEEEPS9_S9_NSD_9__find_if7functorIS9_EEEE10hipError_tPvRmT1_T2_T3_mT4_P12ihipStream_tbEUlT_E0_NS1_11comp_targetILNS1_3genE5ELNS1_11target_archE942ELNS1_3gpuE9ELNS1_3repE0EEENS1_30default_config_static_selectorELNS0_4arch9wavefront6targetE0EEEvS14_: ; @_ZN7rocprim17ROCPRIM_400000_NS6detail17trampoline_kernelINS0_14default_configENS1_22reduce_config_selectorIN6thrust23THRUST_200600_302600_NS5tupleIblNS6_9null_typeES8_S8_S8_S8_S8_S8_S8_EEEEZNS1_11reduce_implILb1ES3_NS6_12zip_iteratorINS7_INS6_11hip_rocprim26transform_input_iterator_tIbNSD_35transform_pair_of_input_iterators_tIbNS6_6detail15normal_iteratorINS6_10device_ptrIKxEEEESL_NS6_8equal_toIxEEEENSG_9not_fun_tINSD_8identityEEEEENSD_19counting_iterator_tIlEES8_S8_S8_S8_S8_S8_S8_S8_EEEEPS9_S9_NSD_9__find_if7functorIS9_EEEE10hipError_tPvRmT1_T2_T3_mT4_P12ihipStream_tbEUlT_E0_NS1_11comp_targetILNS1_3genE5ELNS1_11target_archE942ELNS1_3gpuE9ELNS1_3repE0EEENS1_30default_config_static_selectorELNS0_4arch9wavefront6targetE0EEEvS14_
; %bb.0:
	.section	.rodata,"a",@progbits
	.p2align	6, 0x0
	.amdhsa_kernel _ZN7rocprim17ROCPRIM_400000_NS6detail17trampoline_kernelINS0_14default_configENS1_22reduce_config_selectorIN6thrust23THRUST_200600_302600_NS5tupleIblNS6_9null_typeES8_S8_S8_S8_S8_S8_S8_EEEEZNS1_11reduce_implILb1ES3_NS6_12zip_iteratorINS7_INS6_11hip_rocprim26transform_input_iterator_tIbNSD_35transform_pair_of_input_iterators_tIbNS6_6detail15normal_iteratorINS6_10device_ptrIKxEEEESL_NS6_8equal_toIxEEEENSG_9not_fun_tINSD_8identityEEEEENSD_19counting_iterator_tIlEES8_S8_S8_S8_S8_S8_S8_S8_EEEEPS9_S9_NSD_9__find_if7functorIS9_EEEE10hipError_tPvRmT1_T2_T3_mT4_P12ihipStream_tbEUlT_E0_NS1_11comp_targetILNS1_3genE5ELNS1_11target_archE942ELNS1_3gpuE9ELNS1_3repE0EEENS1_30default_config_static_selectorELNS0_4arch9wavefront6targetE0EEEvS14_
		.amdhsa_group_segment_fixed_size 0
		.amdhsa_private_segment_fixed_size 0
		.amdhsa_kernarg_size 104
		.amdhsa_user_sgpr_count 15
		.amdhsa_user_sgpr_dispatch_ptr 0
		.amdhsa_user_sgpr_queue_ptr 0
		.amdhsa_user_sgpr_kernarg_segment_ptr 1
		.amdhsa_user_sgpr_dispatch_id 0
		.amdhsa_user_sgpr_private_segment_size 0
		.amdhsa_wavefront_size32 1
		.amdhsa_uses_dynamic_stack 0
		.amdhsa_enable_private_segment 0
		.amdhsa_system_sgpr_workgroup_id_x 1
		.amdhsa_system_sgpr_workgroup_id_y 0
		.amdhsa_system_sgpr_workgroup_id_z 0
		.amdhsa_system_sgpr_workgroup_info 0
		.amdhsa_system_vgpr_workitem_id 0
		.amdhsa_next_free_vgpr 1
		.amdhsa_next_free_sgpr 1
		.amdhsa_reserve_vcc 0
		.amdhsa_float_round_mode_32 0
		.amdhsa_float_round_mode_16_64 0
		.amdhsa_float_denorm_mode_32 3
		.amdhsa_float_denorm_mode_16_64 3
		.amdhsa_dx10_clamp 1
		.amdhsa_ieee_mode 1
		.amdhsa_fp16_overflow 0
		.amdhsa_workgroup_processor_mode 1
		.amdhsa_memory_ordered 1
		.amdhsa_forward_progress 0
		.amdhsa_shared_vgpr_count 0
		.amdhsa_exception_fp_ieee_invalid_op 0
		.amdhsa_exception_fp_denorm_src 0
		.amdhsa_exception_fp_ieee_div_zero 0
		.amdhsa_exception_fp_ieee_overflow 0
		.amdhsa_exception_fp_ieee_underflow 0
		.amdhsa_exception_fp_ieee_inexact 0
		.amdhsa_exception_int_div_zero 0
	.end_amdhsa_kernel
	.section	.text._ZN7rocprim17ROCPRIM_400000_NS6detail17trampoline_kernelINS0_14default_configENS1_22reduce_config_selectorIN6thrust23THRUST_200600_302600_NS5tupleIblNS6_9null_typeES8_S8_S8_S8_S8_S8_S8_EEEEZNS1_11reduce_implILb1ES3_NS6_12zip_iteratorINS7_INS6_11hip_rocprim26transform_input_iterator_tIbNSD_35transform_pair_of_input_iterators_tIbNS6_6detail15normal_iteratorINS6_10device_ptrIKxEEEESL_NS6_8equal_toIxEEEENSG_9not_fun_tINSD_8identityEEEEENSD_19counting_iterator_tIlEES8_S8_S8_S8_S8_S8_S8_S8_EEEEPS9_S9_NSD_9__find_if7functorIS9_EEEE10hipError_tPvRmT1_T2_T3_mT4_P12ihipStream_tbEUlT_E0_NS1_11comp_targetILNS1_3genE5ELNS1_11target_archE942ELNS1_3gpuE9ELNS1_3repE0EEENS1_30default_config_static_selectorELNS0_4arch9wavefront6targetE0EEEvS14_,"axG",@progbits,_ZN7rocprim17ROCPRIM_400000_NS6detail17trampoline_kernelINS0_14default_configENS1_22reduce_config_selectorIN6thrust23THRUST_200600_302600_NS5tupleIblNS6_9null_typeES8_S8_S8_S8_S8_S8_S8_EEEEZNS1_11reduce_implILb1ES3_NS6_12zip_iteratorINS7_INS6_11hip_rocprim26transform_input_iterator_tIbNSD_35transform_pair_of_input_iterators_tIbNS6_6detail15normal_iteratorINS6_10device_ptrIKxEEEESL_NS6_8equal_toIxEEEENSG_9not_fun_tINSD_8identityEEEEENSD_19counting_iterator_tIlEES8_S8_S8_S8_S8_S8_S8_S8_EEEEPS9_S9_NSD_9__find_if7functorIS9_EEEE10hipError_tPvRmT1_T2_T3_mT4_P12ihipStream_tbEUlT_E0_NS1_11comp_targetILNS1_3genE5ELNS1_11target_archE942ELNS1_3gpuE9ELNS1_3repE0EEENS1_30default_config_static_selectorELNS0_4arch9wavefront6targetE0EEEvS14_,comdat
.Lfunc_end520:
	.size	_ZN7rocprim17ROCPRIM_400000_NS6detail17trampoline_kernelINS0_14default_configENS1_22reduce_config_selectorIN6thrust23THRUST_200600_302600_NS5tupleIblNS6_9null_typeES8_S8_S8_S8_S8_S8_S8_EEEEZNS1_11reduce_implILb1ES3_NS6_12zip_iteratorINS7_INS6_11hip_rocprim26transform_input_iterator_tIbNSD_35transform_pair_of_input_iterators_tIbNS6_6detail15normal_iteratorINS6_10device_ptrIKxEEEESL_NS6_8equal_toIxEEEENSG_9not_fun_tINSD_8identityEEEEENSD_19counting_iterator_tIlEES8_S8_S8_S8_S8_S8_S8_S8_EEEEPS9_S9_NSD_9__find_if7functorIS9_EEEE10hipError_tPvRmT1_T2_T3_mT4_P12ihipStream_tbEUlT_E0_NS1_11comp_targetILNS1_3genE5ELNS1_11target_archE942ELNS1_3gpuE9ELNS1_3repE0EEENS1_30default_config_static_selectorELNS0_4arch9wavefront6targetE0EEEvS14_, .Lfunc_end520-_ZN7rocprim17ROCPRIM_400000_NS6detail17trampoline_kernelINS0_14default_configENS1_22reduce_config_selectorIN6thrust23THRUST_200600_302600_NS5tupleIblNS6_9null_typeES8_S8_S8_S8_S8_S8_S8_EEEEZNS1_11reduce_implILb1ES3_NS6_12zip_iteratorINS7_INS6_11hip_rocprim26transform_input_iterator_tIbNSD_35transform_pair_of_input_iterators_tIbNS6_6detail15normal_iteratorINS6_10device_ptrIKxEEEESL_NS6_8equal_toIxEEEENSG_9not_fun_tINSD_8identityEEEEENSD_19counting_iterator_tIlEES8_S8_S8_S8_S8_S8_S8_S8_EEEEPS9_S9_NSD_9__find_if7functorIS9_EEEE10hipError_tPvRmT1_T2_T3_mT4_P12ihipStream_tbEUlT_E0_NS1_11comp_targetILNS1_3genE5ELNS1_11target_archE942ELNS1_3gpuE9ELNS1_3repE0EEENS1_30default_config_static_selectorELNS0_4arch9wavefront6targetE0EEEvS14_
                                        ; -- End function
	.section	.AMDGPU.csdata,"",@progbits
; Kernel info:
; codeLenInByte = 0
; NumSgprs: 0
; NumVgprs: 0
; ScratchSize: 0
; MemoryBound: 0
; FloatMode: 240
; IeeeMode: 1
; LDSByteSize: 0 bytes/workgroup (compile time only)
; SGPRBlocks: 0
; VGPRBlocks: 0
; NumSGPRsForWavesPerEU: 1
; NumVGPRsForWavesPerEU: 1
; Occupancy: 16
; WaveLimiterHint : 0
; COMPUTE_PGM_RSRC2:SCRATCH_EN: 0
; COMPUTE_PGM_RSRC2:USER_SGPR: 15
; COMPUTE_PGM_RSRC2:TRAP_HANDLER: 0
; COMPUTE_PGM_RSRC2:TGID_X_EN: 1
; COMPUTE_PGM_RSRC2:TGID_Y_EN: 0
; COMPUTE_PGM_RSRC2:TGID_Z_EN: 0
; COMPUTE_PGM_RSRC2:TIDIG_COMP_CNT: 0
	.section	.text._ZN7rocprim17ROCPRIM_400000_NS6detail17trampoline_kernelINS0_14default_configENS1_22reduce_config_selectorIN6thrust23THRUST_200600_302600_NS5tupleIblNS6_9null_typeES8_S8_S8_S8_S8_S8_S8_EEEEZNS1_11reduce_implILb1ES3_NS6_12zip_iteratorINS7_INS6_11hip_rocprim26transform_input_iterator_tIbNSD_35transform_pair_of_input_iterators_tIbNS6_6detail15normal_iteratorINS6_10device_ptrIKxEEEESL_NS6_8equal_toIxEEEENSG_9not_fun_tINSD_8identityEEEEENSD_19counting_iterator_tIlEES8_S8_S8_S8_S8_S8_S8_S8_EEEEPS9_S9_NSD_9__find_if7functorIS9_EEEE10hipError_tPvRmT1_T2_T3_mT4_P12ihipStream_tbEUlT_E0_NS1_11comp_targetILNS1_3genE4ELNS1_11target_archE910ELNS1_3gpuE8ELNS1_3repE0EEENS1_30default_config_static_selectorELNS0_4arch9wavefront6targetE0EEEvS14_,"axG",@progbits,_ZN7rocprim17ROCPRIM_400000_NS6detail17trampoline_kernelINS0_14default_configENS1_22reduce_config_selectorIN6thrust23THRUST_200600_302600_NS5tupleIblNS6_9null_typeES8_S8_S8_S8_S8_S8_S8_EEEEZNS1_11reduce_implILb1ES3_NS6_12zip_iteratorINS7_INS6_11hip_rocprim26transform_input_iterator_tIbNSD_35transform_pair_of_input_iterators_tIbNS6_6detail15normal_iteratorINS6_10device_ptrIKxEEEESL_NS6_8equal_toIxEEEENSG_9not_fun_tINSD_8identityEEEEENSD_19counting_iterator_tIlEES8_S8_S8_S8_S8_S8_S8_S8_EEEEPS9_S9_NSD_9__find_if7functorIS9_EEEE10hipError_tPvRmT1_T2_T3_mT4_P12ihipStream_tbEUlT_E0_NS1_11comp_targetILNS1_3genE4ELNS1_11target_archE910ELNS1_3gpuE8ELNS1_3repE0EEENS1_30default_config_static_selectorELNS0_4arch9wavefront6targetE0EEEvS14_,comdat
	.protected	_ZN7rocprim17ROCPRIM_400000_NS6detail17trampoline_kernelINS0_14default_configENS1_22reduce_config_selectorIN6thrust23THRUST_200600_302600_NS5tupleIblNS6_9null_typeES8_S8_S8_S8_S8_S8_S8_EEEEZNS1_11reduce_implILb1ES3_NS6_12zip_iteratorINS7_INS6_11hip_rocprim26transform_input_iterator_tIbNSD_35transform_pair_of_input_iterators_tIbNS6_6detail15normal_iteratorINS6_10device_ptrIKxEEEESL_NS6_8equal_toIxEEEENSG_9not_fun_tINSD_8identityEEEEENSD_19counting_iterator_tIlEES8_S8_S8_S8_S8_S8_S8_S8_EEEEPS9_S9_NSD_9__find_if7functorIS9_EEEE10hipError_tPvRmT1_T2_T3_mT4_P12ihipStream_tbEUlT_E0_NS1_11comp_targetILNS1_3genE4ELNS1_11target_archE910ELNS1_3gpuE8ELNS1_3repE0EEENS1_30default_config_static_selectorELNS0_4arch9wavefront6targetE0EEEvS14_ ; -- Begin function _ZN7rocprim17ROCPRIM_400000_NS6detail17trampoline_kernelINS0_14default_configENS1_22reduce_config_selectorIN6thrust23THRUST_200600_302600_NS5tupleIblNS6_9null_typeES8_S8_S8_S8_S8_S8_S8_EEEEZNS1_11reduce_implILb1ES3_NS6_12zip_iteratorINS7_INS6_11hip_rocprim26transform_input_iterator_tIbNSD_35transform_pair_of_input_iterators_tIbNS6_6detail15normal_iteratorINS6_10device_ptrIKxEEEESL_NS6_8equal_toIxEEEENSG_9not_fun_tINSD_8identityEEEEENSD_19counting_iterator_tIlEES8_S8_S8_S8_S8_S8_S8_S8_EEEEPS9_S9_NSD_9__find_if7functorIS9_EEEE10hipError_tPvRmT1_T2_T3_mT4_P12ihipStream_tbEUlT_E0_NS1_11comp_targetILNS1_3genE4ELNS1_11target_archE910ELNS1_3gpuE8ELNS1_3repE0EEENS1_30default_config_static_selectorELNS0_4arch9wavefront6targetE0EEEvS14_
	.globl	_ZN7rocprim17ROCPRIM_400000_NS6detail17trampoline_kernelINS0_14default_configENS1_22reduce_config_selectorIN6thrust23THRUST_200600_302600_NS5tupleIblNS6_9null_typeES8_S8_S8_S8_S8_S8_S8_EEEEZNS1_11reduce_implILb1ES3_NS6_12zip_iteratorINS7_INS6_11hip_rocprim26transform_input_iterator_tIbNSD_35transform_pair_of_input_iterators_tIbNS6_6detail15normal_iteratorINS6_10device_ptrIKxEEEESL_NS6_8equal_toIxEEEENSG_9not_fun_tINSD_8identityEEEEENSD_19counting_iterator_tIlEES8_S8_S8_S8_S8_S8_S8_S8_EEEEPS9_S9_NSD_9__find_if7functorIS9_EEEE10hipError_tPvRmT1_T2_T3_mT4_P12ihipStream_tbEUlT_E0_NS1_11comp_targetILNS1_3genE4ELNS1_11target_archE910ELNS1_3gpuE8ELNS1_3repE0EEENS1_30default_config_static_selectorELNS0_4arch9wavefront6targetE0EEEvS14_
	.p2align	8
	.type	_ZN7rocprim17ROCPRIM_400000_NS6detail17trampoline_kernelINS0_14default_configENS1_22reduce_config_selectorIN6thrust23THRUST_200600_302600_NS5tupleIblNS6_9null_typeES8_S8_S8_S8_S8_S8_S8_EEEEZNS1_11reduce_implILb1ES3_NS6_12zip_iteratorINS7_INS6_11hip_rocprim26transform_input_iterator_tIbNSD_35transform_pair_of_input_iterators_tIbNS6_6detail15normal_iteratorINS6_10device_ptrIKxEEEESL_NS6_8equal_toIxEEEENSG_9not_fun_tINSD_8identityEEEEENSD_19counting_iterator_tIlEES8_S8_S8_S8_S8_S8_S8_S8_EEEEPS9_S9_NSD_9__find_if7functorIS9_EEEE10hipError_tPvRmT1_T2_T3_mT4_P12ihipStream_tbEUlT_E0_NS1_11comp_targetILNS1_3genE4ELNS1_11target_archE910ELNS1_3gpuE8ELNS1_3repE0EEENS1_30default_config_static_selectorELNS0_4arch9wavefront6targetE0EEEvS14_,@function
_ZN7rocprim17ROCPRIM_400000_NS6detail17trampoline_kernelINS0_14default_configENS1_22reduce_config_selectorIN6thrust23THRUST_200600_302600_NS5tupleIblNS6_9null_typeES8_S8_S8_S8_S8_S8_S8_EEEEZNS1_11reduce_implILb1ES3_NS6_12zip_iteratorINS7_INS6_11hip_rocprim26transform_input_iterator_tIbNSD_35transform_pair_of_input_iterators_tIbNS6_6detail15normal_iteratorINS6_10device_ptrIKxEEEESL_NS6_8equal_toIxEEEENSG_9not_fun_tINSD_8identityEEEEENSD_19counting_iterator_tIlEES8_S8_S8_S8_S8_S8_S8_S8_EEEEPS9_S9_NSD_9__find_if7functorIS9_EEEE10hipError_tPvRmT1_T2_T3_mT4_P12ihipStream_tbEUlT_E0_NS1_11comp_targetILNS1_3genE4ELNS1_11target_archE910ELNS1_3gpuE8ELNS1_3repE0EEENS1_30default_config_static_selectorELNS0_4arch9wavefront6targetE0EEEvS14_: ; @_ZN7rocprim17ROCPRIM_400000_NS6detail17trampoline_kernelINS0_14default_configENS1_22reduce_config_selectorIN6thrust23THRUST_200600_302600_NS5tupleIblNS6_9null_typeES8_S8_S8_S8_S8_S8_S8_EEEEZNS1_11reduce_implILb1ES3_NS6_12zip_iteratorINS7_INS6_11hip_rocprim26transform_input_iterator_tIbNSD_35transform_pair_of_input_iterators_tIbNS6_6detail15normal_iteratorINS6_10device_ptrIKxEEEESL_NS6_8equal_toIxEEEENSG_9not_fun_tINSD_8identityEEEEENSD_19counting_iterator_tIlEES8_S8_S8_S8_S8_S8_S8_S8_EEEEPS9_S9_NSD_9__find_if7functorIS9_EEEE10hipError_tPvRmT1_T2_T3_mT4_P12ihipStream_tbEUlT_E0_NS1_11comp_targetILNS1_3genE4ELNS1_11target_archE910ELNS1_3gpuE8ELNS1_3repE0EEENS1_30default_config_static_selectorELNS0_4arch9wavefront6targetE0EEEvS14_
; %bb.0:
	.section	.rodata,"a",@progbits
	.p2align	6, 0x0
	.amdhsa_kernel _ZN7rocprim17ROCPRIM_400000_NS6detail17trampoline_kernelINS0_14default_configENS1_22reduce_config_selectorIN6thrust23THRUST_200600_302600_NS5tupleIblNS6_9null_typeES8_S8_S8_S8_S8_S8_S8_EEEEZNS1_11reduce_implILb1ES3_NS6_12zip_iteratorINS7_INS6_11hip_rocprim26transform_input_iterator_tIbNSD_35transform_pair_of_input_iterators_tIbNS6_6detail15normal_iteratorINS6_10device_ptrIKxEEEESL_NS6_8equal_toIxEEEENSG_9not_fun_tINSD_8identityEEEEENSD_19counting_iterator_tIlEES8_S8_S8_S8_S8_S8_S8_S8_EEEEPS9_S9_NSD_9__find_if7functorIS9_EEEE10hipError_tPvRmT1_T2_T3_mT4_P12ihipStream_tbEUlT_E0_NS1_11comp_targetILNS1_3genE4ELNS1_11target_archE910ELNS1_3gpuE8ELNS1_3repE0EEENS1_30default_config_static_selectorELNS0_4arch9wavefront6targetE0EEEvS14_
		.amdhsa_group_segment_fixed_size 0
		.amdhsa_private_segment_fixed_size 0
		.amdhsa_kernarg_size 104
		.amdhsa_user_sgpr_count 15
		.amdhsa_user_sgpr_dispatch_ptr 0
		.amdhsa_user_sgpr_queue_ptr 0
		.amdhsa_user_sgpr_kernarg_segment_ptr 1
		.amdhsa_user_sgpr_dispatch_id 0
		.amdhsa_user_sgpr_private_segment_size 0
		.amdhsa_wavefront_size32 1
		.amdhsa_uses_dynamic_stack 0
		.amdhsa_enable_private_segment 0
		.amdhsa_system_sgpr_workgroup_id_x 1
		.amdhsa_system_sgpr_workgroup_id_y 0
		.amdhsa_system_sgpr_workgroup_id_z 0
		.amdhsa_system_sgpr_workgroup_info 0
		.amdhsa_system_vgpr_workitem_id 0
		.amdhsa_next_free_vgpr 1
		.amdhsa_next_free_sgpr 1
		.amdhsa_reserve_vcc 0
		.amdhsa_float_round_mode_32 0
		.amdhsa_float_round_mode_16_64 0
		.amdhsa_float_denorm_mode_32 3
		.amdhsa_float_denorm_mode_16_64 3
		.amdhsa_dx10_clamp 1
		.amdhsa_ieee_mode 1
		.amdhsa_fp16_overflow 0
		.amdhsa_workgroup_processor_mode 1
		.amdhsa_memory_ordered 1
		.amdhsa_forward_progress 0
		.amdhsa_shared_vgpr_count 0
		.amdhsa_exception_fp_ieee_invalid_op 0
		.amdhsa_exception_fp_denorm_src 0
		.amdhsa_exception_fp_ieee_div_zero 0
		.amdhsa_exception_fp_ieee_overflow 0
		.amdhsa_exception_fp_ieee_underflow 0
		.amdhsa_exception_fp_ieee_inexact 0
		.amdhsa_exception_int_div_zero 0
	.end_amdhsa_kernel
	.section	.text._ZN7rocprim17ROCPRIM_400000_NS6detail17trampoline_kernelINS0_14default_configENS1_22reduce_config_selectorIN6thrust23THRUST_200600_302600_NS5tupleIblNS6_9null_typeES8_S8_S8_S8_S8_S8_S8_EEEEZNS1_11reduce_implILb1ES3_NS6_12zip_iteratorINS7_INS6_11hip_rocprim26transform_input_iterator_tIbNSD_35transform_pair_of_input_iterators_tIbNS6_6detail15normal_iteratorINS6_10device_ptrIKxEEEESL_NS6_8equal_toIxEEEENSG_9not_fun_tINSD_8identityEEEEENSD_19counting_iterator_tIlEES8_S8_S8_S8_S8_S8_S8_S8_EEEEPS9_S9_NSD_9__find_if7functorIS9_EEEE10hipError_tPvRmT1_T2_T3_mT4_P12ihipStream_tbEUlT_E0_NS1_11comp_targetILNS1_3genE4ELNS1_11target_archE910ELNS1_3gpuE8ELNS1_3repE0EEENS1_30default_config_static_selectorELNS0_4arch9wavefront6targetE0EEEvS14_,"axG",@progbits,_ZN7rocprim17ROCPRIM_400000_NS6detail17trampoline_kernelINS0_14default_configENS1_22reduce_config_selectorIN6thrust23THRUST_200600_302600_NS5tupleIblNS6_9null_typeES8_S8_S8_S8_S8_S8_S8_EEEEZNS1_11reduce_implILb1ES3_NS6_12zip_iteratorINS7_INS6_11hip_rocprim26transform_input_iterator_tIbNSD_35transform_pair_of_input_iterators_tIbNS6_6detail15normal_iteratorINS6_10device_ptrIKxEEEESL_NS6_8equal_toIxEEEENSG_9not_fun_tINSD_8identityEEEEENSD_19counting_iterator_tIlEES8_S8_S8_S8_S8_S8_S8_S8_EEEEPS9_S9_NSD_9__find_if7functorIS9_EEEE10hipError_tPvRmT1_T2_T3_mT4_P12ihipStream_tbEUlT_E0_NS1_11comp_targetILNS1_3genE4ELNS1_11target_archE910ELNS1_3gpuE8ELNS1_3repE0EEENS1_30default_config_static_selectorELNS0_4arch9wavefront6targetE0EEEvS14_,comdat
.Lfunc_end521:
	.size	_ZN7rocprim17ROCPRIM_400000_NS6detail17trampoline_kernelINS0_14default_configENS1_22reduce_config_selectorIN6thrust23THRUST_200600_302600_NS5tupleIblNS6_9null_typeES8_S8_S8_S8_S8_S8_S8_EEEEZNS1_11reduce_implILb1ES3_NS6_12zip_iteratorINS7_INS6_11hip_rocprim26transform_input_iterator_tIbNSD_35transform_pair_of_input_iterators_tIbNS6_6detail15normal_iteratorINS6_10device_ptrIKxEEEESL_NS6_8equal_toIxEEEENSG_9not_fun_tINSD_8identityEEEEENSD_19counting_iterator_tIlEES8_S8_S8_S8_S8_S8_S8_S8_EEEEPS9_S9_NSD_9__find_if7functorIS9_EEEE10hipError_tPvRmT1_T2_T3_mT4_P12ihipStream_tbEUlT_E0_NS1_11comp_targetILNS1_3genE4ELNS1_11target_archE910ELNS1_3gpuE8ELNS1_3repE0EEENS1_30default_config_static_selectorELNS0_4arch9wavefront6targetE0EEEvS14_, .Lfunc_end521-_ZN7rocprim17ROCPRIM_400000_NS6detail17trampoline_kernelINS0_14default_configENS1_22reduce_config_selectorIN6thrust23THRUST_200600_302600_NS5tupleIblNS6_9null_typeES8_S8_S8_S8_S8_S8_S8_EEEEZNS1_11reduce_implILb1ES3_NS6_12zip_iteratorINS7_INS6_11hip_rocprim26transform_input_iterator_tIbNSD_35transform_pair_of_input_iterators_tIbNS6_6detail15normal_iteratorINS6_10device_ptrIKxEEEESL_NS6_8equal_toIxEEEENSG_9not_fun_tINSD_8identityEEEEENSD_19counting_iterator_tIlEES8_S8_S8_S8_S8_S8_S8_S8_EEEEPS9_S9_NSD_9__find_if7functorIS9_EEEE10hipError_tPvRmT1_T2_T3_mT4_P12ihipStream_tbEUlT_E0_NS1_11comp_targetILNS1_3genE4ELNS1_11target_archE910ELNS1_3gpuE8ELNS1_3repE0EEENS1_30default_config_static_selectorELNS0_4arch9wavefront6targetE0EEEvS14_
                                        ; -- End function
	.section	.AMDGPU.csdata,"",@progbits
; Kernel info:
; codeLenInByte = 0
; NumSgprs: 0
; NumVgprs: 0
; ScratchSize: 0
; MemoryBound: 0
; FloatMode: 240
; IeeeMode: 1
; LDSByteSize: 0 bytes/workgroup (compile time only)
; SGPRBlocks: 0
; VGPRBlocks: 0
; NumSGPRsForWavesPerEU: 1
; NumVGPRsForWavesPerEU: 1
; Occupancy: 16
; WaveLimiterHint : 0
; COMPUTE_PGM_RSRC2:SCRATCH_EN: 0
; COMPUTE_PGM_RSRC2:USER_SGPR: 15
; COMPUTE_PGM_RSRC2:TRAP_HANDLER: 0
; COMPUTE_PGM_RSRC2:TGID_X_EN: 1
; COMPUTE_PGM_RSRC2:TGID_Y_EN: 0
; COMPUTE_PGM_RSRC2:TGID_Z_EN: 0
; COMPUTE_PGM_RSRC2:TIDIG_COMP_CNT: 0
	.section	.text._ZN7rocprim17ROCPRIM_400000_NS6detail17trampoline_kernelINS0_14default_configENS1_22reduce_config_selectorIN6thrust23THRUST_200600_302600_NS5tupleIblNS6_9null_typeES8_S8_S8_S8_S8_S8_S8_EEEEZNS1_11reduce_implILb1ES3_NS6_12zip_iteratorINS7_INS6_11hip_rocprim26transform_input_iterator_tIbNSD_35transform_pair_of_input_iterators_tIbNS6_6detail15normal_iteratorINS6_10device_ptrIKxEEEESL_NS6_8equal_toIxEEEENSG_9not_fun_tINSD_8identityEEEEENSD_19counting_iterator_tIlEES8_S8_S8_S8_S8_S8_S8_S8_EEEEPS9_S9_NSD_9__find_if7functorIS9_EEEE10hipError_tPvRmT1_T2_T3_mT4_P12ihipStream_tbEUlT_E0_NS1_11comp_targetILNS1_3genE3ELNS1_11target_archE908ELNS1_3gpuE7ELNS1_3repE0EEENS1_30default_config_static_selectorELNS0_4arch9wavefront6targetE0EEEvS14_,"axG",@progbits,_ZN7rocprim17ROCPRIM_400000_NS6detail17trampoline_kernelINS0_14default_configENS1_22reduce_config_selectorIN6thrust23THRUST_200600_302600_NS5tupleIblNS6_9null_typeES8_S8_S8_S8_S8_S8_S8_EEEEZNS1_11reduce_implILb1ES3_NS6_12zip_iteratorINS7_INS6_11hip_rocprim26transform_input_iterator_tIbNSD_35transform_pair_of_input_iterators_tIbNS6_6detail15normal_iteratorINS6_10device_ptrIKxEEEESL_NS6_8equal_toIxEEEENSG_9not_fun_tINSD_8identityEEEEENSD_19counting_iterator_tIlEES8_S8_S8_S8_S8_S8_S8_S8_EEEEPS9_S9_NSD_9__find_if7functorIS9_EEEE10hipError_tPvRmT1_T2_T3_mT4_P12ihipStream_tbEUlT_E0_NS1_11comp_targetILNS1_3genE3ELNS1_11target_archE908ELNS1_3gpuE7ELNS1_3repE0EEENS1_30default_config_static_selectorELNS0_4arch9wavefront6targetE0EEEvS14_,comdat
	.protected	_ZN7rocprim17ROCPRIM_400000_NS6detail17trampoline_kernelINS0_14default_configENS1_22reduce_config_selectorIN6thrust23THRUST_200600_302600_NS5tupleIblNS6_9null_typeES8_S8_S8_S8_S8_S8_S8_EEEEZNS1_11reduce_implILb1ES3_NS6_12zip_iteratorINS7_INS6_11hip_rocprim26transform_input_iterator_tIbNSD_35transform_pair_of_input_iterators_tIbNS6_6detail15normal_iteratorINS6_10device_ptrIKxEEEESL_NS6_8equal_toIxEEEENSG_9not_fun_tINSD_8identityEEEEENSD_19counting_iterator_tIlEES8_S8_S8_S8_S8_S8_S8_S8_EEEEPS9_S9_NSD_9__find_if7functorIS9_EEEE10hipError_tPvRmT1_T2_T3_mT4_P12ihipStream_tbEUlT_E0_NS1_11comp_targetILNS1_3genE3ELNS1_11target_archE908ELNS1_3gpuE7ELNS1_3repE0EEENS1_30default_config_static_selectorELNS0_4arch9wavefront6targetE0EEEvS14_ ; -- Begin function _ZN7rocprim17ROCPRIM_400000_NS6detail17trampoline_kernelINS0_14default_configENS1_22reduce_config_selectorIN6thrust23THRUST_200600_302600_NS5tupleIblNS6_9null_typeES8_S8_S8_S8_S8_S8_S8_EEEEZNS1_11reduce_implILb1ES3_NS6_12zip_iteratorINS7_INS6_11hip_rocprim26transform_input_iterator_tIbNSD_35transform_pair_of_input_iterators_tIbNS6_6detail15normal_iteratorINS6_10device_ptrIKxEEEESL_NS6_8equal_toIxEEEENSG_9not_fun_tINSD_8identityEEEEENSD_19counting_iterator_tIlEES8_S8_S8_S8_S8_S8_S8_S8_EEEEPS9_S9_NSD_9__find_if7functorIS9_EEEE10hipError_tPvRmT1_T2_T3_mT4_P12ihipStream_tbEUlT_E0_NS1_11comp_targetILNS1_3genE3ELNS1_11target_archE908ELNS1_3gpuE7ELNS1_3repE0EEENS1_30default_config_static_selectorELNS0_4arch9wavefront6targetE0EEEvS14_
	.globl	_ZN7rocprim17ROCPRIM_400000_NS6detail17trampoline_kernelINS0_14default_configENS1_22reduce_config_selectorIN6thrust23THRUST_200600_302600_NS5tupleIblNS6_9null_typeES8_S8_S8_S8_S8_S8_S8_EEEEZNS1_11reduce_implILb1ES3_NS6_12zip_iteratorINS7_INS6_11hip_rocprim26transform_input_iterator_tIbNSD_35transform_pair_of_input_iterators_tIbNS6_6detail15normal_iteratorINS6_10device_ptrIKxEEEESL_NS6_8equal_toIxEEEENSG_9not_fun_tINSD_8identityEEEEENSD_19counting_iterator_tIlEES8_S8_S8_S8_S8_S8_S8_S8_EEEEPS9_S9_NSD_9__find_if7functorIS9_EEEE10hipError_tPvRmT1_T2_T3_mT4_P12ihipStream_tbEUlT_E0_NS1_11comp_targetILNS1_3genE3ELNS1_11target_archE908ELNS1_3gpuE7ELNS1_3repE0EEENS1_30default_config_static_selectorELNS0_4arch9wavefront6targetE0EEEvS14_
	.p2align	8
	.type	_ZN7rocprim17ROCPRIM_400000_NS6detail17trampoline_kernelINS0_14default_configENS1_22reduce_config_selectorIN6thrust23THRUST_200600_302600_NS5tupleIblNS6_9null_typeES8_S8_S8_S8_S8_S8_S8_EEEEZNS1_11reduce_implILb1ES3_NS6_12zip_iteratorINS7_INS6_11hip_rocprim26transform_input_iterator_tIbNSD_35transform_pair_of_input_iterators_tIbNS6_6detail15normal_iteratorINS6_10device_ptrIKxEEEESL_NS6_8equal_toIxEEEENSG_9not_fun_tINSD_8identityEEEEENSD_19counting_iterator_tIlEES8_S8_S8_S8_S8_S8_S8_S8_EEEEPS9_S9_NSD_9__find_if7functorIS9_EEEE10hipError_tPvRmT1_T2_T3_mT4_P12ihipStream_tbEUlT_E0_NS1_11comp_targetILNS1_3genE3ELNS1_11target_archE908ELNS1_3gpuE7ELNS1_3repE0EEENS1_30default_config_static_selectorELNS0_4arch9wavefront6targetE0EEEvS14_,@function
_ZN7rocprim17ROCPRIM_400000_NS6detail17trampoline_kernelINS0_14default_configENS1_22reduce_config_selectorIN6thrust23THRUST_200600_302600_NS5tupleIblNS6_9null_typeES8_S8_S8_S8_S8_S8_S8_EEEEZNS1_11reduce_implILb1ES3_NS6_12zip_iteratorINS7_INS6_11hip_rocprim26transform_input_iterator_tIbNSD_35transform_pair_of_input_iterators_tIbNS6_6detail15normal_iteratorINS6_10device_ptrIKxEEEESL_NS6_8equal_toIxEEEENSG_9not_fun_tINSD_8identityEEEEENSD_19counting_iterator_tIlEES8_S8_S8_S8_S8_S8_S8_S8_EEEEPS9_S9_NSD_9__find_if7functorIS9_EEEE10hipError_tPvRmT1_T2_T3_mT4_P12ihipStream_tbEUlT_E0_NS1_11comp_targetILNS1_3genE3ELNS1_11target_archE908ELNS1_3gpuE7ELNS1_3repE0EEENS1_30default_config_static_selectorELNS0_4arch9wavefront6targetE0EEEvS14_: ; @_ZN7rocprim17ROCPRIM_400000_NS6detail17trampoline_kernelINS0_14default_configENS1_22reduce_config_selectorIN6thrust23THRUST_200600_302600_NS5tupleIblNS6_9null_typeES8_S8_S8_S8_S8_S8_S8_EEEEZNS1_11reduce_implILb1ES3_NS6_12zip_iteratorINS7_INS6_11hip_rocprim26transform_input_iterator_tIbNSD_35transform_pair_of_input_iterators_tIbNS6_6detail15normal_iteratorINS6_10device_ptrIKxEEEESL_NS6_8equal_toIxEEEENSG_9not_fun_tINSD_8identityEEEEENSD_19counting_iterator_tIlEES8_S8_S8_S8_S8_S8_S8_S8_EEEEPS9_S9_NSD_9__find_if7functorIS9_EEEE10hipError_tPvRmT1_T2_T3_mT4_P12ihipStream_tbEUlT_E0_NS1_11comp_targetILNS1_3genE3ELNS1_11target_archE908ELNS1_3gpuE7ELNS1_3repE0EEENS1_30default_config_static_selectorELNS0_4arch9wavefront6targetE0EEEvS14_
; %bb.0:
	.section	.rodata,"a",@progbits
	.p2align	6, 0x0
	.amdhsa_kernel _ZN7rocprim17ROCPRIM_400000_NS6detail17trampoline_kernelINS0_14default_configENS1_22reduce_config_selectorIN6thrust23THRUST_200600_302600_NS5tupleIblNS6_9null_typeES8_S8_S8_S8_S8_S8_S8_EEEEZNS1_11reduce_implILb1ES3_NS6_12zip_iteratorINS7_INS6_11hip_rocprim26transform_input_iterator_tIbNSD_35transform_pair_of_input_iterators_tIbNS6_6detail15normal_iteratorINS6_10device_ptrIKxEEEESL_NS6_8equal_toIxEEEENSG_9not_fun_tINSD_8identityEEEEENSD_19counting_iterator_tIlEES8_S8_S8_S8_S8_S8_S8_S8_EEEEPS9_S9_NSD_9__find_if7functorIS9_EEEE10hipError_tPvRmT1_T2_T3_mT4_P12ihipStream_tbEUlT_E0_NS1_11comp_targetILNS1_3genE3ELNS1_11target_archE908ELNS1_3gpuE7ELNS1_3repE0EEENS1_30default_config_static_selectorELNS0_4arch9wavefront6targetE0EEEvS14_
		.amdhsa_group_segment_fixed_size 0
		.amdhsa_private_segment_fixed_size 0
		.amdhsa_kernarg_size 104
		.amdhsa_user_sgpr_count 15
		.amdhsa_user_sgpr_dispatch_ptr 0
		.amdhsa_user_sgpr_queue_ptr 0
		.amdhsa_user_sgpr_kernarg_segment_ptr 1
		.amdhsa_user_sgpr_dispatch_id 0
		.amdhsa_user_sgpr_private_segment_size 0
		.amdhsa_wavefront_size32 1
		.amdhsa_uses_dynamic_stack 0
		.amdhsa_enable_private_segment 0
		.amdhsa_system_sgpr_workgroup_id_x 1
		.amdhsa_system_sgpr_workgroup_id_y 0
		.amdhsa_system_sgpr_workgroup_id_z 0
		.amdhsa_system_sgpr_workgroup_info 0
		.amdhsa_system_vgpr_workitem_id 0
		.amdhsa_next_free_vgpr 1
		.amdhsa_next_free_sgpr 1
		.amdhsa_reserve_vcc 0
		.amdhsa_float_round_mode_32 0
		.amdhsa_float_round_mode_16_64 0
		.amdhsa_float_denorm_mode_32 3
		.amdhsa_float_denorm_mode_16_64 3
		.amdhsa_dx10_clamp 1
		.amdhsa_ieee_mode 1
		.amdhsa_fp16_overflow 0
		.amdhsa_workgroup_processor_mode 1
		.amdhsa_memory_ordered 1
		.amdhsa_forward_progress 0
		.amdhsa_shared_vgpr_count 0
		.amdhsa_exception_fp_ieee_invalid_op 0
		.amdhsa_exception_fp_denorm_src 0
		.amdhsa_exception_fp_ieee_div_zero 0
		.amdhsa_exception_fp_ieee_overflow 0
		.amdhsa_exception_fp_ieee_underflow 0
		.amdhsa_exception_fp_ieee_inexact 0
		.amdhsa_exception_int_div_zero 0
	.end_amdhsa_kernel
	.section	.text._ZN7rocprim17ROCPRIM_400000_NS6detail17trampoline_kernelINS0_14default_configENS1_22reduce_config_selectorIN6thrust23THRUST_200600_302600_NS5tupleIblNS6_9null_typeES8_S8_S8_S8_S8_S8_S8_EEEEZNS1_11reduce_implILb1ES3_NS6_12zip_iteratorINS7_INS6_11hip_rocprim26transform_input_iterator_tIbNSD_35transform_pair_of_input_iterators_tIbNS6_6detail15normal_iteratorINS6_10device_ptrIKxEEEESL_NS6_8equal_toIxEEEENSG_9not_fun_tINSD_8identityEEEEENSD_19counting_iterator_tIlEES8_S8_S8_S8_S8_S8_S8_S8_EEEEPS9_S9_NSD_9__find_if7functorIS9_EEEE10hipError_tPvRmT1_T2_T3_mT4_P12ihipStream_tbEUlT_E0_NS1_11comp_targetILNS1_3genE3ELNS1_11target_archE908ELNS1_3gpuE7ELNS1_3repE0EEENS1_30default_config_static_selectorELNS0_4arch9wavefront6targetE0EEEvS14_,"axG",@progbits,_ZN7rocprim17ROCPRIM_400000_NS6detail17trampoline_kernelINS0_14default_configENS1_22reduce_config_selectorIN6thrust23THRUST_200600_302600_NS5tupleIblNS6_9null_typeES8_S8_S8_S8_S8_S8_S8_EEEEZNS1_11reduce_implILb1ES3_NS6_12zip_iteratorINS7_INS6_11hip_rocprim26transform_input_iterator_tIbNSD_35transform_pair_of_input_iterators_tIbNS6_6detail15normal_iteratorINS6_10device_ptrIKxEEEESL_NS6_8equal_toIxEEEENSG_9not_fun_tINSD_8identityEEEEENSD_19counting_iterator_tIlEES8_S8_S8_S8_S8_S8_S8_S8_EEEEPS9_S9_NSD_9__find_if7functorIS9_EEEE10hipError_tPvRmT1_T2_T3_mT4_P12ihipStream_tbEUlT_E0_NS1_11comp_targetILNS1_3genE3ELNS1_11target_archE908ELNS1_3gpuE7ELNS1_3repE0EEENS1_30default_config_static_selectorELNS0_4arch9wavefront6targetE0EEEvS14_,comdat
.Lfunc_end522:
	.size	_ZN7rocprim17ROCPRIM_400000_NS6detail17trampoline_kernelINS0_14default_configENS1_22reduce_config_selectorIN6thrust23THRUST_200600_302600_NS5tupleIblNS6_9null_typeES8_S8_S8_S8_S8_S8_S8_EEEEZNS1_11reduce_implILb1ES3_NS6_12zip_iteratorINS7_INS6_11hip_rocprim26transform_input_iterator_tIbNSD_35transform_pair_of_input_iterators_tIbNS6_6detail15normal_iteratorINS6_10device_ptrIKxEEEESL_NS6_8equal_toIxEEEENSG_9not_fun_tINSD_8identityEEEEENSD_19counting_iterator_tIlEES8_S8_S8_S8_S8_S8_S8_S8_EEEEPS9_S9_NSD_9__find_if7functorIS9_EEEE10hipError_tPvRmT1_T2_T3_mT4_P12ihipStream_tbEUlT_E0_NS1_11comp_targetILNS1_3genE3ELNS1_11target_archE908ELNS1_3gpuE7ELNS1_3repE0EEENS1_30default_config_static_selectorELNS0_4arch9wavefront6targetE0EEEvS14_, .Lfunc_end522-_ZN7rocprim17ROCPRIM_400000_NS6detail17trampoline_kernelINS0_14default_configENS1_22reduce_config_selectorIN6thrust23THRUST_200600_302600_NS5tupleIblNS6_9null_typeES8_S8_S8_S8_S8_S8_S8_EEEEZNS1_11reduce_implILb1ES3_NS6_12zip_iteratorINS7_INS6_11hip_rocprim26transform_input_iterator_tIbNSD_35transform_pair_of_input_iterators_tIbNS6_6detail15normal_iteratorINS6_10device_ptrIKxEEEESL_NS6_8equal_toIxEEEENSG_9not_fun_tINSD_8identityEEEEENSD_19counting_iterator_tIlEES8_S8_S8_S8_S8_S8_S8_S8_EEEEPS9_S9_NSD_9__find_if7functorIS9_EEEE10hipError_tPvRmT1_T2_T3_mT4_P12ihipStream_tbEUlT_E0_NS1_11comp_targetILNS1_3genE3ELNS1_11target_archE908ELNS1_3gpuE7ELNS1_3repE0EEENS1_30default_config_static_selectorELNS0_4arch9wavefront6targetE0EEEvS14_
                                        ; -- End function
	.section	.AMDGPU.csdata,"",@progbits
; Kernel info:
; codeLenInByte = 0
; NumSgprs: 0
; NumVgprs: 0
; ScratchSize: 0
; MemoryBound: 0
; FloatMode: 240
; IeeeMode: 1
; LDSByteSize: 0 bytes/workgroup (compile time only)
; SGPRBlocks: 0
; VGPRBlocks: 0
; NumSGPRsForWavesPerEU: 1
; NumVGPRsForWavesPerEU: 1
; Occupancy: 16
; WaveLimiterHint : 0
; COMPUTE_PGM_RSRC2:SCRATCH_EN: 0
; COMPUTE_PGM_RSRC2:USER_SGPR: 15
; COMPUTE_PGM_RSRC2:TRAP_HANDLER: 0
; COMPUTE_PGM_RSRC2:TGID_X_EN: 1
; COMPUTE_PGM_RSRC2:TGID_Y_EN: 0
; COMPUTE_PGM_RSRC2:TGID_Z_EN: 0
; COMPUTE_PGM_RSRC2:TIDIG_COMP_CNT: 0
	.section	.text._ZN7rocprim17ROCPRIM_400000_NS6detail17trampoline_kernelINS0_14default_configENS1_22reduce_config_selectorIN6thrust23THRUST_200600_302600_NS5tupleIblNS6_9null_typeES8_S8_S8_S8_S8_S8_S8_EEEEZNS1_11reduce_implILb1ES3_NS6_12zip_iteratorINS7_INS6_11hip_rocprim26transform_input_iterator_tIbNSD_35transform_pair_of_input_iterators_tIbNS6_6detail15normal_iteratorINS6_10device_ptrIKxEEEESL_NS6_8equal_toIxEEEENSG_9not_fun_tINSD_8identityEEEEENSD_19counting_iterator_tIlEES8_S8_S8_S8_S8_S8_S8_S8_EEEEPS9_S9_NSD_9__find_if7functorIS9_EEEE10hipError_tPvRmT1_T2_T3_mT4_P12ihipStream_tbEUlT_E0_NS1_11comp_targetILNS1_3genE2ELNS1_11target_archE906ELNS1_3gpuE6ELNS1_3repE0EEENS1_30default_config_static_selectorELNS0_4arch9wavefront6targetE0EEEvS14_,"axG",@progbits,_ZN7rocprim17ROCPRIM_400000_NS6detail17trampoline_kernelINS0_14default_configENS1_22reduce_config_selectorIN6thrust23THRUST_200600_302600_NS5tupleIblNS6_9null_typeES8_S8_S8_S8_S8_S8_S8_EEEEZNS1_11reduce_implILb1ES3_NS6_12zip_iteratorINS7_INS6_11hip_rocprim26transform_input_iterator_tIbNSD_35transform_pair_of_input_iterators_tIbNS6_6detail15normal_iteratorINS6_10device_ptrIKxEEEESL_NS6_8equal_toIxEEEENSG_9not_fun_tINSD_8identityEEEEENSD_19counting_iterator_tIlEES8_S8_S8_S8_S8_S8_S8_S8_EEEEPS9_S9_NSD_9__find_if7functorIS9_EEEE10hipError_tPvRmT1_T2_T3_mT4_P12ihipStream_tbEUlT_E0_NS1_11comp_targetILNS1_3genE2ELNS1_11target_archE906ELNS1_3gpuE6ELNS1_3repE0EEENS1_30default_config_static_selectorELNS0_4arch9wavefront6targetE0EEEvS14_,comdat
	.protected	_ZN7rocprim17ROCPRIM_400000_NS6detail17trampoline_kernelINS0_14default_configENS1_22reduce_config_selectorIN6thrust23THRUST_200600_302600_NS5tupleIblNS6_9null_typeES8_S8_S8_S8_S8_S8_S8_EEEEZNS1_11reduce_implILb1ES3_NS6_12zip_iteratorINS7_INS6_11hip_rocprim26transform_input_iterator_tIbNSD_35transform_pair_of_input_iterators_tIbNS6_6detail15normal_iteratorINS6_10device_ptrIKxEEEESL_NS6_8equal_toIxEEEENSG_9not_fun_tINSD_8identityEEEEENSD_19counting_iterator_tIlEES8_S8_S8_S8_S8_S8_S8_S8_EEEEPS9_S9_NSD_9__find_if7functorIS9_EEEE10hipError_tPvRmT1_T2_T3_mT4_P12ihipStream_tbEUlT_E0_NS1_11comp_targetILNS1_3genE2ELNS1_11target_archE906ELNS1_3gpuE6ELNS1_3repE0EEENS1_30default_config_static_selectorELNS0_4arch9wavefront6targetE0EEEvS14_ ; -- Begin function _ZN7rocprim17ROCPRIM_400000_NS6detail17trampoline_kernelINS0_14default_configENS1_22reduce_config_selectorIN6thrust23THRUST_200600_302600_NS5tupleIblNS6_9null_typeES8_S8_S8_S8_S8_S8_S8_EEEEZNS1_11reduce_implILb1ES3_NS6_12zip_iteratorINS7_INS6_11hip_rocprim26transform_input_iterator_tIbNSD_35transform_pair_of_input_iterators_tIbNS6_6detail15normal_iteratorINS6_10device_ptrIKxEEEESL_NS6_8equal_toIxEEEENSG_9not_fun_tINSD_8identityEEEEENSD_19counting_iterator_tIlEES8_S8_S8_S8_S8_S8_S8_S8_EEEEPS9_S9_NSD_9__find_if7functorIS9_EEEE10hipError_tPvRmT1_T2_T3_mT4_P12ihipStream_tbEUlT_E0_NS1_11comp_targetILNS1_3genE2ELNS1_11target_archE906ELNS1_3gpuE6ELNS1_3repE0EEENS1_30default_config_static_selectorELNS0_4arch9wavefront6targetE0EEEvS14_
	.globl	_ZN7rocprim17ROCPRIM_400000_NS6detail17trampoline_kernelINS0_14default_configENS1_22reduce_config_selectorIN6thrust23THRUST_200600_302600_NS5tupleIblNS6_9null_typeES8_S8_S8_S8_S8_S8_S8_EEEEZNS1_11reduce_implILb1ES3_NS6_12zip_iteratorINS7_INS6_11hip_rocprim26transform_input_iterator_tIbNSD_35transform_pair_of_input_iterators_tIbNS6_6detail15normal_iteratorINS6_10device_ptrIKxEEEESL_NS6_8equal_toIxEEEENSG_9not_fun_tINSD_8identityEEEEENSD_19counting_iterator_tIlEES8_S8_S8_S8_S8_S8_S8_S8_EEEEPS9_S9_NSD_9__find_if7functorIS9_EEEE10hipError_tPvRmT1_T2_T3_mT4_P12ihipStream_tbEUlT_E0_NS1_11comp_targetILNS1_3genE2ELNS1_11target_archE906ELNS1_3gpuE6ELNS1_3repE0EEENS1_30default_config_static_selectorELNS0_4arch9wavefront6targetE0EEEvS14_
	.p2align	8
	.type	_ZN7rocprim17ROCPRIM_400000_NS6detail17trampoline_kernelINS0_14default_configENS1_22reduce_config_selectorIN6thrust23THRUST_200600_302600_NS5tupleIblNS6_9null_typeES8_S8_S8_S8_S8_S8_S8_EEEEZNS1_11reduce_implILb1ES3_NS6_12zip_iteratorINS7_INS6_11hip_rocprim26transform_input_iterator_tIbNSD_35transform_pair_of_input_iterators_tIbNS6_6detail15normal_iteratorINS6_10device_ptrIKxEEEESL_NS6_8equal_toIxEEEENSG_9not_fun_tINSD_8identityEEEEENSD_19counting_iterator_tIlEES8_S8_S8_S8_S8_S8_S8_S8_EEEEPS9_S9_NSD_9__find_if7functorIS9_EEEE10hipError_tPvRmT1_T2_T3_mT4_P12ihipStream_tbEUlT_E0_NS1_11comp_targetILNS1_3genE2ELNS1_11target_archE906ELNS1_3gpuE6ELNS1_3repE0EEENS1_30default_config_static_selectorELNS0_4arch9wavefront6targetE0EEEvS14_,@function
_ZN7rocprim17ROCPRIM_400000_NS6detail17trampoline_kernelINS0_14default_configENS1_22reduce_config_selectorIN6thrust23THRUST_200600_302600_NS5tupleIblNS6_9null_typeES8_S8_S8_S8_S8_S8_S8_EEEEZNS1_11reduce_implILb1ES3_NS6_12zip_iteratorINS7_INS6_11hip_rocprim26transform_input_iterator_tIbNSD_35transform_pair_of_input_iterators_tIbNS6_6detail15normal_iteratorINS6_10device_ptrIKxEEEESL_NS6_8equal_toIxEEEENSG_9not_fun_tINSD_8identityEEEEENSD_19counting_iterator_tIlEES8_S8_S8_S8_S8_S8_S8_S8_EEEEPS9_S9_NSD_9__find_if7functorIS9_EEEE10hipError_tPvRmT1_T2_T3_mT4_P12ihipStream_tbEUlT_E0_NS1_11comp_targetILNS1_3genE2ELNS1_11target_archE906ELNS1_3gpuE6ELNS1_3repE0EEENS1_30default_config_static_selectorELNS0_4arch9wavefront6targetE0EEEvS14_: ; @_ZN7rocprim17ROCPRIM_400000_NS6detail17trampoline_kernelINS0_14default_configENS1_22reduce_config_selectorIN6thrust23THRUST_200600_302600_NS5tupleIblNS6_9null_typeES8_S8_S8_S8_S8_S8_S8_EEEEZNS1_11reduce_implILb1ES3_NS6_12zip_iteratorINS7_INS6_11hip_rocprim26transform_input_iterator_tIbNSD_35transform_pair_of_input_iterators_tIbNS6_6detail15normal_iteratorINS6_10device_ptrIKxEEEESL_NS6_8equal_toIxEEEENSG_9not_fun_tINSD_8identityEEEEENSD_19counting_iterator_tIlEES8_S8_S8_S8_S8_S8_S8_S8_EEEEPS9_S9_NSD_9__find_if7functorIS9_EEEE10hipError_tPvRmT1_T2_T3_mT4_P12ihipStream_tbEUlT_E0_NS1_11comp_targetILNS1_3genE2ELNS1_11target_archE906ELNS1_3gpuE6ELNS1_3repE0EEENS1_30default_config_static_selectorELNS0_4arch9wavefront6targetE0EEEvS14_
; %bb.0:
	.section	.rodata,"a",@progbits
	.p2align	6, 0x0
	.amdhsa_kernel _ZN7rocprim17ROCPRIM_400000_NS6detail17trampoline_kernelINS0_14default_configENS1_22reduce_config_selectorIN6thrust23THRUST_200600_302600_NS5tupleIblNS6_9null_typeES8_S8_S8_S8_S8_S8_S8_EEEEZNS1_11reduce_implILb1ES3_NS6_12zip_iteratorINS7_INS6_11hip_rocprim26transform_input_iterator_tIbNSD_35transform_pair_of_input_iterators_tIbNS6_6detail15normal_iteratorINS6_10device_ptrIKxEEEESL_NS6_8equal_toIxEEEENSG_9not_fun_tINSD_8identityEEEEENSD_19counting_iterator_tIlEES8_S8_S8_S8_S8_S8_S8_S8_EEEEPS9_S9_NSD_9__find_if7functorIS9_EEEE10hipError_tPvRmT1_T2_T3_mT4_P12ihipStream_tbEUlT_E0_NS1_11comp_targetILNS1_3genE2ELNS1_11target_archE906ELNS1_3gpuE6ELNS1_3repE0EEENS1_30default_config_static_selectorELNS0_4arch9wavefront6targetE0EEEvS14_
		.amdhsa_group_segment_fixed_size 0
		.amdhsa_private_segment_fixed_size 0
		.amdhsa_kernarg_size 104
		.amdhsa_user_sgpr_count 15
		.amdhsa_user_sgpr_dispatch_ptr 0
		.amdhsa_user_sgpr_queue_ptr 0
		.amdhsa_user_sgpr_kernarg_segment_ptr 1
		.amdhsa_user_sgpr_dispatch_id 0
		.amdhsa_user_sgpr_private_segment_size 0
		.amdhsa_wavefront_size32 1
		.amdhsa_uses_dynamic_stack 0
		.amdhsa_enable_private_segment 0
		.amdhsa_system_sgpr_workgroup_id_x 1
		.amdhsa_system_sgpr_workgroup_id_y 0
		.amdhsa_system_sgpr_workgroup_id_z 0
		.amdhsa_system_sgpr_workgroup_info 0
		.amdhsa_system_vgpr_workitem_id 0
		.amdhsa_next_free_vgpr 1
		.amdhsa_next_free_sgpr 1
		.amdhsa_reserve_vcc 0
		.amdhsa_float_round_mode_32 0
		.amdhsa_float_round_mode_16_64 0
		.amdhsa_float_denorm_mode_32 3
		.amdhsa_float_denorm_mode_16_64 3
		.amdhsa_dx10_clamp 1
		.amdhsa_ieee_mode 1
		.amdhsa_fp16_overflow 0
		.amdhsa_workgroup_processor_mode 1
		.amdhsa_memory_ordered 1
		.amdhsa_forward_progress 0
		.amdhsa_shared_vgpr_count 0
		.amdhsa_exception_fp_ieee_invalid_op 0
		.amdhsa_exception_fp_denorm_src 0
		.amdhsa_exception_fp_ieee_div_zero 0
		.amdhsa_exception_fp_ieee_overflow 0
		.amdhsa_exception_fp_ieee_underflow 0
		.amdhsa_exception_fp_ieee_inexact 0
		.amdhsa_exception_int_div_zero 0
	.end_amdhsa_kernel
	.section	.text._ZN7rocprim17ROCPRIM_400000_NS6detail17trampoline_kernelINS0_14default_configENS1_22reduce_config_selectorIN6thrust23THRUST_200600_302600_NS5tupleIblNS6_9null_typeES8_S8_S8_S8_S8_S8_S8_EEEEZNS1_11reduce_implILb1ES3_NS6_12zip_iteratorINS7_INS6_11hip_rocprim26transform_input_iterator_tIbNSD_35transform_pair_of_input_iterators_tIbNS6_6detail15normal_iteratorINS6_10device_ptrIKxEEEESL_NS6_8equal_toIxEEEENSG_9not_fun_tINSD_8identityEEEEENSD_19counting_iterator_tIlEES8_S8_S8_S8_S8_S8_S8_S8_EEEEPS9_S9_NSD_9__find_if7functorIS9_EEEE10hipError_tPvRmT1_T2_T3_mT4_P12ihipStream_tbEUlT_E0_NS1_11comp_targetILNS1_3genE2ELNS1_11target_archE906ELNS1_3gpuE6ELNS1_3repE0EEENS1_30default_config_static_selectorELNS0_4arch9wavefront6targetE0EEEvS14_,"axG",@progbits,_ZN7rocprim17ROCPRIM_400000_NS6detail17trampoline_kernelINS0_14default_configENS1_22reduce_config_selectorIN6thrust23THRUST_200600_302600_NS5tupleIblNS6_9null_typeES8_S8_S8_S8_S8_S8_S8_EEEEZNS1_11reduce_implILb1ES3_NS6_12zip_iteratorINS7_INS6_11hip_rocprim26transform_input_iterator_tIbNSD_35transform_pair_of_input_iterators_tIbNS6_6detail15normal_iteratorINS6_10device_ptrIKxEEEESL_NS6_8equal_toIxEEEENSG_9not_fun_tINSD_8identityEEEEENSD_19counting_iterator_tIlEES8_S8_S8_S8_S8_S8_S8_S8_EEEEPS9_S9_NSD_9__find_if7functorIS9_EEEE10hipError_tPvRmT1_T2_T3_mT4_P12ihipStream_tbEUlT_E0_NS1_11comp_targetILNS1_3genE2ELNS1_11target_archE906ELNS1_3gpuE6ELNS1_3repE0EEENS1_30default_config_static_selectorELNS0_4arch9wavefront6targetE0EEEvS14_,comdat
.Lfunc_end523:
	.size	_ZN7rocprim17ROCPRIM_400000_NS6detail17trampoline_kernelINS0_14default_configENS1_22reduce_config_selectorIN6thrust23THRUST_200600_302600_NS5tupleIblNS6_9null_typeES8_S8_S8_S8_S8_S8_S8_EEEEZNS1_11reduce_implILb1ES3_NS6_12zip_iteratorINS7_INS6_11hip_rocprim26transform_input_iterator_tIbNSD_35transform_pair_of_input_iterators_tIbNS6_6detail15normal_iteratorINS6_10device_ptrIKxEEEESL_NS6_8equal_toIxEEEENSG_9not_fun_tINSD_8identityEEEEENSD_19counting_iterator_tIlEES8_S8_S8_S8_S8_S8_S8_S8_EEEEPS9_S9_NSD_9__find_if7functorIS9_EEEE10hipError_tPvRmT1_T2_T3_mT4_P12ihipStream_tbEUlT_E0_NS1_11comp_targetILNS1_3genE2ELNS1_11target_archE906ELNS1_3gpuE6ELNS1_3repE0EEENS1_30default_config_static_selectorELNS0_4arch9wavefront6targetE0EEEvS14_, .Lfunc_end523-_ZN7rocprim17ROCPRIM_400000_NS6detail17trampoline_kernelINS0_14default_configENS1_22reduce_config_selectorIN6thrust23THRUST_200600_302600_NS5tupleIblNS6_9null_typeES8_S8_S8_S8_S8_S8_S8_EEEEZNS1_11reduce_implILb1ES3_NS6_12zip_iteratorINS7_INS6_11hip_rocprim26transform_input_iterator_tIbNSD_35transform_pair_of_input_iterators_tIbNS6_6detail15normal_iteratorINS6_10device_ptrIKxEEEESL_NS6_8equal_toIxEEEENSG_9not_fun_tINSD_8identityEEEEENSD_19counting_iterator_tIlEES8_S8_S8_S8_S8_S8_S8_S8_EEEEPS9_S9_NSD_9__find_if7functorIS9_EEEE10hipError_tPvRmT1_T2_T3_mT4_P12ihipStream_tbEUlT_E0_NS1_11comp_targetILNS1_3genE2ELNS1_11target_archE906ELNS1_3gpuE6ELNS1_3repE0EEENS1_30default_config_static_selectorELNS0_4arch9wavefront6targetE0EEEvS14_
                                        ; -- End function
	.section	.AMDGPU.csdata,"",@progbits
; Kernel info:
; codeLenInByte = 0
; NumSgprs: 0
; NumVgprs: 0
; ScratchSize: 0
; MemoryBound: 0
; FloatMode: 240
; IeeeMode: 1
; LDSByteSize: 0 bytes/workgroup (compile time only)
; SGPRBlocks: 0
; VGPRBlocks: 0
; NumSGPRsForWavesPerEU: 1
; NumVGPRsForWavesPerEU: 1
; Occupancy: 16
; WaveLimiterHint : 0
; COMPUTE_PGM_RSRC2:SCRATCH_EN: 0
; COMPUTE_PGM_RSRC2:USER_SGPR: 15
; COMPUTE_PGM_RSRC2:TRAP_HANDLER: 0
; COMPUTE_PGM_RSRC2:TGID_X_EN: 1
; COMPUTE_PGM_RSRC2:TGID_Y_EN: 0
; COMPUTE_PGM_RSRC2:TGID_Z_EN: 0
; COMPUTE_PGM_RSRC2:TIDIG_COMP_CNT: 0
	.section	.text._ZN7rocprim17ROCPRIM_400000_NS6detail17trampoline_kernelINS0_14default_configENS1_22reduce_config_selectorIN6thrust23THRUST_200600_302600_NS5tupleIblNS6_9null_typeES8_S8_S8_S8_S8_S8_S8_EEEEZNS1_11reduce_implILb1ES3_NS6_12zip_iteratorINS7_INS6_11hip_rocprim26transform_input_iterator_tIbNSD_35transform_pair_of_input_iterators_tIbNS6_6detail15normal_iteratorINS6_10device_ptrIKxEEEESL_NS6_8equal_toIxEEEENSG_9not_fun_tINSD_8identityEEEEENSD_19counting_iterator_tIlEES8_S8_S8_S8_S8_S8_S8_S8_EEEEPS9_S9_NSD_9__find_if7functorIS9_EEEE10hipError_tPvRmT1_T2_T3_mT4_P12ihipStream_tbEUlT_E0_NS1_11comp_targetILNS1_3genE10ELNS1_11target_archE1201ELNS1_3gpuE5ELNS1_3repE0EEENS1_30default_config_static_selectorELNS0_4arch9wavefront6targetE0EEEvS14_,"axG",@progbits,_ZN7rocprim17ROCPRIM_400000_NS6detail17trampoline_kernelINS0_14default_configENS1_22reduce_config_selectorIN6thrust23THRUST_200600_302600_NS5tupleIblNS6_9null_typeES8_S8_S8_S8_S8_S8_S8_EEEEZNS1_11reduce_implILb1ES3_NS6_12zip_iteratorINS7_INS6_11hip_rocprim26transform_input_iterator_tIbNSD_35transform_pair_of_input_iterators_tIbNS6_6detail15normal_iteratorINS6_10device_ptrIKxEEEESL_NS6_8equal_toIxEEEENSG_9not_fun_tINSD_8identityEEEEENSD_19counting_iterator_tIlEES8_S8_S8_S8_S8_S8_S8_S8_EEEEPS9_S9_NSD_9__find_if7functorIS9_EEEE10hipError_tPvRmT1_T2_T3_mT4_P12ihipStream_tbEUlT_E0_NS1_11comp_targetILNS1_3genE10ELNS1_11target_archE1201ELNS1_3gpuE5ELNS1_3repE0EEENS1_30default_config_static_selectorELNS0_4arch9wavefront6targetE0EEEvS14_,comdat
	.protected	_ZN7rocprim17ROCPRIM_400000_NS6detail17trampoline_kernelINS0_14default_configENS1_22reduce_config_selectorIN6thrust23THRUST_200600_302600_NS5tupleIblNS6_9null_typeES8_S8_S8_S8_S8_S8_S8_EEEEZNS1_11reduce_implILb1ES3_NS6_12zip_iteratorINS7_INS6_11hip_rocprim26transform_input_iterator_tIbNSD_35transform_pair_of_input_iterators_tIbNS6_6detail15normal_iteratorINS6_10device_ptrIKxEEEESL_NS6_8equal_toIxEEEENSG_9not_fun_tINSD_8identityEEEEENSD_19counting_iterator_tIlEES8_S8_S8_S8_S8_S8_S8_S8_EEEEPS9_S9_NSD_9__find_if7functorIS9_EEEE10hipError_tPvRmT1_T2_T3_mT4_P12ihipStream_tbEUlT_E0_NS1_11comp_targetILNS1_3genE10ELNS1_11target_archE1201ELNS1_3gpuE5ELNS1_3repE0EEENS1_30default_config_static_selectorELNS0_4arch9wavefront6targetE0EEEvS14_ ; -- Begin function _ZN7rocprim17ROCPRIM_400000_NS6detail17trampoline_kernelINS0_14default_configENS1_22reduce_config_selectorIN6thrust23THRUST_200600_302600_NS5tupleIblNS6_9null_typeES8_S8_S8_S8_S8_S8_S8_EEEEZNS1_11reduce_implILb1ES3_NS6_12zip_iteratorINS7_INS6_11hip_rocprim26transform_input_iterator_tIbNSD_35transform_pair_of_input_iterators_tIbNS6_6detail15normal_iteratorINS6_10device_ptrIKxEEEESL_NS6_8equal_toIxEEEENSG_9not_fun_tINSD_8identityEEEEENSD_19counting_iterator_tIlEES8_S8_S8_S8_S8_S8_S8_S8_EEEEPS9_S9_NSD_9__find_if7functorIS9_EEEE10hipError_tPvRmT1_T2_T3_mT4_P12ihipStream_tbEUlT_E0_NS1_11comp_targetILNS1_3genE10ELNS1_11target_archE1201ELNS1_3gpuE5ELNS1_3repE0EEENS1_30default_config_static_selectorELNS0_4arch9wavefront6targetE0EEEvS14_
	.globl	_ZN7rocprim17ROCPRIM_400000_NS6detail17trampoline_kernelINS0_14default_configENS1_22reduce_config_selectorIN6thrust23THRUST_200600_302600_NS5tupleIblNS6_9null_typeES8_S8_S8_S8_S8_S8_S8_EEEEZNS1_11reduce_implILb1ES3_NS6_12zip_iteratorINS7_INS6_11hip_rocprim26transform_input_iterator_tIbNSD_35transform_pair_of_input_iterators_tIbNS6_6detail15normal_iteratorINS6_10device_ptrIKxEEEESL_NS6_8equal_toIxEEEENSG_9not_fun_tINSD_8identityEEEEENSD_19counting_iterator_tIlEES8_S8_S8_S8_S8_S8_S8_S8_EEEEPS9_S9_NSD_9__find_if7functorIS9_EEEE10hipError_tPvRmT1_T2_T3_mT4_P12ihipStream_tbEUlT_E0_NS1_11comp_targetILNS1_3genE10ELNS1_11target_archE1201ELNS1_3gpuE5ELNS1_3repE0EEENS1_30default_config_static_selectorELNS0_4arch9wavefront6targetE0EEEvS14_
	.p2align	8
	.type	_ZN7rocprim17ROCPRIM_400000_NS6detail17trampoline_kernelINS0_14default_configENS1_22reduce_config_selectorIN6thrust23THRUST_200600_302600_NS5tupleIblNS6_9null_typeES8_S8_S8_S8_S8_S8_S8_EEEEZNS1_11reduce_implILb1ES3_NS6_12zip_iteratorINS7_INS6_11hip_rocprim26transform_input_iterator_tIbNSD_35transform_pair_of_input_iterators_tIbNS6_6detail15normal_iteratorINS6_10device_ptrIKxEEEESL_NS6_8equal_toIxEEEENSG_9not_fun_tINSD_8identityEEEEENSD_19counting_iterator_tIlEES8_S8_S8_S8_S8_S8_S8_S8_EEEEPS9_S9_NSD_9__find_if7functorIS9_EEEE10hipError_tPvRmT1_T2_T3_mT4_P12ihipStream_tbEUlT_E0_NS1_11comp_targetILNS1_3genE10ELNS1_11target_archE1201ELNS1_3gpuE5ELNS1_3repE0EEENS1_30default_config_static_selectorELNS0_4arch9wavefront6targetE0EEEvS14_,@function
_ZN7rocprim17ROCPRIM_400000_NS6detail17trampoline_kernelINS0_14default_configENS1_22reduce_config_selectorIN6thrust23THRUST_200600_302600_NS5tupleIblNS6_9null_typeES8_S8_S8_S8_S8_S8_S8_EEEEZNS1_11reduce_implILb1ES3_NS6_12zip_iteratorINS7_INS6_11hip_rocprim26transform_input_iterator_tIbNSD_35transform_pair_of_input_iterators_tIbNS6_6detail15normal_iteratorINS6_10device_ptrIKxEEEESL_NS6_8equal_toIxEEEENSG_9not_fun_tINSD_8identityEEEEENSD_19counting_iterator_tIlEES8_S8_S8_S8_S8_S8_S8_S8_EEEEPS9_S9_NSD_9__find_if7functorIS9_EEEE10hipError_tPvRmT1_T2_T3_mT4_P12ihipStream_tbEUlT_E0_NS1_11comp_targetILNS1_3genE10ELNS1_11target_archE1201ELNS1_3gpuE5ELNS1_3repE0EEENS1_30default_config_static_selectorELNS0_4arch9wavefront6targetE0EEEvS14_: ; @_ZN7rocprim17ROCPRIM_400000_NS6detail17trampoline_kernelINS0_14default_configENS1_22reduce_config_selectorIN6thrust23THRUST_200600_302600_NS5tupleIblNS6_9null_typeES8_S8_S8_S8_S8_S8_S8_EEEEZNS1_11reduce_implILb1ES3_NS6_12zip_iteratorINS7_INS6_11hip_rocprim26transform_input_iterator_tIbNSD_35transform_pair_of_input_iterators_tIbNS6_6detail15normal_iteratorINS6_10device_ptrIKxEEEESL_NS6_8equal_toIxEEEENSG_9not_fun_tINSD_8identityEEEEENSD_19counting_iterator_tIlEES8_S8_S8_S8_S8_S8_S8_S8_EEEEPS9_S9_NSD_9__find_if7functorIS9_EEEE10hipError_tPvRmT1_T2_T3_mT4_P12ihipStream_tbEUlT_E0_NS1_11comp_targetILNS1_3genE10ELNS1_11target_archE1201ELNS1_3gpuE5ELNS1_3repE0EEENS1_30default_config_static_selectorELNS0_4arch9wavefront6targetE0EEEvS14_
; %bb.0:
	.section	.rodata,"a",@progbits
	.p2align	6, 0x0
	.amdhsa_kernel _ZN7rocprim17ROCPRIM_400000_NS6detail17trampoline_kernelINS0_14default_configENS1_22reduce_config_selectorIN6thrust23THRUST_200600_302600_NS5tupleIblNS6_9null_typeES8_S8_S8_S8_S8_S8_S8_EEEEZNS1_11reduce_implILb1ES3_NS6_12zip_iteratorINS7_INS6_11hip_rocprim26transform_input_iterator_tIbNSD_35transform_pair_of_input_iterators_tIbNS6_6detail15normal_iteratorINS6_10device_ptrIKxEEEESL_NS6_8equal_toIxEEEENSG_9not_fun_tINSD_8identityEEEEENSD_19counting_iterator_tIlEES8_S8_S8_S8_S8_S8_S8_S8_EEEEPS9_S9_NSD_9__find_if7functorIS9_EEEE10hipError_tPvRmT1_T2_T3_mT4_P12ihipStream_tbEUlT_E0_NS1_11comp_targetILNS1_3genE10ELNS1_11target_archE1201ELNS1_3gpuE5ELNS1_3repE0EEENS1_30default_config_static_selectorELNS0_4arch9wavefront6targetE0EEEvS14_
		.amdhsa_group_segment_fixed_size 0
		.amdhsa_private_segment_fixed_size 0
		.amdhsa_kernarg_size 104
		.amdhsa_user_sgpr_count 15
		.amdhsa_user_sgpr_dispatch_ptr 0
		.amdhsa_user_sgpr_queue_ptr 0
		.amdhsa_user_sgpr_kernarg_segment_ptr 1
		.amdhsa_user_sgpr_dispatch_id 0
		.amdhsa_user_sgpr_private_segment_size 0
		.amdhsa_wavefront_size32 1
		.amdhsa_uses_dynamic_stack 0
		.amdhsa_enable_private_segment 0
		.amdhsa_system_sgpr_workgroup_id_x 1
		.amdhsa_system_sgpr_workgroup_id_y 0
		.amdhsa_system_sgpr_workgroup_id_z 0
		.amdhsa_system_sgpr_workgroup_info 0
		.amdhsa_system_vgpr_workitem_id 0
		.amdhsa_next_free_vgpr 1
		.amdhsa_next_free_sgpr 1
		.amdhsa_reserve_vcc 0
		.amdhsa_float_round_mode_32 0
		.amdhsa_float_round_mode_16_64 0
		.amdhsa_float_denorm_mode_32 3
		.amdhsa_float_denorm_mode_16_64 3
		.amdhsa_dx10_clamp 1
		.amdhsa_ieee_mode 1
		.amdhsa_fp16_overflow 0
		.amdhsa_workgroup_processor_mode 1
		.amdhsa_memory_ordered 1
		.amdhsa_forward_progress 0
		.amdhsa_shared_vgpr_count 0
		.amdhsa_exception_fp_ieee_invalid_op 0
		.amdhsa_exception_fp_denorm_src 0
		.amdhsa_exception_fp_ieee_div_zero 0
		.amdhsa_exception_fp_ieee_overflow 0
		.amdhsa_exception_fp_ieee_underflow 0
		.amdhsa_exception_fp_ieee_inexact 0
		.amdhsa_exception_int_div_zero 0
	.end_amdhsa_kernel
	.section	.text._ZN7rocprim17ROCPRIM_400000_NS6detail17trampoline_kernelINS0_14default_configENS1_22reduce_config_selectorIN6thrust23THRUST_200600_302600_NS5tupleIblNS6_9null_typeES8_S8_S8_S8_S8_S8_S8_EEEEZNS1_11reduce_implILb1ES3_NS6_12zip_iteratorINS7_INS6_11hip_rocprim26transform_input_iterator_tIbNSD_35transform_pair_of_input_iterators_tIbNS6_6detail15normal_iteratorINS6_10device_ptrIKxEEEESL_NS6_8equal_toIxEEEENSG_9not_fun_tINSD_8identityEEEEENSD_19counting_iterator_tIlEES8_S8_S8_S8_S8_S8_S8_S8_EEEEPS9_S9_NSD_9__find_if7functorIS9_EEEE10hipError_tPvRmT1_T2_T3_mT4_P12ihipStream_tbEUlT_E0_NS1_11comp_targetILNS1_3genE10ELNS1_11target_archE1201ELNS1_3gpuE5ELNS1_3repE0EEENS1_30default_config_static_selectorELNS0_4arch9wavefront6targetE0EEEvS14_,"axG",@progbits,_ZN7rocprim17ROCPRIM_400000_NS6detail17trampoline_kernelINS0_14default_configENS1_22reduce_config_selectorIN6thrust23THRUST_200600_302600_NS5tupleIblNS6_9null_typeES8_S8_S8_S8_S8_S8_S8_EEEEZNS1_11reduce_implILb1ES3_NS6_12zip_iteratorINS7_INS6_11hip_rocprim26transform_input_iterator_tIbNSD_35transform_pair_of_input_iterators_tIbNS6_6detail15normal_iteratorINS6_10device_ptrIKxEEEESL_NS6_8equal_toIxEEEENSG_9not_fun_tINSD_8identityEEEEENSD_19counting_iterator_tIlEES8_S8_S8_S8_S8_S8_S8_S8_EEEEPS9_S9_NSD_9__find_if7functorIS9_EEEE10hipError_tPvRmT1_T2_T3_mT4_P12ihipStream_tbEUlT_E0_NS1_11comp_targetILNS1_3genE10ELNS1_11target_archE1201ELNS1_3gpuE5ELNS1_3repE0EEENS1_30default_config_static_selectorELNS0_4arch9wavefront6targetE0EEEvS14_,comdat
.Lfunc_end524:
	.size	_ZN7rocprim17ROCPRIM_400000_NS6detail17trampoline_kernelINS0_14default_configENS1_22reduce_config_selectorIN6thrust23THRUST_200600_302600_NS5tupleIblNS6_9null_typeES8_S8_S8_S8_S8_S8_S8_EEEEZNS1_11reduce_implILb1ES3_NS6_12zip_iteratorINS7_INS6_11hip_rocprim26transform_input_iterator_tIbNSD_35transform_pair_of_input_iterators_tIbNS6_6detail15normal_iteratorINS6_10device_ptrIKxEEEESL_NS6_8equal_toIxEEEENSG_9not_fun_tINSD_8identityEEEEENSD_19counting_iterator_tIlEES8_S8_S8_S8_S8_S8_S8_S8_EEEEPS9_S9_NSD_9__find_if7functorIS9_EEEE10hipError_tPvRmT1_T2_T3_mT4_P12ihipStream_tbEUlT_E0_NS1_11comp_targetILNS1_3genE10ELNS1_11target_archE1201ELNS1_3gpuE5ELNS1_3repE0EEENS1_30default_config_static_selectorELNS0_4arch9wavefront6targetE0EEEvS14_, .Lfunc_end524-_ZN7rocprim17ROCPRIM_400000_NS6detail17trampoline_kernelINS0_14default_configENS1_22reduce_config_selectorIN6thrust23THRUST_200600_302600_NS5tupleIblNS6_9null_typeES8_S8_S8_S8_S8_S8_S8_EEEEZNS1_11reduce_implILb1ES3_NS6_12zip_iteratorINS7_INS6_11hip_rocprim26transform_input_iterator_tIbNSD_35transform_pair_of_input_iterators_tIbNS6_6detail15normal_iteratorINS6_10device_ptrIKxEEEESL_NS6_8equal_toIxEEEENSG_9not_fun_tINSD_8identityEEEEENSD_19counting_iterator_tIlEES8_S8_S8_S8_S8_S8_S8_S8_EEEEPS9_S9_NSD_9__find_if7functorIS9_EEEE10hipError_tPvRmT1_T2_T3_mT4_P12ihipStream_tbEUlT_E0_NS1_11comp_targetILNS1_3genE10ELNS1_11target_archE1201ELNS1_3gpuE5ELNS1_3repE0EEENS1_30default_config_static_selectorELNS0_4arch9wavefront6targetE0EEEvS14_
                                        ; -- End function
	.section	.AMDGPU.csdata,"",@progbits
; Kernel info:
; codeLenInByte = 0
; NumSgprs: 0
; NumVgprs: 0
; ScratchSize: 0
; MemoryBound: 0
; FloatMode: 240
; IeeeMode: 1
; LDSByteSize: 0 bytes/workgroup (compile time only)
; SGPRBlocks: 0
; VGPRBlocks: 0
; NumSGPRsForWavesPerEU: 1
; NumVGPRsForWavesPerEU: 1
; Occupancy: 16
; WaveLimiterHint : 0
; COMPUTE_PGM_RSRC2:SCRATCH_EN: 0
; COMPUTE_PGM_RSRC2:USER_SGPR: 15
; COMPUTE_PGM_RSRC2:TRAP_HANDLER: 0
; COMPUTE_PGM_RSRC2:TGID_X_EN: 1
; COMPUTE_PGM_RSRC2:TGID_Y_EN: 0
; COMPUTE_PGM_RSRC2:TGID_Z_EN: 0
; COMPUTE_PGM_RSRC2:TIDIG_COMP_CNT: 0
	.section	.text._ZN7rocprim17ROCPRIM_400000_NS6detail17trampoline_kernelINS0_14default_configENS1_22reduce_config_selectorIN6thrust23THRUST_200600_302600_NS5tupleIblNS6_9null_typeES8_S8_S8_S8_S8_S8_S8_EEEEZNS1_11reduce_implILb1ES3_NS6_12zip_iteratorINS7_INS6_11hip_rocprim26transform_input_iterator_tIbNSD_35transform_pair_of_input_iterators_tIbNS6_6detail15normal_iteratorINS6_10device_ptrIKxEEEESL_NS6_8equal_toIxEEEENSG_9not_fun_tINSD_8identityEEEEENSD_19counting_iterator_tIlEES8_S8_S8_S8_S8_S8_S8_S8_EEEEPS9_S9_NSD_9__find_if7functorIS9_EEEE10hipError_tPvRmT1_T2_T3_mT4_P12ihipStream_tbEUlT_E0_NS1_11comp_targetILNS1_3genE10ELNS1_11target_archE1200ELNS1_3gpuE4ELNS1_3repE0EEENS1_30default_config_static_selectorELNS0_4arch9wavefront6targetE0EEEvS14_,"axG",@progbits,_ZN7rocprim17ROCPRIM_400000_NS6detail17trampoline_kernelINS0_14default_configENS1_22reduce_config_selectorIN6thrust23THRUST_200600_302600_NS5tupleIblNS6_9null_typeES8_S8_S8_S8_S8_S8_S8_EEEEZNS1_11reduce_implILb1ES3_NS6_12zip_iteratorINS7_INS6_11hip_rocprim26transform_input_iterator_tIbNSD_35transform_pair_of_input_iterators_tIbNS6_6detail15normal_iteratorINS6_10device_ptrIKxEEEESL_NS6_8equal_toIxEEEENSG_9not_fun_tINSD_8identityEEEEENSD_19counting_iterator_tIlEES8_S8_S8_S8_S8_S8_S8_S8_EEEEPS9_S9_NSD_9__find_if7functorIS9_EEEE10hipError_tPvRmT1_T2_T3_mT4_P12ihipStream_tbEUlT_E0_NS1_11comp_targetILNS1_3genE10ELNS1_11target_archE1200ELNS1_3gpuE4ELNS1_3repE0EEENS1_30default_config_static_selectorELNS0_4arch9wavefront6targetE0EEEvS14_,comdat
	.protected	_ZN7rocprim17ROCPRIM_400000_NS6detail17trampoline_kernelINS0_14default_configENS1_22reduce_config_selectorIN6thrust23THRUST_200600_302600_NS5tupleIblNS6_9null_typeES8_S8_S8_S8_S8_S8_S8_EEEEZNS1_11reduce_implILb1ES3_NS6_12zip_iteratorINS7_INS6_11hip_rocprim26transform_input_iterator_tIbNSD_35transform_pair_of_input_iterators_tIbNS6_6detail15normal_iteratorINS6_10device_ptrIKxEEEESL_NS6_8equal_toIxEEEENSG_9not_fun_tINSD_8identityEEEEENSD_19counting_iterator_tIlEES8_S8_S8_S8_S8_S8_S8_S8_EEEEPS9_S9_NSD_9__find_if7functorIS9_EEEE10hipError_tPvRmT1_T2_T3_mT4_P12ihipStream_tbEUlT_E0_NS1_11comp_targetILNS1_3genE10ELNS1_11target_archE1200ELNS1_3gpuE4ELNS1_3repE0EEENS1_30default_config_static_selectorELNS0_4arch9wavefront6targetE0EEEvS14_ ; -- Begin function _ZN7rocprim17ROCPRIM_400000_NS6detail17trampoline_kernelINS0_14default_configENS1_22reduce_config_selectorIN6thrust23THRUST_200600_302600_NS5tupleIblNS6_9null_typeES8_S8_S8_S8_S8_S8_S8_EEEEZNS1_11reduce_implILb1ES3_NS6_12zip_iteratorINS7_INS6_11hip_rocprim26transform_input_iterator_tIbNSD_35transform_pair_of_input_iterators_tIbNS6_6detail15normal_iteratorINS6_10device_ptrIKxEEEESL_NS6_8equal_toIxEEEENSG_9not_fun_tINSD_8identityEEEEENSD_19counting_iterator_tIlEES8_S8_S8_S8_S8_S8_S8_S8_EEEEPS9_S9_NSD_9__find_if7functorIS9_EEEE10hipError_tPvRmT1_T2_T3_mT4_P12ihipStream_tbEUlT_E0_NS1_11comp_targetILNS1_3genE10ELNS1_11target_archE1200ELNS1_3gpuE4ELNS1_3repE0EEENS1_30default_config_static_selectorELNS0_4arch9wavefront6targetE0EEEvS14_
	.globl	_ZN7rocprim17ROCPRIM_400000_NS6detail17trampoline_kernelINS0_14default_configENS1_22reduce_config_selectorIN6thrust23THRUST_200600_302600_NS5tupleIblNS6_9null_typeES8_S8_S8_S8_S8_S8_S8_EEEEZNS1_11reduce_implILb1ES3_NS6_12zip_iteratorINS7_INS6_11hip_rocprim26transform_input_iterator_tIbNSD_35transform_pair_of_input_iterators_tIbNS6_6detail15normal_iteratorINS6_10device_ptrIKxEEEESL_NS6_8equal_toIxEEEENSG_9not_fun_tINSD_8identityEEEEENSD_19counting_iterator_tIlEES8_S8_S8_S8_S8_S8_S8_S8_EEEEPS9_S9_NSD_9__find_if7functorIS9_EEEE10hipError_tPvRmT1_T2_T3_mT4_P12ihipStream_tbEUlT_E0_NS1_11comp_targetILNS1_3genE10ELNS1_11target_archE1200ELNS1_3gpuE4ELNS1_3repE0EEENS1_30default_config_static_selectorELNS0_4arch9wavefront6targetE0EEEvS14_
	.p2align	8
	.type	_ZN7rocprim17ROCPRIM_400000_NS6detail17trampoline_kernelINS0_14default_configENS1_22reduce_config_selectorIN6thrust23THRUST_200600_302600_NS5tupleIblNS6_9null_typeES8_S8_S8_S8_S8_S8_S8_EEEEZNS1_11reduce_implILb1ES3_NS6_12zip_iteratorINS7_INS6_11hip_rocprim26transform_input_iterator_tIbNSD_35transform_pair_of_input_iterators_tIbNS6_6detail15normal_iteratorINS6_10device_ptrIKxEEEESL_NS6_8equal_toIxEEEENSG_9not_fun_tINSD_8identityEEEEENSD_19counting_iterator_tIlEES8_S8_S8_S8_S8_S8_S8_S8_EEEEPS9_S9_NSD_9__find_if7functorIS9_EEEE10hipError_tPvRmT1_T2_T3_mT4_P12ihipStream_tbEUlT_E0_NS1_11comp_targetILNS1_3genE10ELNS1_11target_archE1200ELNS1_3gpuE4ELNS1_3repE0EEENS1_30default_config_static_selectorELNS0_4arch9wavefront6targetE0EEEvS14_,@function
_ZN7rocprim17ROCPRIM_400000_NS6detail17trampoline_kernelINS0_14default_configENS1_22reduce_config_selectorIN6thrust23THRUST_200600_302600_NS5tupleIblNS6_9null_typeES8_S8_S8_S8_S8_S8_S8_EEEEZNS1_11reduce_implILb1ES3_NS6_12zip_iteratorINS7_INS6_11hip_rocprim26transform_input_iterator_tIbNSD_35transform_pair_of_input_iterators_tIbNS6_6detail15normal_iteratorINS6_10device_ptrIKxEEEESL_NS6_8equal_toIxEEEENSG_9not_fun_tINSD_8identityEEEEENSD_19counting_iterator_tIlEES8_S8_S8_S8_S8_S8_S8_S8_EEEEPS9_S9_NSD_9__find_if7functorIS9_EEEE10hipError_tPvRmT1_T2_T3_mT4_P12ihipStream_tbEUlT_E0_NS1_11comp_targetILNS1_3genE10ELNS1_11target_archE1200ELNS1_3gpuE4ELNS1_3repE0EEENS1_30default_config_static_selectorELNS0_4arch9wavefront6targetE0EEEvS14_: ; @_ZN7rocprim17ROCPRIM_400000_NS6detail17trampoline_kernelINS0_14default_configENS1_22reduce_config_selectorIN6thrust23THRUST_200600_302600_NS5tupleIblNS6_9null_typeES8_S8_S8_S8_S8_S8_S8_EEEEZNS1_11reduce_implILb1ES3_NS6_12zip_iteratorINS7_INS6_11hip_rocprim26transform_input_iterator_tIbNSD_35transform_pair_of_input_iterators_tIbNS6_6detail15normal_iteratorINS6_10device_ptrIKxEEEESL_NS6_8equal_toIxEEEENSG_9not_fun_tINSD_8identityEEEEENSD_19counting_iterator_tIlEES8_S8_S8_S8_S8_S8_S8_S8_EEEEPS9_S9_NSD_9__find_if7functorIS9_EEEE10hipError_tPvRmT1_T2_T3_mT4_P12ihipStream_tbEUlT_E0_NS1_11comp_targetILNS1_3genE10ELNS1_11target_archE1200ELNS1_3gpuE4ELNS1_3repE0EEENS1_30default_config_static_selectorELNS0_4arch9wavefront6targetE0EEEvS14_
; %bb.0:
	.section	.rodata,"a",@progbits
	.p2align	6, 0x0
	.amdhsa_kernel _ZN7rocprim17ROCPRIM_400000_NS6detail17trampoline_kernelINS0_14default_configENS1_22reduce_config_selectorIN6thrust23THRUST_200600_302600_NS5tupleIblNS6_9null_typeES8_S8_S8_S8_S8_S8_S8_EEEEZNS1_11reduce_implILb1ES3_NS6_12zip_iteratorINS7_INS6_11hip_rocprim26transform_input_iterator_tIbNSD_35transform_pair_of_input_iterators_tIbNS6_6detail15normal_iteratorINS6_10device_ptrIKxEEEESL_NS6_8equal_toIxEEEENSG_9not_fun_tINSD_8identityEEEEENSD_19counting_iterator_tIlEES8_S8_S8_S8_S8_S8_S8_S8_EEEEPS9_S9_NSD_9__find_if7functorIS9_EEEE10hipError_tPvRmT1_T2_T3_mT4_P12ihipStream_tbEUlT_E0_NS1_11comp_targetILNS1_3genE10ELNS1_11target_archE1200ELNS1_3gpuE4ELNS1_3repE0EEENS1_30default_config_static_selectorELNS0_4arch9wavefront6targetE0EEEvS14_
		.amdhsa_group_segment_fixed_size 0
		.amdhsa_private_segment_fixed_size 0
		.amdhsa_kernarg_size 104
		.amdhsa_user_sgpr_count 15
		.amdhsa_user_sgpr_dispatch_ptr 0
		.amdhsa_user_sgpr_queue_ptr 0
		.amdhsa_user_sgpr_kernarg_segment_ptr 1
		.amdhsa_user_sgpr_dispatch_id 0
		.amdhsa_user_sgpr_private_segment_size 0
		.amdhsa_wavefront_size32 1
		.amdhsa_uses_dynamic_stack 0
		.amdhsa_enable_private_segment 0
		.amdhsa_system_sgpr_workgroup_id_x 1
		.amdhsa_system_sgpr_workgroup_id_y 0
		.amdhsa_system_sgpr_workgroup_id_z 0
		.amdhsa_system_sgpr_workgroup_info 0
		.amdhsa_system_vgpr_workitem_id 0
		.amdhsa_next_free_vgpr 1
		.amdhsa_next_free_sgpr 1
		.amdhsa_reserve_vcc 0
		.amdhsa_float_round_mode_32 0
		.amdhsa_float_round_mode_16_64 0
		.amdhsa_float_denorm_mode_32 3
		.amdhsa_float_denorm_mode_16_64 3
		.amdhsa_dx10_clamp 1
		.amdhsa_ieee_mode 1
		.amdhsa_fp16_overflow 0
		.amdhsa_workgroup_processor_mode 1
		.amdhsa_memory_ordered 1
		.amdhsa_forward_progress 0
		.amdhsa_shared_vgpr_count 0
		.amdhsa_exception_fp_ieee_invalid_op 0
		.amdhsa_exception_fp_denorm_src 0
		.amdhsa_exception_fp_ieee_div_zero 0
		.amdhsa_exception_fp_ieee_overflow 0
		.amdhsa_exception_fp_ieee_underflow 0
		.amdhsa_exception_fp_ieee_inexact 0
		.amdhsa_exception_int_div_zero 0
	.end_amdhsa_kernel
	.section	.text._ZN7rocprim17ROCPRIM_400000_NS6detail17trampoline_kernelINS0_14default_configENS1_22reduce_config_selectorIN6thrust23THRUST_200600_302600_NS5tupleIblNS6_9null_typeES8_S8_S8_S8_S8_S8_S8_EEEEZNS1_11reduce_implILb1ES3_NS6_12zip_iteratorINS7_INS6_11hip_rocprim26transform_input_iterator_tIbNSD_35transform_pair_of_input_iterators_tIbNS6_6detail15normal_iteratorINS6_10device_ptrIKxEEEESL_NS6_8equal_toIxEEEENSG_9not_fun_tINSD_8identityEEEEENSD_19counting_iterator_tIlEES8_S8_S8_S8_S8_S8_S8_S8_EEEEPS9_S9_NSD_9__find_if7functorIS9_EEEE10hipError_tPvRmT1_T2_T3_mT4_P12ihipStream_tbEUlT_E0_NS1_11comp_targetILNS1_3genE10ELNS1_11target_archE1200ELNS1_3gpuE4ELNS1_3repE0EEENS1_30default_config_static_selectorELNS0_4arch9wavefront6targetE0EEEvS14_,"axG",@progbits,_ZN7rocprim17ROCPRIM_400000_NS6detail17trampoline_kernelINS0_14default_configENS1_22reduce_config_selectorIN6thrust23THRUST_200600_302600_NS5tupleIblNS6_9null_typeES8_S8_S8_S8_S8_S8_S8_EEEEZNS1_11reduce_implILb1ES3_NS6_12zip_iteratorINS7_INS6_11hip_rocprim26transform_input_iterator_tIbNSD_35transform_pair_of_input_iterators_tIbNS6_6detail15normal_iteratorINS6_10device_ptrIKxEEEESL_NS6_8equal_toIxEEEENSG_9not_fun_tINSD_8identityEEEEENSD_19counting_iterator_tIlEES8_S8_S8_S8_S8_S8_S8_S8_EEEEPS9_S9_NSD_9__find_if7functorIS9_EEEE10hipError_tPvRmT1_T2_T3_mT4_P12ihipStream_tbEUlT_E0_NS1_11comp_targetILNS1_3genE10ELNS1_11target_archE1200ELNS1_3gpuE4ELNS1_3repE0EEENS1_30default_config_static_selectorELNS0_4arch9wavefront6targetE0EEEvS14_,comdat
.Lfunc_end525:
	.size	_ZN7rocprim17ROCPRIM_400000_NS6detail17trampoline_kernelINS0_14default_configENS1_22reduce_config_selectorIN6thrust23THRUST_200600_302600_NS5tupleIblNS6_9null_typeES8_S8_S8_S8_S8_S8_S8_EEEEZNS1_11reduce_implILb1ES3_NS6_12zip_iteratorINS7_INS6_11hip_rocprim26transform_input_iterator_tIbNSD_35transform_pair_of_input_iterators_tIbNS6_6detail15normal_iteratorINS6_10device_ptrIKxEEEESL_NS6_8equal_toIxEEEENSG_9not_fun_tINSD_8identityEEEEENSD_19counting_iterator_tIlEES8_S8_S8_S8_S8_S8_S8_S8_EEEEPS9_S9_NSD_9__find_if7functorIS9_EEEE10hipError_tPvRmT1_T2_T3_mT4_P12ihipStream_tbEUlT_E0_NS1_11comp_targetILNS1_3genE10ELNS1_11target_archE1200ELNS1_3gpuE4ELNS1_3repE0EEENS1_30default_config_static_selectorELNS0_4arch9wavefront6targetE0EEEvS14_, .Lfunc_end525-_ZN7rocprim17ROCPRIM_400000_NS6detail17trampoline_kernelINS0_14default_configENS1_22reduce_config_selectorIN6thrust23THRUST_200600_302600_NS5tupleIblNS6_9null_typeES8_S8_S8_S8_S8_S8_S8_EEEEZNS1_11reduce_implILb1ES3_NS6_12zip_iteratorINS7_INS6_11hip_rocprim26transform_input_iterator_tIbNSD_35transform_pair_of_input_iterators_tIbNS6_6detail15normal_iteratorINS6_10device_ptrIKxEEEESL_NS6_8equal_toIxEEEENSG_9not_fun_tINSD_8identityEEEEENSD_19counting_iterator_tIlEES8_S8_S8_S8_S8_S8_S8_S8_EEEEPS9_S9_NSD_9__find_if7functorIS9_EEEE10hipError_tPvRmT1_T2_T3_mT4_P12ihipStream_tbEUlT_E0_NS1_11comp_targetILNS1_3genE10ELNS1_11target_archE1200ELNS1_3gpuE4ELNS1_3repE0EEENS1_30default_config_static_selectorELNS0_4arch9wavefront6targetE0EEEvS14_
                                        ; -- End function
	.section	.AMDGPU.csdata,"",@progbits
; Kernel info:
; codeLenInByte = 0
; NumSgprs: 0
; NumVgprs: 0
; ScratchSize: 0
; MemoryBound: 0
; FloatMode: 240
; IeeeMode: 1
; LDSByteSize: 0 bytes/workgroup (compile time only)
; SGPRBlocks: 0
; VGPRBlocks: 0
; NumSGPRsForWavesPerEU: 1
; NumVGPRsForWavesPerEU: 1
; Occupancy: 16
; WaveLimiterHint : 0
; COMPUTE_PGM_RSRC2:SCRATCH_EN: 0
; COMPUTE_PGM_RSRC2:USER_SGPR: 15
; COMPUTE_PGM_RSRC2:TRAP_HANDLER: 0
; COMPUTE_PGM_RSRC2:TGID_X_EN: 1
; COMPUTE_PGM_RSRC2:TGID_Y_EN: 0
; COMPUTE_PGM_RSRC2:TGID_Z_EN: 0
; COMPUTE_PGM_RSRC2:TIDIG_COMP_CNT: 0
	.section	.text._ZN7rocprim17ROCPRIM_400000_NS6detail17trampoline_kernelINS0_14default_configENS1_22reduce_config_selectorIN6thrust23THRUST_200600_302600_NS5tupleIblNS6_9null_typeES8_S8_S8_S8_S8_S8_S8_EEEEZNS1_11reduce_implILb1ES3_NS6_12zip_iteratorINS7_INS6_11hip_rocprim26transform_input_iterator_tIbNSD_35transform_pair_of_input_iterators_tIbNS6_6detail15normal_iteratorINS6_10device_ptrIKxEEEESL_NS6_8equal_toIxEEEENSG_9not_fun_tINSD_8identityEEEEENSD_19counting_iterator_tIlEES8_S8_S8_S8_S8_S8_S8_S8_EEEEPS9_S9_NSD_9__find_if7functorIS9_EEEE10hipError_tPvRmT1_T2_T3_mT4_P12ihipStream_tbEUlT_E0_NS1_11comp_targetILNS1_3genE9ELNS1_11target_archE1100ELNS1_3gpuE3ELNS1_3repE0EEENS1_30default_config_static_selectorELNS0_4arch9wavefront6targetE0EEEvS14_,"axG",@progbits,_ZN7rocprim17ROCPRIM_400000_NS6detail17trampoline_kernelINS0_14default_configENS1_22reduce_config_selectorIN6thrust23THRUST_200600_302600_NS5tupleIblNS6_9null_typeES8_S8_S8_S8_S8_S8_S8_EEEEZNS1_11reduce_implILb1ES3_NS6_12zip_iteratorINS7_INS6_11hip_rocprim26transform_input_iterator_tIbNSD_35transform_pair_of_input_iterators_tIbNS6_6detail15normal_iteratorINS6_10device_ptrIKxEEEESL_NS6_8equal_toIxEEEENSG_9not_fun_tINSD_8identityEEEEENSD_19counting_iterator_tIlEES8_S8_S8_S8_S8_S8_S8_S8_EEEEPS9_S9_NSD_9__find_if7functorIS9_EEEE10hipError_tPvRmT1_T2_T3_mT4_P12ihipStream_tbEUlT_E0_NS1_11comp_targetILNS1_3genE9ELNS1_11target_archE1100ELNS1_3gpuE3ELNS1_3repE0EEENS1_30default_config_static_selectorELNS0_4arch9wavefront6targetE0EEEvS14_,comdat
	.protected	_ZN7rocprim17ROCPRIM_400000_NS6detail17trampoline_kernelINS0_14default_configENS1_22reduce_config_selectorIN6thrust23THRUST_200600_302600_NS5tupleIblNS6_9null_typeES8_S8_S8_S8_S8_S8_S8_EEEEZNS1_11reduce_implILb1ES3_NS6_12zip_iteratorINS7_INS6_11hip_rocprim26transform_input_iterator_tIbNSD_35transform_pair_of_input_iterators_tIbNS6_6detail15normal_iteratorINS6_10device_ptrIKxEEEESL_NS6_8equal_toIxEEEENSG_9not_fun_tINSD_8identityEEEEENSD_19counting_iterator_tIlEES8_S8_S8_S8_S8_S8_S8_S8_EEEEPS9_S9_NSD_9__find_if7functorIS9_EEEE10hipError_tPvRmT1_T2_T3_mT4_P12ihipStream_tbEUlT_E0_NS1_11comp_targetILNS1_3genE9ELNS1_11target_archE1100ELNS1_3gpuE3ELNS1_3repE0EEENS1_30default_config_static_selectorELNS0_4arch9wavefront6targetE0EEEvS14_ ; -- Begin function _ZN7rocprim17ROCPRIM_400000_NS6detail17trampoline_kernelINS0_14default_configENS1_22reduce_config_selectorIN6thrust23THRUST_200600_302600_NS5tupleIblNS6_9null_typeES8_S8_S8_S8_S8_S8_S8_EEEEZNS1_11reduce_implILb1ES3_NS6_12zip_iteratorINS7_INS6_11hip_rocprim26transform_input_iterator_tIbNSD_35transform_pair_of_input_iterators_tIbNS6_6detail15normal_iteratorINS6_10device_ptrIKxEEEESL_NS6_8equal_toIxEEEENSG_9not_fun_tINSD_8identityEEEEENSD_19counting_iterator_tIlEES8_S8_S8_S8_S8_S8_S8_S8_EEEEPS9_S9_NSD_9__find_if7functorIS9_EEEE10hipError_tPvRmT1_T2_T3_mT4_P12ihipStream_tbEUlT_E0_NS1_11comp_targetILNS1_3genE9ELNS1_11target_archE1100ELNS1_3gpuE3ELNS1_3repE0EEENS1_30default_config_static_selectorELNS0_4arch9wavefront6targetE0EEEvS14_
	.globl	_ZN7rocprim17ROCPRIM_400000_NS6detail17trampoline_kernelINS0_14default_configENS1_22reduce_config_selectorIN6thrust23THRUST_200600_302600_NS5tupleIblNS6_9null_typeES8_S8_S8_S8_S8_S8_S8_EEEEZNS1_11reduce_implILb1ES3_NS6_12zip_iteratorINS7_INS6_11hip_rocprim26transform_input_iterator_tIbNSD_35transform_pair_of_input_iterators_tIbNS6_6detail15normal_iteratorINS6_10device_ptrIKxEEEESL_NS6_8equal_toIxEEEENSG_9not_fun_tINSD_8identityEEEEENSD_19counting_iterator_tIlEES8_S8_S8_S8_S8_S8_S8_S8_EEEEPS9_S9_NSD_9__find_if7functorIS9_EEEE10hipError_tPvRmT1_T2_T3_mT4_P12ihipStream_tbEUlT_E0_NS1_11comp_targetILNS1_3genE9ELNS1_11target_archE1100ELNS1_3gpuE3ELNS1_3repE0EEENS1_30default_config_static_selectorELNS0_4arch9wavefront6targetE0EEEvS14_
	.p2align	8
	.type	_ZN7rocprim17ROCPRIM_400000_NS6detail17trampoline_kernelINS0_14default_configENS1_22reduce_config_selectorIN6thrust23THRUST_200600_302600_NS5tupleIblNS6_9null_typeES8_S8_S8_S8_S8_S8_S8_EEEEZNS1_11reduce_implILb1ES3_NS6_12zip_iteratorINS7_INS6_11hip_rocprim26transform_input_iterator_tIbNSD_35transform_pair_of_input_iterators_tIbNS6_6detail15normal_iteratorINS6_10device_ptrIKxEEEESL_NS6_8equal_toIxEEEENSG_9not_fun_tINSD_8identityEEEEENSD_19counting_iterator_tIlEES8_S8_S8_S8_S8_S8_S8_S8_EEEEPS9_S9_NSD_9__find_if7functorIS9_EEEE10hipError_tPvRmT1_T2_T3_mT4_P12ihipStream_tbEUlT_E0_NS1_11comp_targetILNS1_3genE9ELNS1_11target_archE1100ELNS1_3gpuE3ELNS1_3repE0EEENS1_30default_config_static_selectorELNS0_4arch9wavefront6targetE0EEEvS14_,@function
_ZN7rocprim17ROCPRIM_400000_NS6detail17trampoline_kernelINS0_14default_configENS1_22reduce_config_selectorIN6thrust23THRUST_200600_302600_NS5tupleIblNS6_9null_typeES8_S8_S8_S8_S8_S8_S8_EEEEZNS1_11reduce_implILb1ES3_NS6_12zip_iteratorINS7_INS6_11hip_rocprim26transform_input_iterator_tIbNSD_35transform_pair_of_input_iterators_tIbNS6_6detail15normal_iteratorINS6_10device_ptrIKxEEEESL_NS6_8equal_toIxEEEENSG_9not_fun_tINSD_8identityEEEEENSD_19counting_iterator_tIlEES8_S8_S8_S8_S8_S8_S8_S8_EEEEPS9_S9_NSD_9__find_if7functorIS9_EEEE10hipError_tPvRmT1_T2_T3_mT4_P12ihipStream_tbEUlT_E0_NS1_11comp_targetILNS1_3genE9ELNS1_11target_archE1100ELNS1_3gpuE3ELNS1_3repE0EEENS1_30default_config_static_selectorELNS0_4arch9wavefront6targetE0EEEvS14_: ; @_ZN7rocprim17ROCPRIM_400000_NS6detail17trampoline_kernelINS0_14default_configENS1_22reduce_config_selectorIN6thrust23THRUST_200600_302600_NS5tupleIblNS6_9null_typeES8_S8_S8_S8_S8_S8_S8_EEEEZNS1_11reduce_implILb1ES3_NS6_12zip_iteratorINS7_INS6_11hip_rocprim26transform_input_iterator_tIbNSD_35transform_pair_of_input_iterators_tIbNS6_6detail15normal_iteratorINS6_10device_ptrIKxEEEESL_NS6_8equal_toIxEEEENSG_9not_fun_tINSD_8identityEEEEENSD_19counting_iterator_tIlEES8_S8_S8_S8_S8_S8_S8_S8_EEEEPS9_S9_NSD_9__find_if7functorIS9_EEEE10hipError_tPvRmT1_T2_T3_mT4_P12ihipStream_tbEUlT_E0_NS1_11comp_targetILNS1_3genE9ELNS1_11target_archE1100ELNS1_3gpuE3ELNS1_3repE0EEENS1_30default_config_static_selectorELNS0_4arch9wavefront6targetE0EEEvS14_
; %bb.0:
	s_clause 0x1
	s_load_b256 s[4:11], s[0:1], 0x20
	s_load_b128 s[24:27], s[0:1], 0x0
	s_mov_b32 s16, s15
	s_load_b128 s[12:15], s[0:1], 0x40
	s_mov_b32 s23, 0
	v_lshlrev_b32_e32 v7, 3, v0
	s_mov_b32 s17, s23
	s_waitcnt lgkmcnt(0)
	s_lshl_b64 s[2:3], s[6:7], 3
	s_delay_alu instid0(SALU_CYCLE_1)
	s_add_u32 s18, s24, s2
	s_addc_u32 s19, s25, s3
	s_add_u32 s20, s26, s2
	s_addc_u32 s21, s27, s3
	s_lshl_b32 s22, s16, 10
	s_lshr_b64 s[24:25], s[8:9], 10
	s_lshl_b64 s[2:3], s[22:23], 3
	s_delay_alu instid0(SALU_CYCLE_1)
	s_add_u32 s18, s18, s2
	s_addc_u32 s19, s19, s3
	s_add_u32 s20, s20, s2
	s_addc_u32 s21, s21, s3
	;; [unrolled: 2-line block ×4, first 2 shown]
	s_cmp_lg_u64 s[24:25], s[16:17]
	s_cbranch_scc0 .LBB526_16
; %bb.1:
	v_add_co_u32 v8, s2, s18, v7
	s_delay_alu instid0(VALU_DEP_1) | instskip(SKIP_1) | instid1(VALU_DEP_1)
	v_add_co_ci_u32_e64 v9, null, s19, 0, s2
	v_add_co_u32 v5, s2, s20, v7
	v_add_co_ci_u32_e64 v6, null, s21, 0, s2
	s_clause 0x1
	global_load_b64 v[1:2], v7, s[20:21] offset:2048
	global_load_b64 v[3:4], v7, s[18:19] offset:2048
	v_add_co_u32 v5, vcc_lo, 0x1000, v5
	v_add_co_ci_u32_e32 v6, vcc_lo, 0, v6, vcc_lo
	v_add_co_u32 v8, vcc_lo, 0x1000, v8
	v_add_co_ci_u32_e32 v9, vcc_lo, 0, v9, vcc_lo
	s_clause 0x1
	global_load_b64 v[10:11], v7, s[20:21]
	global_load_b64 v[12:13], v7, s[18:19]
	global_load_b64 v[14:15], v[5:6], off
	s_clause 0x1
	global_load_b64 v[16:17], v[8:9], off
	global_load_b64 v[8:9], v[8:9], off offset:2048
	global_load_b64 v[5:6], v[5:6], off offset:2048
	v_mov_b32_e32 v18, 0x100
	s_waitcnt vmcnt(6)
	v_cmp_ne_u64_e32 vcc_lo, v[3:4], v[1:2]
	s_waitcnt vmcnt(4)
	v_cmp_ne_u64_e64 s2, v[12:13], v[10:11]
	v_cndmask_b32_e32 v1, 0x200, v18, vcc_lo
	s_waitcnt vmcnt(2)
	v_cmp_ne_u64_e64 s3, v[16:17], v[14:15]
	s_waitcnt vmcnt(0)
	v_cmp_ne_u64_e64 s4, v[8:9], v[5:6]
	v_cndmask_b32_e64 v1, v1, 0, s2
	s_or_b32 s2, s2, vcc_lo
	s_delay_alu instid0(VALU_DEP_3) | instid1(SALU_CYCLE_1)
	s_or_b32 vcc_lo, s2, s3
	v_add_co_u32 v2, s2, s5, v0
	s_delay_alu instid0(VALU_DEP_3) | instskip(SKIP_3) | instid1(VALU_DEP_1)
	s_or_b32 s3, vcc_lo, s4
	v_add_co_ci_u32_e64 v3, null, s23, 0, s2
	v_cndmask_b32_e64 v5, 0, 1, s3
	s_mov_b32 s4, exec_lo
	v_mov_b32_dpp v6, v5 quad_perm:[1,0,3,2] row_mask:0xf bank_mask:0xf
	s_delay_alu instid0(VALU_DEP_1) | instskip(NEXT) | instid1(VALU_DEP_1)
	v_dual_cndmask_b32 v1, 0x300, v1 :: v_dual_and_b32 v8, 1, v6
	v_add_co_u32 v1, vcc_lo, v2, v1
	v_add_co_ci_u32_e32 v2, vcc_lo, 0, v3, vcc_lo
	s_delay_alu instid0(VALU_DEP_2) | instskip(NEXT) | instid1(VALU_DEP_2)
	v_mov_b32_dpp v3, v1 quad_perm:[1,0,3,2] row_mask:0xf bank_mask:0xf
	v_mov_b32_dpp v4, v2 quad_perm:[1,0,3,2] row_mask:0xf bank_mask:0xf
	v_cmpx_eq_u32_e32 1, v8
; %bb.2:
	v_cndmask_b32_e64 v5, v6, 1, s3
	s_delay_alu instid0(VALU_DEP_3) | instskip(NEXT) | instid1(VALU_DEP_2)
	v_cmp_lt_i64_e32 vcc_lo, v[1:2], v[3:4]
	v_and_b32_e32 v6, 1, v5
	v_and_b32_e32 v5, 0xff, v5
	s_and_b32 vcc_lo, s3, vcc_lo
	s_and_not1_b32 s3, s3, exec_lo
	v_dual_cndmask_b32 v2, v4, v2 :: v_dual_cndmask_b32 v1, v3, v1
	v_cmp_eq_u32_e64 s2, 1, v6
	s_delay_alu instid0(VALU_DEP_1) | instskip(NEXT) | instid1(SALU_CYCLE_1)
	s_and_b32 s2, s2, exec_lo
	s_or_b32 s3, s3, s2
; %bb.3:
	s_or_b32 exec_lo, exec_lo, s4
	v_mov_b32_dpp v6, v5 quad_perm:[2,3,0,1] row_mask:0xf bank_mask:0xf
	v_mov_b32_dpp v3, v1 quad_perm:[2,3,0,1] row_mask:0xf bank_mask:0xf
	;; [unrolled: 1-line block ×3, first 2 shown]
	s_mov_b32 s4, exec_lo
	s_delay_alu instid0(VALU_DEP_3) | instskip(NEXT) | instid1(VALU_DEP_1)
	v_and_b32_e32 v8, 1, v6
	v_cmpx_eq_u32_e32 1, v8
; %bb.4:
	v_cndmask_b32_e64 v5, v6, 1, s3
	v_cmp_lt_i64_e32 vcc_lo, v[1:2], v[3:4]
	s_delay_alu instid0(VALU_DEP_2)
	v_and_b32_e32 v6, 1, v5
	v_and_b32_e32 v5, 0xff, v5
	s_and_b32 vcc_lo, s3, vcc_lo
	s_and_not1_b32 s3, s3, exec_lo
	v_dual_cndmask_b32 v2, v4, v2 :: v_dual_cndmask_b32 v1, v3, v1
	v_cmp_eq_u32_e64 s2, 1, v6
	s_delay_alu instid0(VALU_DEP_1) | instskip(NEXT) | instid1(SALU_CYCLE_1)
	s_and_b32 s2, s2, exec_lo
	s_or_b32 s3, s3, s2
; %bb.5:
	s_or_b32 exec_lo, exec_lo, s4
	v_mov_b32_dpp v6, v5 row_ror:4 row_mask:0xf bank_mask:0xf
	v_mov_b32_dpp v3, v1 row_ror:4 row_mask:0xf bank_mask:0xf
	;; [unrolled: 1-line block ×3, first 2 shown]
	s_mov_b32 s4, exec_lo
	s_delay_alu instid0(VALU_DEP_3) | instskip(NEXT) | instid1(VALU_DEP_1)
	v_and_b32_e32 v8, 1, v6
	v_cmpx_eq_u32_e32 1, v8
; %bb.6:
	v_cndmask_b32_e64 v5, v6, 1, s3
	v_cmp_lt_i64_e32 vcc_lo, v[1:2], v[3:4]
	s_delay_alu instid0(VALU_DEP_2)
	v_and_b32_e32 v6, 1, v5
	v_and_b32_e32 v5, 0xff, v5
	s_and_b32 vcc_lo, s3, vcc_lo
	s_and_not1_b32 s3, s3, exec_lo
	v_dual_cndmask_b32 v2, v4, v2 :: v_dual_cndmask_b32 v1, v3, v1
	v_cmp_eq_u32_e64 s2, 1, v6
	s_delay_alu instid0(VALU_DEP_1) | instskip(NEXT) | instid1(SALU_CYCLE_1)
	s_and_b32 s2, s2, exec_lo
	s_or_b32 s3, s3, s2
; %bb.7:
	s_or_b32 exec_lo, exec_lo, s4
	v_mov_b32_dpp v6, v5 row_ror:8 row_mask:0xf bank_mask:0xf
	v_mov_b32_dpp v3, v1 row_ror:8 row_mask:0xf bank_mask:0xf
	v_mov_b32_dpp v4, v2 row_ror:8 row_mask:0xf bank_mask:0xf
	s_mov_b32 s4, exec_lo
	s_delay_alu instid0(VALU_DEP_3) | instskip(NEXT) | instid1(VALU_DEP_1)
	v_and_b32_e32 v8, 1, v6
	v_cmpx_eq_u32_e32 1, v8
; %bb.8:
	v_cndmask_b32_e64 v5, v6, 1, s3
	v_cmp_lt_i64_e32 vcc_lo, v[1:2], v[3:4]
	s_delay_alu instid0(VALU_DEP_2)
	v_and_b32_e32 v6, 1, v5
	v_and_b32_e32 v5, 0xff, v5
	s_and_b32 vcc_lo, s3, vcc_lo
	s_and_not1_b32 s3, s3, exec_lo
	v_dual_cndmask_b32 v2, v4, v2 :: v_dual_cndmask_b32 v1, v3, v1
	v_cmp_eq_u32_e64 s2, 1, v6
	s_delay_alu instid0(VALU_DEP_1) | instskip(NEXT) | instid1(SALU_CYCLE_1)
	s_and_b32 s2, s2, exec_lo
	s_or_b32 s3, s3, s2
; %bb.9:
	s_or_b32 exec_lo, exec_lo, s4
	ds_swizzle_b32 v6, v5 offset:swizzle(BROADCAST,32,15)
	ds_swizzle_b32 v3, v1 offset:swizzle(BROADCAST,32,15)
	;; [unrolled: 1-line block ×3, first 2 shown]
	s_mov_b32 s2, exec_lo
	s_waitcnt lgkmcnt(2)
	v_and_b32_e32 v8, 1, v6
	s_delay_alu instid0(VALU_DEP_1)
	v_cmpx_eq_u32_e32 1, v8
	s_cbranch_execz .LBB526_11
; %bb.10:
	s_waitcnt lgkmcnt(0)
	v_cmp_lt_i64_e32 vcc_lo, v[1:2], v[3:4]
	v_and_b32_e32 v5, 0xff, v6
	s_delay_alu instid0(VALU_DEP_1)
	v_cndmask_b32_e64 v5, v5, 1, s3
	s_and_b32 vcc_lo, s3, vcc_lo
	v_dual_cndmask_b32 v1, v3, v1 :: v_dual_cndmask_b32 v2, v4, v2
.LBB526_11:
	s_or_b32 exec_lo, exec_lo, s2
	s_waitcnt lgkmcnt(1)
	v_mov_b32_e32 v3, 0
	s_mov_b32 s2, exec_lo
	ds_bpermute_b32 v6, v3, v5 offset:124
	ds_bpermute_b32 v1, v3, v1 offset:124
	;; [unrolled: 1-line block ×3, first 2 shown]
	v_mbcnt_lo_u32_b32 v3, -1, 0
	s_delay_alu instid0(VALU_DEP_1)
	v_cmpx_eq_u32_e32 0, v3
	s_cbranch_execz .LBB526_13
; %bb.12:
	s_waitcnt lgkmcnt(3)
	v_lshrrev_b32_e32 v4, 1, v0
	s_delay_alu instid0(VALU_DEP_1)
	v_and_b32_e32 v4, 0x70, v4
	s_waitcnt lgkmcnt(2)
	ds_store_b8 v4, v6
	s_waitcnt lgkmcnt(1)
	ds_store_b64 v4, v[1:2] offset:8
.LBB526_13:
	s_or_b32 exec_lo, exec_lo, s2
	s_delay_alu instid0(SALU_CYCLE_1)
	s_mov_b32 s4, exec_lo
	s_waitcnt lgkmcnt(0)
	s_barrier
	buffer_gl0_inv
	v_cmpx_gt_u32_e32 32, v0
	s_cbranch_execz .LBB526_15
; %bb.14:
	v_and_b32_e32 v6, 7, v3
	s_delay_alu instid0(VALU_DEP_1)
	v_lshlrev_b32_e32 v1, 4, v6
	v_cmp_ne_u32_e32 vcc_lo, 7, v6
	ds_load_u8 v8, v1
	ds_load_b64 v[1:2], v1 offset:8
	v_add_co_ci_u32_e32 v4, vcc_lo, 0, v3, vcc_lo
	v_cmp_gt_u32_e32 vcc_lo, 6, v6
	s_delay_alu instid0(VALU_DEP_2)
	v_lshlrev_b32_e32 v5, 2, v4
	v_cndmask_b32_e64 v11, 0, 1, vcc_lo
	s_waitcnt lgkmcnt(1)
	v_and_b32_e32 v4, 0xff, v8
	v_and_b32_e32 v12, 1, v8
	ds_bpermute_b32 v9, v5, v4
	s_waitcnt lgkmcnt(1)
	ds_bpermute_b32 v4, v5, v1
	ds_bpermute_b32 v5, v5, v2
	v_cmp_eq_u32_e64 s3, 1, v12
	s_waitcnt lgkmcnt(2)
	v_and_b32_e32 v10, 1, v9
	s_waitcnt lgkmcnt(0)
	v_cmp_lt_i64_e64 s2, v[4:5], v[1:2]
	s_delay_alu instid0(VALU_DEP_2) | instskip(SKIP_2) | instid1(VALU_DEP_4)
	v_cmp_eq_u32_e32 vcc_lo, 1, v10
	v_lshlrev_b32_e32 v10, 1, v11
	v_cndmask_b32_e64 v8, v8, 1, vcc_lo
	s_and_b32 vcc_lo, vcc_lo, s2
	v_dual_cndmask_b32 v1, v1, v4 :: v_dual_cndmask_b32 v2, v2, v5
	s_delay_alu instid0(VALU_DEP_2) | instskip(SKIP_2) | instid1(VALU_DEP_4)
	v_cndmask_b32_e64 v8, v9, v8, s3
	v_add_lshl_u32 v9, v10, v3, 2
	v_cmp_gt_u32_e32 vcc_lo, 4, v6
	v_cndmask_b32_e64 v1, v4, v1, s3
	v_cndmask_b32_e64 v2, v5, v2, s3
	v_and_b32_e32 v10, 0xff, v8
	v_and_b32_e32 v11, 1, v8
	v_cndmask_b32_e64 v6, 0, 1, vcc_lo
	ds_bpermute_b32 v4, v9, v1
	ds_bpermute_b32 v5, v9, v2
	;; [unrolled: 1-line block ×3, first 2 shown]
	v_cmp_eq_u32_e64 s3, 1, v11
	v_lshlrev_b32_e32 v6, 2, v6
	s_delay_alu instid0(VALU_DEP_1) | instskip(SKIP_4) | instid1(VALU_DEP_1)
	v_add_lshl_u32 v6, v6, v3, 2
	s_waitcnt lgkmcnt(1)
	v_cmp_lt_i64_e64 s2, v[4:5], v[1:2]
	s_waitcnt lgkmcnt(0)
	v_and_b32_e32 v9, 1, v10
	v_cmp_eq_u32_e32 vcc_lo, 1, v9
	v_cndmask_b32_e64 v8, v8, 1, vcc_lo
	s_delay_alu instid0(VALU_DEP_4) | instskip(SKIP_1) | instid1(VALU_DEP_2)
	s_and_b32 vcc_lo, vcc_lo, s2
	v_dual_cndmask_b32 v2, v2, v5 :: v_dual_cndmask_b32 v1, v1, v4
	v_cndmask_b32_e64 v8, v10, v8, s3
	s_delay_alu instid0(VALU_DEP_2) | instskip(NEXT) | instid1(VALU_DEP_3)
	v_cndmask_b32_e64 v2, v5, v2, s3
	v_cndmask_b32_e64 v1, v4, v1, s3
	s_delay_alu instid0(VALU_DEP_3)
	v_and_b32_e32 v3, 0xff, v8
	ds_bpermute_b32 v4, v6, v2
	ds_bpermute_b32 v5, v6, v3
	;; [unrolled: 1-line block ×3, first 2 shown]
	s_waitcnt lgkmcnt(1)
	v_and_b32_e32 v6, 1, v5
	s_waitcnt lgkmcnt(0)
	v_cmp_lt_i64_e32 vcc_lo, v[3:4], v[1:2]
	s_delay_alu instid0(VALU_DEP_2) | instskip(SKIP_1) | instid1(VALU_DEP_2)
	v_cmp_eq_u32_e64 s2, 1, v6
	v_and_b32_e32 v6, 1, v8
	v_cndmask_b32_e64 v8, v8, 1, s2
	s_and_b32 vcc_lo, s2, vcc_lo
	s_delay_alu instid0(VALU_DEP_2) | instskip(SKIP_1) | instid1(VALU_DEP_2)
	v_cmp_eq_u32_e64 s2, 1, v6
	v_dual_cndmask_b32 v1, v1, v3 :: v_dual_cndmask_b32 v2, v2, v4
	v_cndmask_b32_e64 v5, v5, v8, s2
	s_delay_alu instid0(VALU_DEP_2) | instskip(NEXT) | instid1(VALU_DEP_3)
	v_cndmask_b32_e64 v1, v3, v1, s2
	v_cndmask_b32_e64 v2, v4, v2, s2
	s_delay_alu instid0(VALU_DEP_3)
	v_and_b32_e32 v6, 0xff, v5
.LBB526_15:
	s_or_b32 exec_lo, exec_lo, s4
	s_load_b64 s[6:7], s[0:1], 0x58
	s_branch .LBB526_49
.LBB526_16:
                                        ; implicit-def: $vgpr1_vgpr2
                                        ; implicit-def: $vgpr6
	s_load_b64 s[6:7], s[0:1], 0x58
	s_cbranch_execz .LBB526_49
; %bb.17:
	v_mov_b32_e32 v5, 0
	v_dual_mov_b32 v6, 0 :: v_dual_mov_b32 v11, 0
	s_delay_alu instid0(VALU_DEP_2) | instskip(SKIP_2) | instid1(VALU_DEP_3)
	v_mov_b32_e32 v1, v5
	v_mov_b32_e32 v9, 0
	s_sub_i32 s22, s8, s22
	v_mov_b32_e32 v2, v6
	s_mov_b32 s2, exec_lo
	v_cmpx_gt_u32_e64 s22, v0
	s_cbranch_execz .LBB526_19
; %bb.18:
	s_clause 0x1
	global_load_b64 v[3:4], v7, s[18:19]
	global_load_b64 v[8:9], v7, s[20:21]
	v_add_co_u32 v1, s3, s5, v0
	s_delay_alu instid0(VALU_DEP_1)
	v_add_co_ci_u32_e64 v2, null, s23, 0, s3
	s_waitcnt vmcnt(0)
	v_cmp_ne_u64_e32 vcc_lo, v[3:4], v[8:9]
	v_cndmask_b32_e64 v9, 0, 1, vcc_lo
.LBB526_19:
	s_or_b32 exec_lo, exec_lo, s2
	v_or_b32_e32 v3, 0x100, v0
	s_delay_alu instid0(VALU_DEP_1) | instskip(NEXT) | instid1(VALU_DEP_1)
	v_cmp_gt_u32_e64 s3, s22, v3
	s_and_saveexec_b32 s2, s3
	s_cbranch_execz .LBB526_21
; %bb.20:
	s_clause 0x1
	global_load_b64 v[10:11], v7, s[18:19] offset:2048
	global_load_b64 v[7:8], v7, s[20:21] offset:2048
	v_add_co_u32 v5, s4, s5, v3
	s_delay_alu instid0(VALU_DEP_1)
	v_add_co_ci_u32_e64 v6, null, s23, 0, s4
	s_waitcnt vmcnt(0)
	v_cmp_ne_u64_e32 vcc_lo, v[10:11], v[7:8]
	v_cndmask_b32_e64 v11, 0, 1, vcc_lo
.LBB526_21:
	s_or_b32 exec_lo, exec_lo, s2
	v_dual_mov_b32 v3, 0 :: v_dual_mov_b32 v10, 0
	v_mov_b32_e32 v4, 0
	v_or_b32_e32 v13, 0x200, v0
	v_mov_b32_e32 v12, 0
	s_delay_alu instid0(VALU_DEP_3) | instskip(NEXT) | instid1(VALU_DEP_3)
	v_dual_mov_b32 v8, v4 :: v_dual_mov_b32 v7, v3
	v_cmp_gt_u32_e64 s2, s22, v13
	s_delay_alu instid0(VALU_DEP_1)
	s_and_saveexec_b32 s4, s2
	s_cbranch_execz .LBB526_23
; %bb.22:
	v_lshlrev_b32_e32 v7, 3, v13
	s_clause 0x1
	global_load_b64 v[14:15], v7, s[18:19]
	global_load_b64 v[16:17], v7, s[20:21]
	v_add_co_u32 v7, s24, s5, v13
	s_delay_alu instid0(VALU_DEP_1)
	v_add_co_ci_u32_e64 v8, null, s23, 0, s24
	s_waitcnt vmcnt(0)
	v_cmp_ne_u64_e32 vcc_lo, v[14:15], v[16:17]
	v_cndmask_b32_e64 v12, 0, 1, vcc_lo
.LBB526_23:
	s_or_b32 exec_lo, exec_lo, s4
	v_or_b32_e32 v13, 0x300, v0
	s_delay_alu instid0(VALU_DEP_1)
	v_cmp_gt_u32_e32 vcc_lo, s22, v13
	s_and_saveexec_b32 s24, vcc_lo
	s_cbranch_execnz .LBB526_52
; %bb.24:
	s_or_b32 exec_lo, exec_lo, s24
	s_and_saveexec_b32 s5, s3
	s_cbranch_execnz .LBB526_53
.LBB526_25:
	s_or_b32 exec_lo, exec_lo, s5
	s_and_saveexec_b32 s4, s2
	s_cbranch_execnz .LBB526_54
.LBB526_26:
	s_or_b32 exec_lo, exec_lo, s4
	s_and_saveexec_b32 s3, vcc_lo
.LBB526_27:
	v_and_b32_e32 v5, 1, v10
	v_cmp_lt_i64_e32 vcc_lo, v[3:4], v[1:2]
	s_delay_alu instid0(VALU_DEP_2) | instskip(NEXT) | instid1(VALU_DEP_1)
	v_cmp_eq_u32_e64 s2, 1, v5
	s_and_b32 vcc_lo, s2, vcc_lo
	v_cndmask_b32_e64 v6, v9, 1, s2
	v_dual_cndmask_b32 v2, v2, v4 :: v_dual_and_b32 v5, 1, v9
	v_cndmask_b32_e32 v1, v1, v3, vcc_lo
	s_delay_alu instid0(VALU_DEP_2) | instskip(NEXT) | instid1(VALU_DEP_3)
	v_cmp_eq_u32_e32 vcc_lo, 1, v5
	v_cndmask_b32_e32 v2, v4, v2, vcc_lo
	v_cndmask_b32_e32 v9, v10, v6, vcc_lo
	s_delay_alu instid0(VALU_DEP_4)
	v_cndmask_b32_e32 v1, v3, v1, vcc_lo
.LBB526_28:
	s_or_b32 exec_lo, exec_lo, s3
	v_mbcnt_lo_u32_b32 v5, -1, 0
	v_and_b32_e32 v7, 0xe0, v0
	s_min_u32 s3, s22, 0x100
	v_and_b32_e32 v6, 0xffff, v9
	s_delay_alu instid0(VALU_DEP_3) | instskip(NEXT) | instid1(VALU_DEP_3)
	v_cmp_ne_u32_e32 vcc_lo, 31, v5
	v_sub_nc_u32_e64 v8, s3, v7 clamp
	v_add_nc_u32_e32 v7, 1, v5
	v_add_co_ci_u32_e32 v3, vcc_lo, 0, v5, vcc_lo
	s_delay_alu instid0(VALU_DEP_2) | instskip(NEXT) | instid1(VALU_DEP_2)
	v_cmp_lt_u32_e32 vcc_lo, v7, v8
	v_dual_mov_b32 v7, v6 :: v_dual_lshlrev_b32 v4, 2, v3
	ds_bpermute_b32 v10, v4, v6
	ds_bpermute_b32 v3, v4, v1
	;; [unrolled: 1-line block ×3, first 2 shown]
	s_and_saveexec_b32 s2, vcc_lo
	s_delay_alu instid0(SALU_CYCLE_1)
	s_xor_b32 s4, exec_lo, s2
	s_cbranch_execz .LBB526_30
; %bb.29:
	s_waitcnt lgkmcnt(0)
	v_and_b32_e32 v7, 1, v10
	v_cmp_lt_i64_e32 vcc_lo, v[3:4], v[1:2]
	s_delay_alu instid0(VALU_DEP_2) | instskip(SKIP_1) | instid1(VALU_DEP_2)
	v_cmp_eq_u32_e64 s2, 1, v7
	v_and_b32_e32 v7, 1, v9
	v_cndmask_b32_e64 v6, v6, 1, s2
	s_and_b32 vcc_lo, s2, vcc_lo
	s_delay_alu instid0(VALU_DEP_2) | instskip(SKIP_1) | instid1(VALU_DEP_2)
	v_cmp_eq_u32_e64 s2, 1, v7
	v_dual_cndmask_b32 v2, v2, v4 :: v_dual_cndmask_b32 v1, v1, v3
	v_cndmask_b32_e64 v7, v10, v6, s2
	s_delay_alu instid0(VALU_DEP_2) | instskip(NEXT) | instid1(VALU_DEP_3)
	v_cndmask_b32_e64 v2, v4, v2, s2
	v_cndmask_b32_e64 v1, v3, v1, s2
	s_delay_alu instid0(VALU_DEP_3)
	v_and_b32_e32 v6, 0xff, v7
.LBB526_30:
	s_or_b32 exec_lo, exec_lo, s4
	v_cmp_gt_u32_e32 vcc_lo, 30, v5
	s_waitcnt lgkmcnt(0)
	v_add_nc_u32_e32 v10, 2, v5
	s_mov_b32 s4, exec_lo
	v_cndmask_b32_e64 v3, 0, 1, vcc_lo
	s_delay_alu instid0(VALU_DEP_1) | instskip(NEXT) | instid1(VALU_DEP_1)
	v_lshlrev_b32_e32 v3, 1, v3
	v_add_lshl_u32 v4, v3, v5, 2
	ds_bpermute_b32 v9, v4, v6
	ds_bpermute_b32 v3, v4, v1
	ds_bpermute_b32 v4, v4, v2
	v_cmpx_lt_u32_e64 v10, v8
	s_cbranch_execz .LBB526_32
; %bb.31:
	s_waitcnt lgkmcnt(2)
	v_and_b32_e32 v6, 1, v9
	s_waitcnt lgkmcnt(0)
	v_cmp_lt_i64_e32 vcc_lo, v[3:4], v[1:2]
	s_delay_alu instid0(VALU_DEP_2) | instskip(SKIP_1) | instid1(VALU_DEP_2)
	v_cmp_eq_u32_e64 s2, 1, v6
	v_and_b32_e32 v6, 1, v7
	v_cndmask_b32_e64 v7, v7, 1, s2
	s_and_b32 vcc_lo, s2, vcc_lo
	s_delay_alu instid0(VALU_DEP_2) | instskip(SKIP_1) | instid1(VALU_DEP_2)
	v_cmp_eq_u32_e64 s2, 1, v6
	v_dual_cndmask_b32 v1, v1, v3 :: v_dual_cndmask_b32 v2, v2, v4
	v_cndmask_b32_e64 v7, v9, v7, s2
	s_delay_alu instid0(VALU_DEP_2) | instskip(NEXT) | instid1(VALU_DEP_3)
	v_cndmask_b32_e64 v1, v3, v1, s2
	v_cndmask_b32_e64 v2, v4, v2, s2
	s_delay_alu instid0(VALU_DEP_3)
	v_and_b32_e32 v6, 0xff, v7
.LBB526_32:
	s_or_b32 exec_lo, exec_lo, s4
	v_cmp_gt_u32_e32 vcc_lo, 28, v5
	v_add_nc_u32_e32 v10, 4, v5
	s_mov_b32 s4, exec_lo
	s_waitcnt lgkmcnt(1)
	v_cndmask_b32_e64 v3, 0, 1, vcc_lo
	s_delay_alu instid0(VALU_DEP_1) | instskip(SKIP_1) | instid1(VALU_DEP_1)
	v_lshlrev_b32_e32 v3, 2, v3
	s_waitcnt lgkmcnt(0)
	v_add_lshl_u32 v4, v3, v5, 2
	ds_bpermute_b32 v9, v4, v6
	ds_bpermute_b32 v3, v4, v1
	ds_bpermute_b32 v4, v4, v2
	v_cmpx_lt_u32_e64 v10, v8
	s_cbranch_execz .LBB526_34
; %bb.33:
	s_waitcnt lgkmcnt(2)
	v_and_b32_e32 v6, 1, v9
	s_waitcnt lgkmcnt(0)
	v_cmp_lt_i64_e32 vcc_lo, v[3:4], v[1:2]
	s_delay_alu instid0(VALU_DEP_2) | instskip(SKIP_1) | instid1(VALU_DEP_2)
	v_cmp_eq_u32_e64 s2, 1, v6
	v_and_b32_e32 v6, 1, v7
	v_cndmask_b32_e64 v7, v7, 1, s2
	s_and_b32 vcc_lo, s2, vcc_lo
	s_delay_alu instid0(VALU_DEP_2) | instskip(SKIP_1) | instid1(VALU_DEP_2)
	v_cmp_eq_u32_e64 s2, 1, v6
	v_dual_cndmask_b32 v1, v1, v3 :: v_dual_cndmask_b32 v2, v2, v4
	v_cndmask_b32_e64 v7, v9, v7, s2
	s_delay_alu instid0(VALU_DEP_2) | instskip(NEXT) | instid1(VALU_DEP_3)
	v_cndmask_b32_e64 v1, v3, v1, s2
	v_cndmask_b32_e64 v2, v4, v2, s2
	s_delay_alu instid0(VALU_DEP_3)
	v_and_b32_e32 v6, 0xff, v7
.LBB526_34:
	s_or_b32 exec_lo, exec_lo, s4
	v_cmp_gt_u32_e32 vcc_lo, 24, v5
	v_add_nc_u32_e32 v10, 8, v5
	s_mov_b32 s4, exec_lo
	s_waitcnt lgkmcnt(1)
	v_cndmask_b32_e64 v3, 0, 1, vcc_lo
	s_delay_alu instid0(VALU_DEP_1) | instskip(SKIP_1) | instid1(VALU_DEP_1)
	v_lshlrev_b32_e32 v3, 3, v3
	s_waitcnt lgkmcnt(0)
	v_add_lshl_u32 v4, v3, v5, 2
	ds_bpermute_b32 v9, v4, v6
	ds_bpermute_b32 v3, v4, v1
	ds_bpermute_b32 v4, v4, v2
	v_cmpx_lt_u32_e64 v10, v8
	s_cbranch_execz .LBB526_36
; %bb.35:
	s_waitcnt lgkmcnt(2)
	v_and_b32_e32 v6, 1, v9
	s_waitcnt lgkmcnt(0)
	v_cmp_lt_i64_e32 vcc_lo, v[3:4], v[1:2]
	s_delay_alu instid0(VALU_DEP_2) | instskip(SKIP_1) | instid1(VALU_DEP_2)
	v_cmp_eq_u32_e64 s2, 1, v6
	v_and_b32_e32 v6, 1, v7
	v_cndmask_b32_e64 v7, v7, 1, s2
	s_and_b32 vcc_lo, s2, vcc_lo
	s_delay_alu instid0(VALU_DEP_2) | instskip(SKIP_1) | instid1(VALU_DEP_2)
	v_cmp_eq_u32_e64 s2, 1, v6
	v_dual_cndmask_b32 v1, v1, v3 :: v_dual_cndmask_b32 v2, v2, v4
	v_cndmask_b32_e64 v7, v9, v7, s2
	s_delay_alu instid0(VALU_DEP_2) | instskip(NEXT) | instid1(VALU_DEP_3)
	v_cndmask_b32_e64 v1, v3, v1, s2
	v_cndmask_b32_e64 v2, v4, v2, s2
	s_delay_alu instid0(VALU_DEP_3)
	v_and_b32_e32 v6, 0xff, v7
.LBB526_36:
	s_or_b32 exec_lo, exec_lo, s4
	v_cmp_gt_u32_e32 vcc_lo, 16, v5
	v_add_nc_u32_e32 v10, 16, v5
	s_mov_b32 s4, exec_lo
	s_waitcnt lgkmcnt(1)
	v_cndmask_b32_e64 v3, 0, 1, vcc_lo
	s_delay_alu instid0(VALU_DEP_1) | instskip(SKIP_1) | instid1(VALU_DEP_1)
	v_lshlrev_b32_e32 v3, 4, v3
	s_waitcnt lgkmcnt(0)
	v_add_lshl_u32 v4, v3, v5, 2
	ds_bpermute_b32 v9, v4, v6
	ds_bpermute_b32 v3, v4, v1
	;; [unrolled: 1-line block ×3, first 2 shown]
	v_cmpx_lt_u32_e64 v10, v8
	s_cbranch_execz .LBB526_38
; %bb.37:
	s_waitcnt lgkmcnt(2)
	v_and_b32_e32 v6, 1, v9
	s_waitcnt lgkmcnt(0)
	v_cmp_lt_i64_e32 vcc_lo, v[3:4], v[1:2]
	s_delay_alu instid0(VALU_DEP_2) | instskip(SKIP_1) | instid1(VALU_DEP_2)
	v_cmp_eq_u32_e64 s2, 1, v6
	v_and_b32_e32 v6, 1, v7
	v_cndmask_b32_e64 v7, v7, 1, s2
	s_and_b32 vcc_lo, s2, vcc_lo
	s_delay_alu instid0(VALU_DEP_2) | instskip(SKIP_1) | instid1(VALU_DEP_2)
	v_cmp_eq_u32_e64 s2, 1, v6
	v_dual_cndmask_b32 v1, v1, v3 :: v_dual_cndmask_b32 v2, v2, v4
	v_cndmask_b32_e64 v7, v9, v7, s2
	s_delay_alu instid0(VALU_DEP_2) | instskip(NEXT) | instid1(VALU_DEP_3)
	v_cndmask_b32_e64 v1, v3, v1, s2
	v_cndmask_b32_e64 v2, v4, v2, s2
	s_delay_alu instid0(VALU_DEP_3)
	v_and_b32_e32 v6, 0xff, v7
.LBB526_38:
	s_or_b32 exec_lo, exec_lo, s4
	s_delay_alu instid0(SALU_CYCLE_1)
	s_mov_b32 s2, exec_lo
	v_cmpx_eq_u32_e32 0, v5
	s_cbranch_execz .LBB526_40
; %bb.39:
	s_waitcnt lgkmcnt(1)
	v_lshrrev_b32_e32 v3, 1, v0
	s_delay_alu instid0(VALU_DEP_1)
	v_and_b32_e32 v3, 0x70, v3
	ds_store_b8 v3, v7 offset:128
	ds_store_b64 v3, v[1:2] offset:136
.LBB526_40:
	s_or_b32 exec_lo, exec_lo, s2
	s_delay_alu instid0(SALU_CYCLE_1)
	s_mov_b32 s4, exec_lo
	s_waitcnt lgkmcnt(0)
	s_barrier
	buffer_gl0_inv
	v_cmpx_gt_u32_e32 8, v0
	s_cbranch_execz .LBB526_48
; %bb.41:
	v_lshlrev_b32_e32 v1, 4, v5
	v_and_b32_e32 v8, 7, v5
	s_add_i32 s3, s3, 31
	s_mov_b32 s5, exec_lo
	s_lshr_b32 s3, s3, 5
	ds_load_u8 v7, v1 offset:128
	ds_load_b64 v[1:2], v1 offset:136
	v_cmp_ne_u32_e32 vcc_lo, 7, v8
	v_add_nc_u32_e32 v10, 1, v8
	v_add_co_ci_u32_e32 v3, vcc_lo, 0, v5, vcc_lo
	s_delay_alu instid0(VALU_DEP_1)
	v_lshlrev_b32_e32 v4, 2, v3
	s_waitcnt lgkmcnt(1)
	v_and_b32_e32 v6, 0xff, v7
	s_waitcnt lgkmcnt(0)
	ds_bpermute_b32 v3, v4, v1
	ds_bpermute_b32 v9, v4, v6
	ds_bpermute_b32 v4, v4, v2
	v_cmpx_gt_u32_e64 s3, v10
	s_cbranch_execz .LBB526_43
; %bb.42:
	s_waitcnt lgkmcnt(1)
	v_and_b32_e32 v6, 1, v9
	s_waitcnt lgkmcnt(0)
	v_cmp_lt_i64_e32 vcc_lo, v[3:4], v[1:2]
	s_delay_alu instid0(VALU_DEP_2) | instskip(SKIP_1) | instid1(VALU_DEP_2)
	v_cmp_eq_u32_e64 s2, 1, v6
	v_and_b32_e32 v6, 1, v7
	v_cndmask_b32_e64 v7, v7, 1, s2
	s_and_b32 vcc_lo, s2, vcc_lo
	s_delay_alu instid0(VALU_DEP_2) | instskip(SKIP_1) | instid1(VALU_DEP_2)
	v_cmp_eq_u32_e64 s2, 1, v6
	v_dual_cndmask_b32 v1, v1, v3 :: v_dual_cndmask_b32 v2, v2, v4
	v_cndmask_b32_e64 v7, v9, v7, s2
	s_delay_alu instid0(VALU_DEP_2) | instskip(NEXT) | instid1(VALU_DEP_3)
	v_cndmask_b32_e64 v1, v3, v1, s2
	v_cndmask_b32_e64 v2, v4, v2, s2
	s_delay_alu instid0(VALU_DEP_3)
	v_and_b32_e32 v6, 0xff, v7
.LBB526_43:
	s_or_b32 exec_lo, exec_lo, s5
	v_cmp_gt_u32_e32 vcc_lo, 6, v8
	v_add_nc_u32_e32 v10, 2, v8
	s_mov_b32 s5, exec_lo
	s_waitcnt lgkmcnt(2)
	v_cndmask_b32_e64 v3, 0, 1, vcc_lo
	s_delay_alu instid0(VALU_DEP_1) | instskip(SKIP_1) | instid1(VALU_DEP_1)
	v_lshlrev_b32_e32 v3, 1, v3
	s_waitcnt lgkmcnt(0)
	v_add_lshl_u32 v4, v3, v5, 2
	ds_bpermute_b32 v9, v4, v6
	ds_bpermute_b32 v3, v4, v1
	;; [unrolled: 1-line block ×3, first 2 shown]
	v_cmpx_gt_u32_e64 s3, v10
	s_cbranch_execz .LBB526_45
; %bb.44:
	s_waitcnt lgkmcnt(2)
	v_and_b32_e32 v6, 1, v9
	s_waitcnt lgkmcnt(0)
	v_cmp_lt_i64_e32 vcc_lo, v[3:4], v[1:2]
	s_delay_alu instid0(VALU_DEP_2) | instskip(SKIP_1) | instid1(VALU_DEP_2)
	v_cmp_eq_u32_e64 s2, 1, v6
	v_and_b32_e32 v6, 1, v7
	v_cndmask_b32_e64 v7, v7, 1, s2
	s_and_b32 vcc_lo, s2, vcc_lo
	s_delay_alu instid0(VALU_DEP_2) | instskip(SKIP_1) | instid1(VALU_DEP_2)
	v_cmp_eq_u32_e64 s2, 1, v6
	v_dual_cndmask_b32 v1, v1, v3 :: v_dual_cndmask_b32 v2, v2, v4
	v_cndmask_b32_e64 v7, v9, v7, s2
	s_delay_alu instid0(VALU_DEP_2) | instskip(NEXT) | instid1(VALU_DEP_3)
	v_cndmask_b32_e64 v1, v3, v1, s2
	v_cndmask_b32_e64 v2, v4, v2, s2
	s_delay_alu instid0(VALU_DEP_3)
	v_and_b32_e32 v6, 0xff, v7
.LBB526_45:
	s_or_b32 exec_lo, exec_lo, s5
	v_cmp_gt_u32_e32 vcc_lo, 4, v8
	v_add_nc_u32_e32 v8, 4, v8
	s_waitcnt lgkmcnt(1)
	v_cndmask_b32_e64 v3, 0, 1, vcc_lo
	s_delay_alu instid0(VALU_DEP_2) | instskip(NEXT) | instid1(VALU_DEP_2)
	v_cmp_gt_u32_e32 vcc_lo, s3, v8
	v_lshlrev_b32_e32 v3, 2, v3
	s_waitcnt lgkmcnt(0)
	s_delay_alu instid0(VALU_DEP_1)
	v_add_lshl_u32 v4, v3, v5, 2
	ds_bpermute_b32 v5, v4, v6
	ds_bpermute_b32 v3, v4, v1
	ds_bpermute_b32 v4, v4, v2
	s_and_saveexec_b32 s3, vcc_lo
	s_cbranch_execz .LBB526_47
; %bb.46:
	s_waitcnt lgkmcnt(2)
	v_and_b32_e32 v6, 1, v5
	s_waitcnt lgkmcnt(0)
	v_cmp_lt_i64_e32 vcc_lo, v[3:4], v[1:2]
	s_delay_alu instid0(VALU_DEP_2) | instskip(SKIP_1) | instid1(VALU_DEP_2)
	v_cmp_eq_u32_e64 s2, 1, v6
	v_and_b32_e32 v6, 1, v7
	v_cndmask_b32_e64 v7, v7, 1, s2
	s_and_b32 vcc_lo, s2, vcc_lo
	s_delay_alu instid0(VALU_DEP_2) | instskip(SKIP_1) | instid1(VALU_DEP_2)
	v_cmp_eq_u32_e64 s2, 1, v6
	v_dual_cndmask_b32 v1, v1, v3 :: v_dual_cndmask_b32 v2, v2, v4
	v_cndmask_b32_e64 v5, v5, v7, s2
	s_delay_alu instid0(VALU_DEP_2) | instskip(NEXT) | instid1(VALU_DEP_3)
	v_cndmask_b32_e64 v1, v3, v1, s2
	v_cndmask_b32_e64 v2, v4, v2, s2
	s_delay_alu instid0(VALU_DEP_3)
	v_and_b32_e32 v6, 0xff, v5
.LBB526_47:
	s_or_b32 exec_lo, exec_lo, s3
.LBB526_48:
	s_delay_alu instid0(SALU_CYCLE_1)
	s_or_b32 exec_lo, exec_lo, s4
.LBB526_49:
	s_load_b32 s0, s[0:1], 0x50
	s_mov_b32 s1, exec_lo
	v_cmpx_eq_u32_e32 0, v0
	s_cbranch_execz .LBB526_51
; %bb.50:
	s_mul_i32 s1, s14, s13
	s_mul_hi_u32 s2, s14, s12
	s_mul_i32 s3, s15, s12
	s_add_i32 s1, s2, s1
	s_mul_i32 s2, s14, s12
	s_add_i32 s3, s1, s3
	v_mov_b32_e32 v0, 0
	s_lshl_b64 s[2:3], s[2:3], 4
	s_delay_alu instid0(SALU_CYCLE_1)
	s_add_u32 s1, s10, s2
	s_addc_u32 s4, s11, s3
	s_cmp_eq_u64 s[8:9], 0
	s_cselect_b32 s5, -1, 0
	s_lshl_b64 s[2:3], s[16:17], 4
	s_waitcnt lgkmcnt(0)
	v_cndmask_b32_e64 v3, v6, s0, s5
	v_cndmask_b32_e64 v2, v2, s7, s5
	;; [unrolled: 1-line block ×3, first 2 shown]
	s_add_u32 s0, s1, s2
	s_addc_u32 s1, s4, s3
	s_clause 0x1
	global_store_b8 v0, v3, s[0:1]
	global_store_b64 v0, v[1:2], s[0:1] offset:8
.LBB526_51:
	s_nop 0
	s_sendmsg sendmsg(MSG_DEALLOC_VGPRS)
	s_endpgm
.LBB526_52:
	v_lshlrev_b32_e32 v3, 3, v13
	s_clause 0x1
	global_load_b64 v[14:15], v3, s[18:19]
	global_load_b64 v[16:17], v3, s[20:21]
	v_add_co_u32 v3, s4, s5, v13
	s_delay_alu instid0(VALU_DEP_1) | instskip(SKIP_2) | instid1(VALU_DEP_1)
	v_add_co_ci_u32_e64 v4, null, s23, 0, s4
	s_waitcnt vmcnt(0)
	v_cmp_ne_u64_e64 s4, v[14:15], v[16:17]
	v_cndmask_b32_e64 v10, 0, 1, s4
	s_or_b32 exec_lo, exec_lo, s24
	s_and_saveexec_b32 s5, s3
	s_cbranch_execz .LBB526_25
.LBB526_53:
	v_and_b32_e32 v13, 1, v11
	v_cmp_lt_i64_e64 s3, v[5:6], v[1:2]
	s_delay_alu instid0(VALU_DEP_2) | instskip(SKIP_1) | instid1(VALU_DEP_2)
	v_cmp_eq_u32_e64 s4, 1, v13
	v_and_b32_e32 v13, 1, v9
	s_and_b32 s3, s4, s3
	v_cndmask_b32_e64 v9, v9, 1, s4
	v_cndmask_b32_e64 v1, v1, v5, s3
	;; [unrolled: 1-line block ×3, first 2 shown]
	v_cmp_eq_u32_e64 s3, 1, v13
	s_delay_alu instid0(VALU_DEP_1) | instskip(NEXT) | instid1(VALU_DEP_3)
	v_cndmask_b32_e64 v9, v11, v9, s3
	v_cndmask_b32_e64 v2, v6, v2, s3
	;; [unrolled: 1-line block ×3, first 2 shown]
	s_or_b32 exec_lo, exec_lo, s5
	s_and_saveexec_b32 s4, s2
	s_cbranch_execz .LBB526_26
.LBB526_54:
	v_and_b32_e32 v5, 1, v12
	v_cmp_lt_i64_e64 s2, v[7:8], v[1:2]
	s_delay_alu instid0(VALU_DEP_2) | instskip(SKIP_1) | instid1(VALU_DEP_2)
	v_cmp_eq_u32_e64 s3, 1, v5
	v_and_b32_e32 v5, 1, v9
	s_and_b32 s2, s3, s2
	v_cndmask_b32_e64 v6, v9, 1, s3
	v_cndmask_b32_e64 v1, v1, v7, s2
	;; [unrolled: 1-line block ×3, first 2 shown]
	v_cmp_eq_u32_e64 s2, 1, v5
	s_delay_alu instid0(VALU_DEP_1) | instskip(NEXT) | instid1(VALU_DEP_3)
	v_cndmask_b32_e64 v9, v12, v6, s2
	v_cndmask_b32_e64 v2, v8, v2, s2
	;; [unrolled: 1-line block ×3, first 2 shown]
	s_or_b32 exec_lo, exec_lo, s4
	s_and_saveexec_b32 s3, vcc_lo
	s_cbranch_execnz .LBB526_27
	s_branch .LBB526_28
	.section	.rodata,"a",@progbits
	.p2align	6, 0x0
	.amdhsa_kernel _ZN7rocprim17ROCPRIM_400000_NS6detail17trampoline_kernelINS0_14default_configENS1_22reduce_config_selectorIN6thrust23THRUST_200600_302600_NS5tupleIblNS6_9null_typeES8_S8_S8_S8_S8_S8_S8_EEEEZNS1_11reduce_implILb1ES3_NS6_12zip_iteratorINS7_INS6_11hip_rocprim26transform_input_iterator_tIbNSD_35transform_pair_of_input_iterators_tIbNS6_6detail15normal_iteratorINS6_10device_ptrIKxEEEESL_NS6_8equal_toIxEEEENSG_9not_fun_tINSD_8identityEEEEENSD_19counting_iterator_tIlEES8_S8_S8_S8_S8_S8_S8_S8_EEEEPS9_S9_NSD_9__find_if7functorIS9_EEEE10hipError_tPvRmT1_T2_T3_mT4_P12ihipStream_tbEUlT_E0_NS1_11comp_targetILNS1_3genE9ELNS1_11target_archE1100ELNS1_3gpuE3ELNS1_3repE0EEENS1_30default_config_static_selectorELNS0_4arch9wavefront6targetE0EEEvS14_
		.amdhsa_group_segment_fixed_size 256
		.amdhsa_private_segment_fixed_size 0
		.amdhsa_kernarg_size 104
		.amdhsa_user_sgpr_count 15
		.amdhsa_user_sgpr_dispatch_ptr 0
		.amdhsa_user_sgpr_queue_ptr 0
		.amdhsa_user_sgpr_kernarg_segment_ptr 1
		.amdhsa_user_sgpr_dispatch_id 0
		.amdhsa_user_sgpr_private_segment_size 0
		.amdhsa_wavefront_size32 1
		.amdhsa_uses_dynamic_stack 0
		.amdhsa_enable_private_segment 0
		.amdhsa_system_sgpr_workgroup_id_x 1
		.amdhsa_system_sgpr_workgroup_id_y 0
		.amdhsa_system_sgpr_workgroup_id_z 0
		.amdhsa_system_sgpr_workgroup_info 0
		.amdhsa_system_vgpr_workitem_id 0
		.amdhsa_next_free_vgpr 19
		.amdhsa_next_free_sgpr 28
		.amdhsa_reserve_vcc 1
		.amdhsa_float_round_mode_32 0
		.amdhsa_float_round_mode_16_64 0
		.amdhsa_float_denorm_mode_32 3
		.amdhsa_float_denorm_mode_16_64 3
		.amdhsa_dx10_clamp 1
		.amdhsa_ieee_mode 1
		.amdhsa_fp16_overflow 0
		.amdhsa_workgroup_processor_mode 1
		.amdhsa_memory_ordered 1
		.amdhsa_forward_progress 0
		.amdhsa_shared_vgpr_count 0
		.amdhsa_exception_fp_ieee_invalid_op 0
		.amdhsa_exception_fp_denorm_src 0
		.amdhsa_exception_fp_ieee_div_zero 0
		.amdhsa_exception_fp_ieee_overflow 0
		.amdhsa_exception_fp_ieee_underflow 0
		.amdhsa_exception_fp_ieee_inexact 0
		.amdhsa_exception_int_div_zero 0
	.end_amdhsa_kernel
	.section	.text._ZN7rocprim17ROCPRIM_400000_NS6detail17trampoline_kernelINS0_14default_configENS1_22reduce_config_selectorIN6thrust23THRUST_200600_302600_NS5tupleIblNS6_9null_typeES8_S8_S8_S8_S8_S8_S8_EEEEZNS1_11reduce_implILb1ES3_NS6_12zip_iteratorINS7_INS6_11hip_rocprim26transform_input_iterator_tIbNSD_35transform_pair_of_input_iterators_tIbNS6_6detail15normal_iteratorINS6_10device_ptrIKxEEEESL_NS6_8equal_toIxEEEENSG_9not_fun_tINSD_8identityEEEEENSD_19counting_iterator_tIlEES8_S8_S8_S8_S8_S8_S8_S8_EEEEPS9_S9_NSD_9__find_if7functorIS9_EEEE10hipError_tPvRmT1_T2_T3_mT4_P12ihipStream_tbEUlT_E0_NS1_11comp_targetILNS1_3genE9ELNS1_11target_archE1100ELNS1_3gpuE3ELNS1_3repE0EEENS1_30default_config_static_selectorELNS0_4arch9wavefront6targetE0EEEvS14_,"axG",@progbits,_ZN7rocprim17ROCPRIM_400000_NS6detail17trampoline_kernelINS0_14default_configENS1_22reduce_config_selectorIN6thrust23THRUST_200600_302600_NS5tupleIblNS6_9null_typeES8_S8_S8_S8_S8_S8_S8_EEEEZNS1_11reduce_implILb1ES3_NS6_12zip_iteratorINS7_INS6_11hip_rocprim26transform_input_iterator_tIbNSD_35transform_pair_of_input_iterators_tIbNS6_6detail15normal_iteratorINS6_10device_ptrIKxEEEESL_NS6_8equal_toIxEEEENSG_9not_fun_tINSD_8identityEEEEENSD_19counting_iterator_tIlEES8_S8_S8_S8_S8_S8_S8_S8_EEEEPS9_S9_NSD_9__find_if7functorIS9_EEEE10hipError_tPvRmT1_T2_T3_mT4_P12ihipStream_tbEUlT_E0_NS1_11comp_targetILNS1_3genE9ELNS1_11target_archE1100ELNS1_3gpuE3ELNS1_3repE0EEENS1_30default_config_static_selectorELNS0_4arch9wavefront6targetE0EEEvS14_,comdat
.Lfunc_end526:
	.size	_ZN7rocprim17ROCPRIM_400000_NS6detail17trampoline_kernelINS0_14default_configENS1_22reduce_config_selectorIN6thrust23THRUST_200600_302600_NS5tupleIblNS6_9null_typeES8_S8_S8_S8_S8_S8_S8_EEEEZNS1_11reduce_implILb1ES3_NS6_12zip_iteratorINS7_INS6_11hip_rocprim26transform_input_iterator_tIbNSD_35transform_pair_of_input_iterators_tIbNS6_6detail15normal_iteratorINS6_10device_ptrIKxEEEESL_NS6_8equal_toIxEEEENSG_9not_fun_tINSD_8identityEEEEENSD_19counting_iterator_tIlEES8_S8_S8_S8_S8_S8_S8_S8_EEEEPS9_S9_NSD_9__find_if7functorIS9_EEEE10hipError_tPvRmT1_T2_T3_mT4_P12ihipStream_tbEUlT_E0_NS1_11comp_targetILNS1_3genE9ELNS1_11target_archE1100ELNS1_3gpuE3ELNS1_3repE0EEENS1_30default_config_static_selectorELNS0_4arch9wavefront6targetE0EEEvS14_, .Lfunc_end526-_ZN7rocprim17ROCPRIM_400000_NS6detail17trampoline_kernelINS0_14default_configENS1_22reduce_config_selectorIN6thrust23THRUST_200600_302600_NS5tupleIblNS6_9null_typeES8_S8_S8_S8_S8_S8_S8_EEEEZNS1_11reduce_implILb1ES3_NS6_12zip_iteratorINS7_INS6_11hip_rocprim26transform_input_iterator_tIbNSD_35transform_pair_of_input_iterators_tIbNS6_6detail15normal_iteratorINS6_10device_ptrIKxEEEESL_NS6_8equal_toIxEEEENSG_9not_fun_tINSD_8identityEEEEENSD_19counting_iterator_tIlEES8_S8_S8_S8_S8_S8_S8_S8_EEEEPS9_S9_NSD_9__find_if7functorIS9_EEEE10hipError_tPvRmT1_T2_T3_mT4_P12ihipStream_tbEUlT_E0_NS1_11comp_targetILNS1_3genE9ELNS1_11target_archE1100ELNS1_3gpuE3ELNS1_3repE0EEENS1_30default_config_static_selectorELNS0_4arch9wavefront6targetE0EEEvS14_
                                        ; -- End function
	.section	.AMDGPU.csdata,"",@progbits
; Kernel info:
; codeLenInByte = 4108
; NumSgprs: 30
; NumVgprs: 19
; ScratchSize: 0
; MemoryBound: 0
; FloatMode: 240
; IeeeMode: 1
; LDSByteSize: 256 bytes/workgroup (compile time only)
; SGPRBlocks: 3
; VGPRBlocks: 2
; NumSGPRsForWavesPerEU: 30
; NumVGPRsForWavesPerEU: 19
; Occupancy: 16
; WaveLimiterHint : 0
; COMPUTE_PGM_RSRC2:SCRATCH_EN: 0
; COMPUTE_PGM_RSRC2:USER_SGPR: 15
; COMPUTE_PGM_RSRC2:TRAP_HANDLER: 0
; COMPUTE_PGM_RSRC2:TGID_X_EN: 1
; COMPUTE_PGM_RSRC2:TGID_Y_EN: 0
; COMPUTE_PGM_RSRC2:TGID_Z_EN: 0
; COMPUTE_PGM_RSRC2:TIDIG_COMP_CNT: 0
	.section	.text._ZN7rocprim17ROCPRIM_400000_NS6detail17trampoline_kernelINS0_14default_configENS1_22reduce_config_selectorIN6thrust23THRUST_200600_302600_NS5tupleIblNS6_9null_typeES8_S8_S8_S8_S8_S8_S8_EEEEZNS1_11reduce_implILb1ES3_NS6_12zip_iteratorINS7_INS6_11hip_rocprim26transform_input_iterator_tIbNSD_35transform_pair_of_input_iterators_tIbNS6_6detail15normal_iteratorINS6_10device_ptrIKxEEEESL_NS6_8equal_toIxEEEENSG_9not_fun_tINSD_8identityEEEEENSD_19counting_iterator_tIlEES8_S8_S8_S8_S8_S8_S8_S8_EEEEPS9_S9_NSD_9__find_if7functorIS9_EEEE10hipError_tPvRmT1_T2_T3_mT4_P12ihipStream_tbEUlT_E0_NS1_11comp_targetILNS1_3genE8ELNS1_11target_archE1030ELNS1_3gpuE2ELNS1_3repE0EEENS1_30default_config_static_selectorELNS0_4arch9wavefront6targetE0EEEvS14_,"axG",@progbits,_ZN7rocprim17ROCPRIM_400000_NS6detail17trampoline_kernelINS0_14default_configENS1_22reduce_config_selectorIN6thrust23THRUST_200600_302600_NS5tupleIblNS6_9null_typeES8_S8_S8_S8_S8_S8_S8_EEEEZNS1_11reduce_implILb1ES3_NS6_12zip_iteratorINS7_INS6_11hip_rocprim26transform_input_iterator_tIbNSD_35transform_pair_of_input_iterators_tIbNS6_6detail15normal_iteratorINS6_10device_ptrIKxEEEESL_NS6_8equal_toIxEEEENSG_9not_fun_tINSD_8identityEEEEENSD_19counting_iterator_tIlEES8_S8_S8_S8_S8_S8_S8_S8_EEEEPS9_S9_NSD_9__find_if7functorIS9_EEEE10hipError_tPvRmT1_T2_T3_mT4_P12ihipStream_tbEUlT_E0_NS1_11comp_targetILNS1_3genE8ELNS1_11target_archE1030ELNS1_3gpuE2ELNS1_3repE0EEENS1_30default_config_static_selectorELNS0_4arch9wavefront6targetE0EEEvS14_,comdat
	.protected	_ZN7rocprim17ROCPRIM_400000_NS6detail17trampoline_kernelINS0_14default_configENS1_22reduce_config_selectorIN6thrust23THRUST_200600_302600_NS5tupleIblNS6_9null_typeES8_S8_S8_S8_S8_S8_S8_EEEEZNS1_11reduce_implILb1ES3_NS6_12zip_iteratorINS7_INS6_11hip_rocprim26transform_input_iterator_tIbNSD_35transform_pair_of_input_iterators_tIbNS6_6detail15normal_iteratorINS6_10device_ptrIKxEEEESL_NS6_8equal_toIxEEEENSG_9not_fun_tINSD_8identityEEEEENSD_19counting_iterator_tIlEES8_S8_S8_S8_S8_S8_S8_S8_EEEEPS9_S9_NSD_9__find_if7functorIS9_EEEE10hipError_tPvRmT1_T2_T3_mT4_P12ihipStream_tbEUlT_E0_NS1_11comp_targetILNS1_3genE8ELNS1_11target_archE1030ELNS1_3gpuE2ELNS1_3repE0EEENS1_30default_config_static_selectorELNS0_4arch9wavefront6targetE0EEEvS14_ ; -- Begin function _ZN7rocprim17ROCPRIM_400000_NS6detail17trampoline_kernelINS0_14default_configENS1_22reduce_config_selectorIN6thrust23THRUST_200600_302600_NS5tupleIblNS6_9null_typeES8_S8_S8_S8_S8_S8_S8_EEEEZNS1_11reduce_implILb1ES3_NS6_12zip_iteratorINS7_INS6_11hip_rocprim26transform_input_iterator_tIbNSD_35transform_pair_of_input_iterators_tIbNS6_6detail15normal_iteratorINS6_10device_ptrIKxEEEESL_NS6_8equal_toIxEEEENSG_9not_fun_tINSD_8identityEEEEENSD_19counting_iterator_tIlEES8_S8_S8_S8_S8_S8_S8_S8_EEEEPS9_S9_NSD_9__find_if7functorIS9_EEEE10hipError_tPvRmT1_T2_T3_mT4_P12ihipStream_tbEUlT_E0_NS1_11comp_targetILNS1_3genE8ELNS1_11target_archE1030ELNS1_3gpuE2ELNS1_3repE0EEENS1_30default_config_static_selectorELNS0_4arch9wavefront6targetE0EEEvS14_
	.globl	_ZN7rocprim17ROCPRIM_400000_NS6detail17trampoline_kernelINS0_14default_configENS1_22reduce_config_selectorIN6thrust23THRUST_200600_302600_NS5tupleIblNS6_9null_typeES8_S8_S8_S8_S8_S8_S8_EEEEZNS1_11reduce_implILb1ES3_NS6_12zip_iteratorINS7_INS6_11hip_rocprim26transform_input_iterator_tIbNSD_35transform_pair_of_input_iterators_tIbNS6_6detail15normal_iteratorINS6_10device_ptrIKxEEEESL_NS6_8equal_toIxEEEENSG_9not_fun_tINSD_8identityEEEEENSD_19counting_iterator_tIlEES8_S8_S8_S8_S8_S8_S8_S8_EEEEPS9_S9_NSD_9__find_if7functorIS9_EEEE10hipError_tPvRmT1_T2_T3_mT4_P12ihipStream_tbEUlT_E0_NS1_11comp_targetILNS1_3genE8ELNS1_11target_archE1030ELNS1_3gpuE2ELNS1_3repE0EEENS1_30default_config_static_selectorELNS0_4arch9wavefront6targetE0EEEvS14_
	.p2align	8
	.type	_ZN7rocprim17ROCPRIM_400000_NS6detail17trampoline_kernelINS0_14default_configENS1_22reduce_config_selectorIN6thrust23THRUST_200600_302600_NS5tupleIblNS6_9null_typeES8_S8_S8_S8_S8_S8_S8_EEEEZNS1_11reduce_implILb1ES3_NS6_12zip_iteratorINS7_INS6_11hip_rocprim26transform_input_iterator_tIbNSD_35transform_pair_of_input_iterators_tIbNS6_6detail15normal_iteratorINS6_10device_ptrIKxEEEESL_NS6_8equal_toIxEEEENSG_9not_fun_tINSD_8identityEEEEENSD_19counting_iterator_tIlEES8_S8_S8_S8_S8_S8_S8_S8_EEEEPS9_S9_NSD_9__find_if7functorIS9_EEEE10hipError_tPvRmT1_T2_T3_mT4_P12ihipStream_tbEUlT_E0_NS1_11comp_targetILNS1_3genE8ELNS1_11target_archE1030ELNS1_3gpuE2ELNS1_3repE0EEENS1_30default_config_static_selectorELNS0_4arch9wavefront6targetE0EEEvS14_,@function
_ZN7rocprim17ROCPRIM_400000_NS6detail17trampoline_kernelINS0_14default_configENS1_22reduce_config_selectorIN6thrust23THRUST_200600_302600_NS5tupleIblNS6_9null_typeES8_S8_S8_S8_S8_S8_S8_EEEEZNS1_11reduce_implILb1ES3_NS6_12zip_iteratorINS7_INS6_11hip_rocprim26transform_input_iterator_tIbNSD_35transform_pair_of_input_iterators_tIbNS6_6detail15normal_iteratorINS6_10device_ptrIKxEEEESL_NS6_8equal_toIxEEEENSG_9not_fun_tINSD_8identityEEEEENSD_19counting_iterator_tIlEES8_S8_S8_S8_S8_S8_S8_S8_EEEEPS9_S9_NSD_9__find_if7functorIS9_EEEE10hipError_tPvRmT1_T2_T3_mT4_P12ihipStream_tbEUlT_E0_NS1_11comp_targetILNS1_3genE8ELNS1_11target_archE1030ELNS1_3gpuE2ELNS1_3repE0EEENS1_30default_config_static_selectorELNS0_4arch9wavefront6targetE0EEEvS14_: ; @_ZN7rocprim17ROCPRIM_400000_NS6detail17trampoline_kernelINS0_14default_configENS1_22reduce_config_selectorIN6thrust23THRUST_200600_302600_NS5tupleIblNS6_9null_typeES8_S8_S8_S8_S8_S8_S8_EEEEZNS1_11reduce_implILb1ES3_NS6_12zip_iteratorINS7_INS6_11hip_rocprim26transform_input_iterator_tIbNSD_35transform_pair_of_input_iterators_tIbNS6_6detail15normal_iteratorINS6_10device_ptrIKxEEEESL_NS6_8equal_toIxEEEENSG_9not_fun_tINSD_8identityEEEEENSD_19counting_iterator_tIlEES8_S8_S8_S8_S8_S8_S8_S8_EEEEPS9_S9_NSD_9__find_if7functorIS9_EEEE10hipError_tPvRmT1_T2_T3_mT4_P12ihipStream_tbEUlT_E0_NS1_11comp_targetILNS1_3genE8ELNS1_11target_archE1030ELNS1_3gpuE2ELNS1_3repE0EEENS1_30default_config_static_selectorELNS0_4arch9wavefront6targetE0EEEvS14_
; %bb.0:
	.section	.rodata,"a",@progbits
	.p2align	6, 0x0
	.amdhsa_kernel _ZN7rocprim17ROCPRIM_400000_NS6detail17trampoline_kernelINS0_14default_configENS1_22reduce_config_selectorIN6thrust23THRUST_200600_302600_NS5tupleIblNS6_9null_typeES8_S8_S8_S8_S8_S8_S8_EEEEZNS1_11reduce_implILb1ES3_NS6_12zip_iteratorINS7_INS6_11hip_rocprim26transform_input_iterator_tIbNSD_35transform_pair_of_input_iterators_tIbNS6_6detail15normal_iteratorINS6_10device_ptrIKxEEEESL_NS6_8equal_toIxEEEENSG_9not_fun_tINSD_8identityEEEEENSD_19counting_iterator_tIlEES8_S8_S8_S8_S8_S8_S8_S8_EEEEPS9_S9_NSD_9__find_if7functorIS9_EEEE10hipError_tPvRmT1_T2_T3_mT4_P12ihipStream_tbEUlT_E0_NS1_11comp_targetILNS1_3genE8ELNS1_11target_archE1030ELNS1_3gpuE2ELNS1_3repE0EEENS1_30default_config_static_selectorELNS0_4arch9wavefront6targetE0EEEvS14_
		.amdhsa_group_segment_fixed_size 0
		.amdhsa_private_segment_fixed_size 0
		.amdhsa_kernarg_size 104
		.amdhsa_user_sgpr_count 15
		.amdhsa_user_sgpr_dispatch_ptr 0
		.amdhsa_user_sgpr_queue_ptr 0
		.amdhsa_user_sgpr_kernarg_segment_ptr 1
		.amdhsa_user_sgpr_dispatch_id 0
		.amdhsa_user_sgpr_private_segment_size 0
		.amdhsa_wavefront_size32 1
		.amdhsa_uses_dynamic_stack 0
		.amdhsa_enable_private_segment 0
		.amdhsa_system_sgpr_workgroup_id_x 1
		.amdhsa_system_sgpr_workgroup_id_y 0
		.amdhsa_system_sgpr_workgroup_id_z 0
		.amdhsa_system_sgpr_workgroup_info 0
		.amdhsa_system_vgpr_workitem_id 0
		.amdhsa_next_free_vgpr 1
		.amdhsa_next_free_sgpr 1
		.amdhsa_reserve_vcc 0
		.amdhsa_float_round_mode_32 0
		.amdhsa_float_round_mode_16_64 0
		.amdhsa_float_denorm_mode_32 3
		.amdhsa_float_denorm_mode_16_64 3
		.amdhsa_dx10_clamp 1
		.amdhsa_ieee_mode 1
		.amdhsa_fp16_overflow 0
		.amdhsa_workgroup_processor_mode 1
		.amdhsa_memory_ordered 1
		.amdhsa_forward_progress 0
		.amdhsa_shared_vgpr_count 0
		.amdhsa_exception_fp_ieee_invalid_op 0
		.amdhsa_exception_fp_denorm_src 0
		.amdhsa_exception_fp_ieee_div_zero 0
		.amdhsa_exception_fp_ieee_overflow 0
		.amdhsa_exception_fp_ieee_underflow 0
		.amdhsa_exception_fp_ieee_inexact 0
		.amdhsa_exception_int_div_zero 0
	.end_amdhsa_kernel
	.section	.text._ZN7rocprim17ROCPRIM_400000_NS6detail17trampoline_kernelINS0_14default_configENS1_22reduce_config_selectorIN6thrust23THRUST_200600_302600_NS5tupleIblNS6_9null_typeES8_S8_S8_S8_S8_S8_S8_EEEEZNS1_11reduce_implILb1ES3_NS6_12zip_iteratorINS7_INS6_11hip_rocprim26transform_input_iterator_tIbNSD_35transform_pair_of_input_iterators_tIbNS6_6detail15normal_iteratorINS6_10device_ptrIKxEEEESL_NS6_8equal_toIxEEEENSG_9not_fun_tINSD_8identityEEEEENSD_19counting_iterator_tIlEES8_S8_S8_S8_S8_S8_S8_S8_EEEEPS9_S9_NSD_9__find_if7functorIS9_EEEE10hipError_tPvRmT1_T2_T3_mT4_P12ihipStream_tbEUlT_E0_NS1_11comp_targetILNS1_3genE8ELNS1_11target_archE1030ELNS1_3gpuE2ELNS1_3repE0EEENS1_30default_config_static_selectorELNS0_4arch9wavefront6targetE0EEEvS14_,"axG",@progbits,_ZN7rocprim17ROCPRIM_400000_NS6detail17trampoline_kernelINS0_14default_configENS1_22reduce_config_selectorIN6thrust23THRUST_200600_302600_NS5tupleIblNS6_9null_typeES8_S8_S8_S8_S8_S8_S8_EEEEZNS1_11reduce_implILb1ES3_NS6_12zip_iteratorINS7_INS6_11hip_rocprim26transform_input_iterator_tIbNSD_35transform_pair_of_input_iterators_tIbNS6_6detail15normal_iteratorINS6_10device_ptrIKxEEEESL_NS6_8equal_toIxEEEENSG_9not_fun_tINSD_8identityEEEEENSD_19counting_iterator_tIlEES8_S8_S8_S8_S8_S8_S8_S8_EEEEPS9_S9_NSD_9__find_if7functorIS9_EEEE10hipError_tPvRmT1_T2_T3_mT4_P12ihipStream_tbEUlT_E0_NS1_11comp_targetILNS1_3genE8ELNS1_11target_archE1030ELNS1_3gpuE2ELNS1_3repE0EEENS1_30default_config_static_selectorELNS0_4arch9wavefront6targetE0EEEvS14_,comdat
.Lfunc_end527:
	.size	_ZN7rocprim17ROCPRIM_400000_NS6detail17trampoline_kernelINS0_14default_configENS1_22reduce_config_selectorIN6thrust23THRUST_200600_302600_NS5tupleIblNS6_9null_typeES8_S8_S8_S8_S8_S8_S8_EEEEZNS1_11reduce_implILb1ES3_NS6_12zip_iteratorINS7_INS6_11hip_rocprim26transform_input_iterator_tIbNSD_35transform_pair_of_input_iterators_tIbNS6_6detail15normal_iteratorINS6_10device_ptrIKxEEEESL_NS6_8equal_toIxEEEENSG_9not_fun_tINSD_8identityEEEEENSD_19counting_iterator_tIlEES8_S8_S8_S8_S8_S8_S8_S8_EEEEPS9_S9_NSD_9__find_if7functorIS9_EEEE10hipError_tPvRmT1_T2_T3_mT4_P12ihipStream_tbEUlT_E0_NS1_11comp_targetILNS1_3genE8ELNS1_11target_archE1030ELNS1_3gpuE2ELNS1_3repE0EEENS1_30default_config_static_selectorELNS0_4arch9wavefront6targetE0EEEvS14_, .Lfunc_end527-_ZN7rocprim17ROCPRIM_400000_NS6detail17trampoline_kernelINS0_14default_configENS1_22reduce_config_selectorIN6thrust23THRUST_200600_302600_NS5tupleIblNS6_9null_typeES8_S8_S8_S8_S8_S8_S8_EEEEZNS1_11reduce_implILb1ES3_NS6_12zip_iteratorINS7_INS6_11hip_rocprim26transform_input_iterator_tIbNSD_35transform_pair_of_input_iterators_tIbNS6_6detail15normal_iteratorINS6_10device_ptrIKxEEEESL_NS6_8equal_toIxEEEENSG_9not_fun_tINSD_8identityEEEEENSD_19counting_iterator_tIlEES8_S8_S8_S8_S8_S8_S8_S8_EEEEPS9_S9_NSD_9__find_if7functorIS9_EEEE10hipError_tPvRmT1_T2_T3_mT4_P12ihipStream_tbEUlT_E0_NS1_11comp_targetILNS1_3genE8ELNS1_11target_archE1030ELNS1_3gpuE2ELNS1_3repE0EEENS1_30default_config_static_selectorELNS0_4arch9wavefront6targetE0EEEvS14_
                                        ; -- End function
	.section	.AMDGPU.csdata,"",@progbits
; Kernel info:
; codeLenInByte = 0
; NumSgprs: 0
; NumVgprs: 0
; ScratchSize: 0
; MemoryBound: 0
; FloatMode: 240
; IeeeMode: 1
; LDSByteSize: 0 bytes/workgroup (compile time only)
; SGPRBlocks: 0
; VGPRBlocks: 0
; NumSGPRsForWavesPerEU: 1
; NumVGPRsForWavesPerEU: 1
; Occupancy: 16
; WaveLimiterHint : 0
; COMPUTE_PGM_RSRC2:SCRATCH_EN: 0
; COMPUTE_PGM_RSRC2:USER_SGPR: 15
; COMPUTE_PGM_RSRC2:TRAP_HANDLER: 0
; COMPUTE_PGM_RSRC2:TGID_X_EN: 1
; COMPUTE_PGM_RSRC2:TGID_Y_EN: 0
; COMPUTE_PGM_RSRC2:TGID_Z_EN: 0
; COMPUTE_PGM_RSRC2:TIDIG_COMP_CNT: 0
	.section	.text._ZN7rocprim17ROCPRIM_400000_NS6detail17trampoline_kernelINS0_14default_configENS1_22reduce_config_selectorIN6thrust23THRUST_200600_302600_NS5tupleIblNS6_9null_typeES8_S8_S8_S8_S8_S8_S8_EEEEZNS1_11reduce_implILb1ES3_NS6_12zip_iteratorINS7_INS6_11hip_rocprim26transform_input_iterator_tIbNSD_35transform_pair_of_input_iterators_tIbNS6_6detail15normal_iteratorINS6_10device_ptrIKxEEEESL_NS6_8equal_toIxEEEENSG_9not_fun_tINSD_8identityEEEEENSD_19counting_iterator_tIlEES8_S8_S8_S8_S8_S8_S8_S8_EEEEPS9_S9_NSD_9__find_if7functorIS9_EEEE10hipError_tPvRmT1_T2_T3_mT4_P12ihipStream_tbEUlT_E1_NS1_11comp_targetILNS1_3genE0ELNS1_11target_archE4294967295ELNS1_3gpuE0ELNS1_3repE0EEENS1_30default_config_static_selectorELNS0_4arch9wavefront6targetE0EEEvS14_,"axG",@progbits,_ZN7rocprim17ROCPRIM_400000_NS6detail17trampoline_kernelINS0_14default_configENS1_22reduce_config_selectorIN6thrust23THRUST_200600_302600_NS5tupleIblNS6_9null_typeES8_S8_S8_S8_S8_S8_S8_EEEEZNS1_11reduce_implILb1ES3_NS6_12zip_iteratorINS7_INS6_11hip_rocprim26transform_input_iterator_tIbNSD_35transform_pair_of_input_iterators_tIbNS6_6detail15normal_iteratorINS6_10device_ptrIKxEEEESL_NS6_8equal_toIxEEEENSG_9not_fun_tINSD_8identityEEEEENSD_19counting_iterator_tIlEES8_S8_S8_S8_S8_S8_S8_S8_EEEEPS9_S9_NSD_9__find_if7functorIS9_EEEE10hipError_tPvRmT1_T2_T3_mT4_P12ihipStream_tbEUlT_E1_NS1_11comp_targetILNS1_3genE0ELNS1_11target_archE4294967295ELNS1_3gpuE0ELNS1_3repE0EEENS1_30default_config_static_selectorELNS0_4arch9wavefront6targetE0EEEvS14_,comdat
	.protected	_ZN7rocprim17ROCPRIM_400000_NS6detail17trampoline_kernelINS0_14default_configENS1_22reduce_config_selectorIN6thrust23THRUST_200600_302600_NS5tupleIblNS6_9null_typeES8_S8_S8_S8_S8_S8_S8_EEEEZNS1_11reduce_implILb1ES3_NS6_12zip_iteratorINS7_INS6_11hip_rocprim26transform_input_iterator_tIbNSD_35transform_pair_of_input_iterators_tIbNS6_6detail15normal_iteratorINS6_10device_ptrIKxEEEESL_NS6_8equal_toIxEEEENSG_9not_fun_tINSD_8identityEEEEENSD_19counting_iterator_tIlEES8_S8_S8_S8_S8_S8_S8_S8_EEEEPS9_S9_NSD_9__find_if7functorIS9_EEEE10hipError_tPvRmT1_T2_T3_mT4_P12ihipStream_tbEUlT_E1_NS1_11comp_targetILNS1_3genE0ELNS1_11target_archE4294967295ELNS1_3gpuE0ELNS1_3repE0EEENS1_30default_config_static_selectorELNS0_4arch9wavefront6targetE0EEEvS14_ ; -- Begin function _ZN7rocprim17ROCPRIM_400000_NS6detail17trampoline_kernelINS0_14default_configENS1_22reduce_config_selectorIN6thrust23THRUST_200600_302600_NS5tupleIblNS6_9null_typeES8_S8_S8_S8_S8_S8_S8_EEEEZNS1_11reduce_implILb1ES3_NS6_12zip_iteratorINS7_INS6_11hip_rocprim26transform_input_iterator_tIbNSD_35transform_pair_of_input_iterators_tIbNS6_6detail15normal_iteratorINS6_10device_ptrIKxEEEESL_NS6_8equal_toIxEEEENSG_9not_fun_tINSD_8identityEEEEENSD_19counting_iterator_tIlEES8_S8_S8_S8_S8_S8_S8_S8_EEEEPS9_S9_NSD_9__find_if7functorIS9_EEEE10hipError_tPvRmT1_T2_T3_mT4_P12ihipStream_tbEUlT_E1_NS1_11comp_targetILNS1_3genE0ELNS1_11target_archE4294967295ELNS1_3gpuE0ELNS1_3repE0EEENS1_30default_config_static_selectorELNS0_4arch9wavefront6targetE0EEEvS14_
	.globl	_ZN7rocprim17ROCPRIM_400000_NS6detail17trampoline_kernelINS0_14default_configENS1_22reduce_config_selectorIN6thrust23THRUST_200600_302600_NS5tupleIblNS6_9null_typeES8_S8_S8_S8_S8_S8_S8_EEEEZNS1_11reduce_implILb1ES3_NS6_12zip_iteratorINS7_INS6_11hip_rocprim26transform_input_iterator_tIbNSD_35transform_pair_of_input_iterators_tIbNS6_6detail15normal_iteratorINS6_10device_ptrIKxEEEESL_NS6_8equal_toIxEEEENSG_9not_fun_tINSD_8identityEEEEENSD_19counting_iterator_tIlEES8_S8_S8_S8_S8_S8_S8_S8_EEEEPS9_S9_NSD_9__find_if7functorIS9_EEEE10hipError_tPvRmT1_T2_T3_mT4_P12ihipStream_tbEUlT_E1_NS1_11comp_targetILNS1_3genE0ELNS1_11target_archE4294967295ELNS1_3gpuE0ELNS1_3repE0EEENS1_30default_config_static_selectorELNS0_4arch9wavefront6targetE0EEEvS14_
	.p2align	8
	.type	_ZN7rocprim17ROCPRIM_400000_NS6detail17trampoline_kernelINS0_14default_configENS1_22reduce_config_selectorIN6thrust23THRUST_200600_302600_NS5tupleIblNS6_9null_typeES8_S8_S8_S8_S8_S8_S8_EEEEZNS1_11reduce_implILb1ES3_NS6_12zip_iteratorINS7_INS6_11hip_rocprim26transform_input_iterator_tIbNSD_35transform_pair_of_input_iterators_tIbNS6_6detail15normal_iteratorINS6_10device_ptrIKxEEEESL_NS6_8equal_toIxEEEENSG_9not_fun_tINSD_8identityEEEEENSD_19counting_iterator_tIlEES8_S8_S8_S8_S8_S8_S8_S8_EEEEPS9_S9_NSD_9__find_if7functorIS9_EEEE10hipError_tPvRmT1_T2_T3_mT4_P12ihipStream_tbEUlT_E1_NS1_11comp_targetILNS1_3genE0ELNS1_11target_archE4294967295ELNS1_3gpuE0ELNS1_3repE0EEENS1_30default_config_static_selectorELNS0_4arch9wavefront6targetE0EEEvS14_,@function
_ZN7rocprim17ROCPRIM_400000_NS6detail17trampoline_kernelINS0_14default_configENS1_22reduce_config_selectorIN6thrust23THRUST_200600_302600_NS5tupleIblNS6_9null_typeES8_S8_S8_S8_S8_S8_S8_EEEEZNS1_11reduce_implILb1ES3_NS6_12zip_iteratorINS7_INS6_11hip_rocprim26transform_input_iterator_tIbNSD_35transform_pair_of_input_iterators_tIbNS6_6detail15normal_iteratorINS6_10device_ptrIKxEEEESL_NS6_8equal_toIxEEEENSG_9not_fun_tINSD_8identityEEEEENSD_19counting_iterator_tIlEES8_S8_S8_S8_S8_S8_S8_S8_EEEEPS9_S9_NSD_9__find_if7functorIS9_EEEE10hipError_tPvRmT1_T2_T3_mT4_P12ihipStream_tbEUlT_E1_NS1_11comp_targetILNS1_3genE0ELNS1_11target_archE4294967295ELNS1_3gpuE0ELNS1_3repE0EEENS1_30default_config_static_selectorELNS0_4arch9wavefront6targetE0EEEvS14_: ; @_ZN7rocprim17ROCPRIM_400000_NS6detail17trampoline_kernelINS0_14default_configENS1_22reduce_config_selectorIN6thrust23THRUST_200600_302600_NS5tupleIblNS6_9null_typeES8_S8_S8_S8_S8_S8_S8_EEEEZNS1_11reduce_implILb1ES3_NS6_12zip_iteratorINS7_INS6_11hip_rocprim26transform_input_iterator_tIbNSD_35transform_pair_of_input_iterators_tIbNS6_6detail15normal_iteratorINS6_10device_ptrIKxEEEESL_NS6_8equal_toIxEEEENSG_9not_fun_tINSD_8identityEEEEENSD_19counting_iterator_tIlEES8_S8_S8_S8_S8_S8_S8_S8_EEEEPS9_S9_NSD_9__find_if7functorIS9_EEEE10hipError_tPvRmT1_T2_T3_mT4_P12ihipStream_tbEUlT_E1_NS1_11comp_targetILNS1_3genE0ELNS1_11target_archE4294967295ELNS1_3gpuE0ELNS1_3repE0EEENS1_30default_config_static_selectorELNS0_4arch9wavefront6targetE0EEEvS14_
; %bb.0:
	.section	.rodata,"a",@progbits
	.p2align	6, 0x0
	.amdhsa_kernel _ZN7rocprim17ROCPRIM_400000_NS6detail17trampoline_kernelINS0_14default_configENS1_22reduce_config_selectorIN6thrust23THRUST_200600_302600_NS5tupleIblNS6_9null_typeES8_S8_S8_S8_S8_S8_S8_EEEEZNS1_11reduce_implILb1ES3_NS6_12zip_iteratorINS7_INS6_11hip_rocprim26transform_input_iterator_tIbNSD_35transform_pair_of_input_iterators_tIbNS6_6detail15normal_iteratorINS6_10device_ptrIKxEEEESL_NS6_8equal_toIxEEEENSG_9not_fun_tINSD_8identityEEEEENSD_19counting_iterator_tIlEES8_S8_S8_S8_S8_S8_S8_S8_EEEEPS9_S9_NSD_9__find_if7functorIS9_EEEE10hipError_tPvRmT1_T2_T3_mT4_P12ihipStream_tbEUlT_E1_NS1_11comp_targetILNS1_3genE0ELNS1_11target_archE4294967295ELNS1_3gpuE0ELNS1_3repE0EEENS1_30default_config_static_selectorELNS0_4arch9wavefront6targetE0EEEvS14_
		.amdhsa_group_segment_fixed_size 0
		.amdhsa_private_segment_fixed_size 0
		.amdhsa_kernarg_size 88
		.amdhsa_user_sgpr_count 15
		.amdhsa_user_sgpr_dispatch_ptr 0
		.amdhsa_user_sgpr_queue_ptr 0
		.amdhsa_user_sgpr_kernarg_segment_ptr 1
		.amdhsa_user_sgpr_dispatch_id 0
		.amdhsa_user_sgpr_private_segment_size 0
		.amdhsa_wavefront_size32 1
		.amdhsa_uses_dynamic_stack 0
		.amdhsa_enable_private_segment 0
		.amdhsa_system_sgpr_workgroup_id_x 1
		.amdhsa_system_sgpr_workgroup_id_y 0
		.amdhsa_system_sgpr_workgroup_id_z 0
		.amdhsa_system_sgpr_workgroup_info 0
		.amdhsa_system_vgpr_workitem_id 0
		.amdhsa_next_free_vgpr 1
		.amdhsa_next_free_sgpr 1
		.amdhsa_reserve_vcc 0
		.amdhsa_float_round_mode_32 0
		.amdhsa_float_round_mode_16_64 0
		.amdhsa_float_denorm_mode_32 3
		.amdhsa_float_denorm_mode_16_64 3
		.amdhsa_dx10_clamp 1
		.amdhsa_ieee_mode 1
		.amdhsa_fp16_overflow 0
		.amdhsa_workgroup_processor_mode 1
		.amdhsa_memory_ordered 1
		.amdhsa_forward_progress 0
		.amdhsa_shared_vgpr_count 0
		.amdhsa_exception_fp_ieee_invalid_op 0
		.amdhsa_exception_fp_denorm_src 0
		.amdhsa_exception_fp_ieee_div_zero 0
		.amdhsa_exception_fp_ieee_overflow 0
		.amdhsa_exception_fp_ieee_underflow 0
		.amdhsa_exception_fp_ieee_inexact 0
		.amdhsa_exception_int_div_zero 0
	.end_amdhsa_kernel
	.section	.text._ZN7rocprim17ROCPRIM_400000_NS6detail17trampoline_kernelINS0_14default_configENS1_22reduce_config_selectorIN6thrust23THRUST_200600_302600_NS5tupleIblNS6_9null_typeES8_S8_S8_S8_S8_S8_S8_EEEEZNS1_11reduce_implILb1ES3_NS6_12zip_iteratorINS7_INS6_11hip_rocprim26transform_input_iterator_tIbNSD_35transform_pair_of_input_iterators_tIbNS6_6detail15normal_iteratorINS6_10device_ptrIKxEEEESL_NS6_8equal_toIxEEEENSG_9not_fun_tINSD_8identityEEEEENSD_19counting_iterator_tIlEES8_S8_S8_S8_S8_S8_S8_S8_EEEEPS9_S9_NSD_9__find_if7functorIS9_EEEE10hipError_tPvRmT1_T2_T3_mT4_P12ihipStream_tbEUlT_E1_NS1_11comp_targetILNS1_3genE0ELNS1_11target_archE4294967295ELNS1_3gpuE0ELNS1_3repE0EEENS1_30default_config_static_selectorELNS0_4arch9wavefront6targetE0EEEvS14_,"axG",@progbits,_ZN7rocprim17ROCPRIM_400000_NS6detail17trampoline_kernelINS0_14default_configENS1_22reduce_config_selectorIN6thrust23THRUST_200600_302600_NS5tupleIblNS6_9null_typeES8_S8_S8_S8_S8_S8_S8_EEEEZNS1_11reduce_implILb1ES3_NS6_12zip_iteratorINS7_INS6_11hip_rocprim26transform_input_iterator_tIbNSD_35transform_pair_of_input_iterators_tIbNS6_6detail15normal_iteratorINS6_10device_ptrIKxEEEESL_NS6_8equal_toIxEEEENSG_9not_fun_tINSD_8identityEEEEENSD_19counting_iterator_tIlEES8_S8_S8_S8_S8_S8_S8_S8_EEEEPS9_S9_NSD_9__find_if7functorIS9_EEEE10hipError_tPvRmT1_T2_T3_mT4_P12ihipStream_tbEUlT_E1_NS1_11comp_targetILNS1_3genE0ELNS1_11target_archE4294967295ELNS1_3gpuE0ELNS1_3repE0EEENS1_30default_config_static_selectorELNS0_4arch9wavefront6targetE0EEEvS14_,comdat
.Lfunc_end528:
	.size	_ZN7rocprim17ROCPRIM_400000_NS6detail17trampoline_kernelINS0_14default_configENS1_22reduce_config_selectorIN6thrust23THRUST_200600_302600_NS5tupleIblNS6_9null_typeES8_S8_S8_S8_S8_S8_S8_EEEEZNS1_11reduce_implILb1ES3_NS6_12zip_iteratorINS7_INS6_11hip_rocprim26transform_input_iterator_tIbNSD_35transform_pair_of_input_iterators_tIbNS6_6detail15normal_iteratorINS6_10device_ptrIKxEEEESL_NS6_8equal_toIxEEEENSG_9not_fun_tINSD_8identityEEEEENSD_19counting_iterator_tIlEES8_S8_S8_S8_S8_S8_S8_S8_EEEEPS9_S9_NSD_9__find_if7functorIS9_EEEE10hipError_tPvRmT1_T2_T3_mT4_P12ihipStream_tbEUlT_E1_NS1_11comp_targetILNS1_3genE0ELNS1_11target_archE4294967295ELNS1_3gpuE0ELNS1_3repE0EEENS1_30default_config_static_selectorELNS0_4arch9wavefront6targetE0EEEvS14_, .Lfunc_end528-_ZN7rocprim17ROCPRIM_400000_NS6detail17trampoline_kernelINS0_14default_configENS1_22reduce_config_selectorIN6thrust23THRUST_200600_302600_NS5tupleIblNS6_9null_typeES8_S8_S8_S8_S8_S8_S8_EEEEZNS1_11reduce_implILb1ES3_NS6_12zip_iteratorINS7_INS6_11hip_rocprim26transform_input_iterator_tIbNSD_35transform_pair_of_input_iterators_tIbNS6_6detail15normal_iteratorINS6_10device_ptrIKxEEEESL_NS6_8equal_toIxEEEENSG_9not_fun_tINSD_8identityEEEEENSD_19counting_iterator_tIlEES8_S8_S8_S8_S8_S8_S8_S8_EEEEPS9_S9_NSD_9__find_if7functorIS9_EEEE10hipError_tPvRmT1_T2_T3_mT4_P12ihipStream_tbEUlT_E1_NS1_11comp_targetILNS1_3genE0ELNS1_11target_archE4294967295ELNS1_3gpuE0ELNS1_3repE0EEENS1_30default_config_static_selectorELNS0_4arch9wavefront6targetE0EEEvS14_
                                        ; -- End function
	.section	.AMDGPU.csdata,"",@progbits
; Kernel info:
; codeLenInByte = 0
; NumSgprs: 0
; NumVgprs: 0
; ScratchSize: 0
; MemoryBound: 0
; FloatMode: 240
; IeeeMode: 1
; LDSByteSize: 0 bytes/workgroup (compile time only)
; SGPRBlocks: 0
; VGPRBlocks: 0
; NumSGPRsForWavesPerEU: 1
; NumVGPRsForWavesPerEU: 1
; Occupancy: 16
; WaveLimiterHint : 0
; COMPUTE_PGM_RSRC2:SCRATCH_EN: 0
; COMPUTE_PGM_RSRC2:USER_SGPR: 15
; COMPUTE_PGM_RSRC2:TRAP_HANDLER: 0
; COMPUTE_PGM_RSRC2:TGID_X_EN: 1
; COMPUTE_PGM_RSRC2:TGID_Y_EN: 0
; COMPUTE_PGM_RSRC2:TGID_Z_EN: 0
; COMPUTE_PGM_RSRC2:TIDIG_COMP_CNT: 0
	.section	.text._ZN7rocprim17ROCPRIM_400000_NS6detail17trampoline_kernelINS0_14default_configENS1_22reduce_config_selectorIN6thrust23THRUST_200600_302600_NS5tupleIblNS6_9null_typeES8_S8_S8_S8_S8_S8_S8_EEEEZNS1_11reduce_implILb1ES3_NS6_12zip_iteratorINS7_INS6_11hip_rocprim26transform_input_iterator_tIbNSD_35transform_pair_of_input_iterators_tIbNS6_6detail15normal_iteratorINS6_10device_ptrIKxEEEESL_NS6_8equal_toIxEEEENSG_9not_fun_tINSD_8identityEEEEENSD_19counting_iterator_tIlEES8_S8_S8_S8_S8_S8_S8_S8_EEEEPS9_S9_NSD_9__find_if7functorIS9_EEEE10hipError_tPvRmT1_T2_T3_mT4_P12ihipStream_tbEUlT_E1_NS1_11comp_targetILNS1_3genE5ELNS1_11target_archE942ELNS1_3gpuE9ELNS1_3repE0EEENS1_30default_config_static_selectorELNS0_4arch9wavefront6targetE0EEEvS14_,"axG",@progbits,_ZN7rocprim17ROCPRIM_400000_NS6detail17trampoline_kernelINS0_14default_configENS1_22reduce_config_selectorIN6thrust23THRUST_200600_302600_NS5tupleIblNS6_9null_typeES8_S8_S8_S8_S8_S8_S8_EEEEZNS1_11reduce_implILb1ES3_NS6_12zip_iteratorINS7_INS6_11hip_rocprim26transform_input_iterator_tIbNSD_35transform_pair_of_input_iterators_tIbNS6_6detail15normal_iteratorINS6_10device_ptrIKxEEEESL_NS6_8equal_toIxEEEENSG_9not_fun_tINSD_8identityEEEEENSD_19counting_iterator_tIlEES8_S8_S8_S8_S8_S8_S8_S8_EEEEPS9_S9_NSD_9__find_if7functorIS9_EEEE10hipError_tPvRmT1_T2_T3_mT4_P12ihipStream_tbEUlT_E1_NS1_11comp_targetILNS1_3genE5ELNS1_11target_archE942ELNS1_3gpuE9ELNS1_3repE0EEENS1_30default_config_static_selectorELNS0_4arch9wavefront6targetE0EEEvS14_,comdat
	.protected	_ZN7rocprim17ROCPRIM_400000_NS6detail17trampoline_kernelINS0_14default_configENS1_22reduce_config_selectorIN6thrust23THRUST_200600_302600_NS5tupleIblNS6_9null_typeES8_S8_S8_S8_S8_S8_S8_EEEEZNS1_11reduce_implILb1ES3_NS6_12zip_iteratorINS7_INS6_11hip_rocprim26transform_input_iterator_tIbNSD_35transform_pair_of_input_iterators_tIbNS6_6detail15normal_iteratorINS6_10device_ptrIKxEEEESL_NS6_8equal_toIxEEEENSG_9not_fun_tINSD_8identityEEEEENSD_19counting_iterator_tIlEES8_S8_S8_S8_S8_S8_S8_S8_EEEEPS9_S9_NSD_9__find_if7functorIS9_EEEE10hipError_tPvRmT1_T2_T3_mT4_P12ihipStream_tbEUlT_E1_NS1_11comp_targetILNS1_3genE5ELNS1_11target_archE942ELNS1_3gpuE9ELNS1_3repE0EEENS1_30default_config_static_selectorELNS0_4arch9wavefront6targetE0EEEvS14_ ; -- Begin function _ZN7rocprim17ROCPRIM_400000_NS6detail17trampoline_kernelINS0_14default_configENS1_22reduce_config_selectorIN6thrust23THRUST_200600_302600_NS5tupleIblNS6_9null_typeES8_S8_S8_S8_S8_S8_S8_EEEEZNS1_11reduce_implILb1ES3_NS6_12zip_iteratorINS7_INS6_11hip_rocprim26transform_input_iterator_tIbNSD_35transform_pair_of_input_iterators_tIbNS6_6detail15normal_iteratorINS6_10device_ptrIKxEEEESL_NS6_8equal_toIxEEEENSG_9not_fun_tINSD_8identityEEEEENSD_19counting_iterator_tIlEES8_S8_S8_S8_S8_S8_S8_S8_EEEEPS9_S9_NSD_9__find_if7functorIS9_EEEE10hipError_tPvRmT1_T2_T3_mT4_P12ihipStream_tbEUlT_E1_NS1_11comp_targetILNS1_3genE5ELNS1_11target_archE942ELNS1_3gpuE9ELNS1_3repE0EEENS1_30default_config_static_selectorELNS0_4arch9wavefront6targetE0EEEvS14_
	.globl	_ZN7rocprim17ROCPRIM_400000_NS6detail17trampoline_kernelINS0_14default_configENS1_22reduce_config_selectorIN6thrust23THRUST_200600_302600_NS5tupleIblNS6_9null_typeES8_S8_S8_S8_S8_S8_S8_EEEEZNS1_11reduce_implILb1ES3_NS6_12zip_iteratorINS7_INS6_11hip_rocprim26transform_input_iterator_tIbNSD_35transform_pair_of_input_iterators_tIbNS6_6detail15normal_iteratorINS6_10device_ptrIKxEEEESL_NS6_8equal_toIxEEEENSG_9not_fun_tINSD_8identityEEEEENSD_19counting_iterator_tIlEES8_S8_S8_S8_S8_S8_S8_S8_EEEEPS9_S9_NSD_9__find_if7functorIS9_EEEE10hipError_tPvRmT1_T2_T3_mT4_P12ihipStream_tbEUlT_E1_NS1_11comp_targetILNS1_3genE5ELNS1_11target_archE942ELNS1_3gpuE9ELNS1_3repE0EEENS1_30default_config_static_selectorELNS0_4arch9wavefront6targetE0EEEvS14_
	.p2align	8
	.type	_ZN7rocprim17ROCPRIM_400000_NS6detail17trampoline_kernelINS0_14default_configENS1_22reduce_config_selectorIN6thrust23THRUST_200600_302600_NS5tupleIblNS6_9null_typeES8_S8_S8_S8_S8_S8_S8_EEEEZNS1_11reduce_implILb1ES3_NS6_12zip_iteratorINS7_INS6_11hip_rocprim26transform_input_iterator_tIbNSD_35transform_pair_of_input_iterators_tIbNS6_6detail15normal_iteratorINS6_10device_ptrIKxEEEESL_NS6_8equal_toIxEEEENSG_9not_fun_tINSD_8identityEEEEENSD_19counting_iterator_tIlEES8_S8_S8_S8_S8_S8_S8_S8_EEEEPS9_S9_NSD_9__find_if7functorIS9_EEEE10hipError_tPvRmT1_T2_T3_mT4_P12ihipStream_tbEUlT_E1_NS1_11comp_targetILNS1_3genE5ELNS1_11target_archE942ELNS1_3gpuE9ELNS1_3repE0EEENS1_30default_config_static_selectorELNS0_4arch9wavefront6targetE0EEEvS14_,@function
_ZN7rocprim17ROCPRIM_400000_NS6detail17trampoline_kernelINS0_14default_configENS1_22reduce_config_selectorIN6thrust23THRUST_200600_302600_NS5tupleIblNS6_9null_typeES8_S8_S8_S8_S8_S8_S8_EEEEZNS1_11reduce_implILb1ES3_NS6_12zip_iteratorINS7_INS6_11hip_rocprim26transform_input_iterator_tIbNSD_35transform_pair_of_input_iterators_tIbNS6_6detail15normal_iteratorINS6_10device_ptrIKxEEEESL_NS6_8equal_toIxEEEENSG_9not_fun_tINSD_8identityEEEEENSD_19counting_iterator_tIlEES8_S8_S8_S8_S8_S8_S8_S8_EEEEPS9_S9_NSD_9__find_if7functorIS9_EEEE10hipError_tPvRmT1_T2_T3_mT4_P12ihipStream_tbEUlT_E1_NS1_11comp_targetILNS1_3genE5ELNS1_11target_archE942ELNS1_3gpuE9ELNS1_3repE0EEENS1_30default_config_static_selectorELNS0_4arch9wavefront6targetE0EEEvS14_: ; @_ZN7rocprim17ROCPRIM_400000_NS6detail17trampoline_kernelINS0_14default_configENS1_22reduce_config_selectorIN6thrust23THRUST_200600_302600_NS5tupleIblNS6_9null_typeES8_S8_S8_S8_S8_S8_S8_EEEEZNS1_11reduce_implILb1ES3_NS6_12zip_iteratorINS7_INS6_11hip_rocprim26transform_input_iterator_tIbNSD_35transform_pair_of_input_iterators_tIbNS6_6detail15normal_iteratorINS6_10device_ptrIKxEEEESL_NS6_8equal_toIxEEEENSG_9not_fun_tINSD_8identityEEEEENSD_19counting_iterator_tIlEES8_S8_S8_S8_S8_S8_S8_S8_EEEEPS9_S9_NSD_9__find_if7functorIS9_EEEE10hipError_tPvRmT1_T2_T3_mT4_P12ihipStream_tbEUlT_E1_NS1_11comp_targetILNS1_3genE5ELNS1_11target_archE942ELNS1_3gpuE9ELNS1_3repE0EEENS1_30default_config_static_selectorELNS0_4arch9wavefront6targetE0EEEvS14_
; %bb.0:
	.section	.rodata,"a",@progbits
	.p2align	6, 0x0
	.amdhsa_kernel _ZN7rocprim17ROCPRIM_400000_NS6detail17trampoline_kernelINS0_14default_configENS1_22reduce_config_selectorIN6thrust23THRUST_200600_302600_NS5tupleIblNS6_9null_typeES8_S8_S8_S8_S8_S8_S8_EEEEZNS1_11reduce_implILb1ES3_NS6_12zip_iteratorINS7_INS6_11hip_rocprim26transform_input_iterator_tIbNSD_35transform_pair_of_input_iterators_tIbNS6_6detail15normal_iteratorINS6_10device_ptrIKxEEEESL_NS6_8equal_toIxEEEENSG_9not_fun_tINSD_8identityEEEEENSD_19counting_iterator_tIlEES8_S8_S8_S8_S8_S8_S8_S8_EEEEPS9_S9_NSD_9__find_if7functorIS9_EEEE10hipError_tPvRmT1_T2_T3_mT4_P12ihipStream_tbEUlT_E1_NS1_11comp_targetILNS1_3genE5ELNS1_11target_archE942ELNS1_3gpuE9ELNS1_3repE0EEENS1_30default_config_static_selectorELNS0_4arch9wavefront6targetE0EEEvS14_
		.amdhsa_group_segment_fixed_size 0
		.amdhsa_private_segment_fixed_size 0
		.amdhsa_kernarg_size 88
		.amdhsa_user_sgpr_count 15
		.amdhsa_user_sgpr_dispatch_ptr 0
		.amdhsa_user_sgpr_queue_ptr 0
		.amdhsa_user_sgpr_kernarg_segment_ptr 1
		.amdhsa_user_sgpr_dispatch_id 0
		.amdhsa_user_sgpr_private_segment_size 0
		.amdhsa_wavefront_size32 1
		.amdhsa_uses_dynamic_stack 0
		.amdhsa_enable_private_segment 0
		.amdhsa_system_sgpr_workgroup_id_x 1
		.amdhsa_system_sgpr_workgroup_id_y 0
		.amdhsa_system_sgpr_workgroup_id_z 0
		.amdhsa_system_sgpr_workgroup_info 0
		.amdhsa_system_vgpr_workitem_id 0
		.amdhsa_next_free_vgpr 1
		.amdhsa_next_free_sgpr 1
		.amdhsa_reserve_vcc 0
		.amdhsa_float_round_mode_32 0
		.amdhsa_float_round_mode_16_64 0
		.amdhsa_float_denorm_mode_32 3
		.amdhsa_float_denorm_mode_16_64 3
		.amdhsa_dx10_clamp 1
		.amdhsa_ieee_mode 1
		.amdhsa_fp16_overflow 0
		.amdhsa_workgroup_processor_mode 1
		.amdhsa_memory_ordered 1
		.amdhsa_forward_progress 0
		.amdhsa_shared_vgpr_count 0
		.amdhsa_exception_fp_ieee_invalid_op 0
		.amdhsa_exception_fp_denorm_src 0
		.amdhsa_exception_fp_ieee_div_zero 0
		.amdhsa_exception_fp_ieee_overflow 0
		.amdhsa_exception_fp_ieee_underflow 0
		.amdhsa_exception_fp_ieee_inexact 0
		.amdhsa_exception_int_div_zero 0
	.end_amdhsa_kernel
	.section	.text._ZN7rocprim17ROCPRIM_400000_NS6detail17trampoline_kernelINS0_14default_configENS1_22reduce_config_selectorIN6thrust23THRUST_200600_302600_NS5tupleIblNS6_9null_typeES8_S8_S8_S8_S8_S8_S8_EEEEZNS1_11reduce_implILb1ES3_NS6_12zip_iteratorINS7_INS6_11hip_rocprim26transform_input_iterator_tIbNSD_35transform_pair_of_input_iterators_tIbNS6_6detail15normal_iteratorINS6_10device_ptrIKxEEEESL_NS6_8equal_toIxEEEENSG_9not_fun_tINSD_8identityEEEEENSD_19counting_iterator_tIlEES8_S8_S8_S8_S8_S8_S8_S8_EEEEPS9_S9_NSD_9__find_if7functorIS9_EEEE10hipError_tPvRmT1_T2_T3_mT4_P12ihipStream_tbEUlT_E1_NS1_11comp_targetILNS1_3genE5ELNS1_11target_archE942ELNS1_3gpuE9ELNS1_3repE0EEENS1_30default_config_static_selectorELNS0_4arch9wavefront6targetE0EEEvS14_,"axG",@progbits,_ZN7rocprim17ROCPRIM_400000_NS6detail17trampoline_kernelINS0_14default_configENS1_22reduce_config_selectorIN6thrust23THRUST_200600_302600_NS5tupleIblNS6_9null_typeES8_S8_S8_S8_S8_S8_S8_EEEEZNS1_11reduce_implILb1ES3_NS6_12zip_iteratorINS7_INS6_11hip_rocprim26transform_input_iterator_tIbNSD_35transform_pair_of_input_iterators_tIbNS6_6detail15normal_iteratorINS6_10device_ptrIKxEEEESL_NS6_8equal_toIxEEEENSG_9not_fun_tINSD_8identityEEEEENSD_19counting_iterator_tIlEES8_S8_S8_S8_S8_S8_S8_S8_EEEEPS9_S9_NSD_9__find_if7functorIS9_EEEE10hipError_tPvRmT1_T2_T3_mT4_P12ihipStream_tbEUlT_E1_NS1_11comp_targetILNS1_3genE5ELNS1_11target_archE942ELNS1_3gpuE9ELNS1_3repE0EEENS1_30default_config_static_selectorELNS0_4arch9wavefront6targetE0EEEvS14_,comdat
.Lfunc_end529:
	.size	_ZN7rocprim17ROCPRIM_400000_NS6detail17trampoline_kernelINS0_14default_configENS1_22reduce_config_selectorIN6thrust23THRUST_200600_302600_NS5tupleIblNS6_9null_typeES8_S8_S8_S8_S8_S8_S8_EEEEZNS1_11reduce_implILb1ES3_NS6_12zip_iteratorINS7_INS6_11hip_rocprim26transform_input_iterator_tIbNSD_35transform_pair_of_input_iterators_tIbNS6_6detail15normal_iteratorINS6_10device_ptrIKxEEEESL_NS6_8equal_toIxEEEENSG_9not_fun_tINSD_8identityEEEEENSD_19counting_iterator_tIlEES8_S8_S8_S8_S8_S8_S8_S8_EEEEPS9_S9_NSD_9__find_if7functorIS9_EEEE10hipError_tPvRmT1_T2_T3_mT4_P12ihipStream_tbEUlT_E1_NS1_11comp_targetILNS1_3genE5ELNS1_11target_archE942ELNS1_3gpuE9ELNS1_3repE0EEENS1_30default_config_static_selectorELNS0_4arch9wavefront6targetE0EEEvS14_, .Lfunc_end529-_ZN7rocprim17ROCPRIM_400000_NS6detail17trampoline_kernelINS0_14default_configENS1_22reduce_config_selectorIN6thrust23THRUST_200600_302600_NS5tupleIblNS6_9null_typeES8_S8_S8_S8_S8_S8_S8_EEEEZNS1_11reduce_implILb1ES3_NS6_12zip_iteratorINS7_INS6_11hip_rocprim26transform_input_iterator_tIbNSD_35transform_pair_of_input_iterators_tIbNS6_6detail15normal_iteratorINS6_10device_ptrIKxEEEESL_NS6_8equal_toIxEEEENSG_9not_fun_tINSD_8identityEEEEENSD_19counting_iterator_tIlEES8_S8_S8_S8_S8_S8_S8_S8_EEEEPS9_S9_NSD_9__find_if7functorIS9_EEEE10hipError_tPvRmT1_T2_T3_mT4_P12ihipStream_tbEUlT_E1_NS1_11comp_targetILNS1_3genE5ELNS1_11target_archE942ELNS1_3gpuE9ELNS1_3repE0EEENS1_30default_config_static_selectorELNS0_4arch9wavefront6targetE0EEEvS14_
                                        ; -- End function
	.section	.AMDGPU.csdata,"",@progbits
; Kernel info:
; codeLenInByte = 0
; NumSgprs: 0
; NumVgprs: 0
; ScratchSize: 0
; MemoryBound: 0
; FloatMode: 240
; IeeeMode: 1
; LDSByteSize: 0 bytes/workgroup (compile time only)
; SGPRBlocks: 0
; VGPRBlocks: 0
; NumSGPRsForWavesPerEU: 1
; NumVGPRsForWavesPerEU: 1
; Occupancy: 16
; WaveLimiterHint : 0
; COMPUTE_PGM_RSRC2:SCRATCH_EN: 0
; COMPUTE_PGM_RSRC2:USER_SGPR: 15
; COMPUTE_PGM_RSRC2:TRAP_HANDLER: 0
; COMPUTE_PGM_RSRC2:TGID_X_EN: 1
; COMPUTE_PGM_RSRC2:TGID_Y_EN: 0
; COMPUTE_PGM_RSRC2:TGID_Z_EN: 0
; COMPUTE_PGM_RSRC2:TIDIG_COMP_CNT: 0
	.section	.text._ZN7rocprim17ROCPRIM_400000_NS6detail17trampoline_kernelINS0_14default_configENS1_22reduce_config_selectorIN6thrust23THRUST_200600_302600_NS5tupleIblNS6_9null_typeES8_S8_S8_S8_S8_S8_S8_EEEEZNS1_11reduce_implILb1ES3_NS6_12zip_iteratorINS7_INS6_11hip_rocprim26transform_input_iterator_tIbNSD_35transform_pair_of_input_iterators_tIbNS6_6detail15normal_iteratorINS6_10device_ptrIKxEEEESL_NS6_8equal_toIxEEEENSG_9not_fun_tINSD_8identityEEEEENSD_19counting_iterator_tIlEES8_S8_S8_S8_S8_S8_S8_S8_EEEEPS9_S9_NSD_9__find_if7functorIS9_EEEE10hipError_tPvRmT1_T2_T3_mT4_P12ihipStream_tbEUlT_E1_NS1_11comp_targetILNS1_3genE4ELNS1_11target_archE910ELNS1_3gpuE8ELNS1_3repE0EEENS1_30default_config_static_selectorELNS0_4arch9wavefront6targetE0EEEvS14_,"axG",@progbits,_ZN7rocprim17ROCPRIM_400000_NS6detail17trampoline_kernelINS0_14default_configENS1_22reduce_config_selectorIN6thrust23THRUST_200600_302600_NS5tupleIblNS6_9null_typeES8_S8_S8_S8_S8_S8_S8_EEEEZNS1_11reduce_implILb1ES3_NS6_12zip_iteratorINS7_INS6_11hip_rocprim26transform_input_iterator_tIbNSD_35transform_pair_of_input_iterators_tIbNS6_6detail15normal_iteratorINS6_10device_ptrIKxEEEESL_NS6_8equal_toIxEEEENSG_9not_fun_tINSD_8identityEEEEENSD_19counting_iterator_tIlEES8_S8_S8_S8_S8_S8_S8_S8_EEEEPS9_S9_NSD_9__find_if7functorIS9_EEEE10hipError_tPvRmT1_T2_T3_mT4_P12ihipStream_tbEUlT_E1_NS1_11comp_targetILNS1_3genE4ELNS1_11target_archE910ELNS1_3gpuE8ELNS1_3repE0EEENS1_30default_config_static_selectorELNS0_4arch9wavefront6targetE0EEEvS14_,comdat
	.protected	_ZN7rocprim17ROCPRIM_400000_NS6detail17trampoline_kernelINS0_14default_configENS1_22reduce_config_selectorIN6thrust23THRUST_200600_302600_NS5tupleIblNS6_9null_typeES8_S8_S8_S8_S8_S8_S8_EEEEZNS1_11reduce_implILb1ES3_NS6_12zip_iteratorINS7_INS6_11hip_rocprim26transform_input_iterator_tIbNSD_35transform_pair_of_input_iterators_tIbNS6_6detail15normal_iteratorINS6_10device_ptrIKxEEEESL_NS6_8equal_toIxEEEENSG_9not_fun_tINSD_8identityEEEEENSD_19counting_iterator_tIlEES8_S8_S8_S8_S8_S8_S8_S8_EEEEPS9_S9_NSD_9__find_if7functorIS9_EEEE10hipError_tPvRmT1_T2_T3_mT4_P12ihipStream_tbEUlT_E1_NS1_11comp_targetILNS1_3genE4ELNS1_11target_archE910ELNS1_3gpuE8ELNS1_3repE0EEENS1_30default_config_static_selectorELNS0_4arch9wavefront6targetE0EEEvS14_ ; -- Begin function _ZN7rocprim17ROCPRIM_400000_NS6detail17trampoline_kernelINS0_14default_configENS1_22reduce_config_selectorIN6thrust23THRUST_200600_302600_NS5tupleIblNS6_9null_typeES8_S8_S8_S8_S8_S8_S8_EEEEZNS1_11reduce_implILb1ES3_NS6_12zip_iteratorINS7_INS6_11hip_rocprim26transform_input_iterator_tIbNSD_35transform_pair_of_input_iterators_tIbNS6_6detail15normal_iteratorINS6_10device_ptrIKxEEEESL_NS6_8equal_toIxEEEENSG_9not_fun_tINSD_8identityEEEEENSD_19counting_iterator_tIlEES8_S8_S8_S8_S8_S8_S8_S8_EEEEPS9_S9_NSD_9__find_if7functorIS9_EEEE10hipError_tPvRmT1_T2_T3_mT4_P12ihipStream_tbEUlT_E1_NS1_11comp_targetILNS1_3genE4ELNS1_11target_archE910ELNS1_3gpuE8ELNS1_3repE0EEENS1_30default_config_static_selectorELNS0_4arch9wavefront6targetE0EEEvS14_
	.globl	_ZN7rocprim17ROCPRIM_400000_NS6detail17trampoline_kernelINS0_14default_configENS1_22reduce_config_selectorIN6thrust23THRUST_200600_302600_NS5tupleIblNS6_9null_typeES8_S8_S8_S8_S8_S8_S8_EEEEZNS1_11reduce_implILb1ES3_NS6_12zip_iteratorINS7_INS6_11hip_rocprim26transform_input_iterator_tIbNSD_35transform_pair_of_input_iterators_tIbNS6_6detail15normal_iteratorINS6_10device_ptrIKxEEEESL_NS6_8equal_toIxEEEENSG_9not_fun_tINSD_8identityEEEEENSD_19counting_iterator_tIlEES8_S8_S8_S8_S8_S8_S8_S8_EEEEPS9_S9_NSD_9__find_if7functorIS9_EEEE10hipError_tPvRmT1_T2_T3_mT4_P12ihipStream_tbEUlT_E1_NS1_11comp_targetILNS1_3genE4ELNS1_11target_archE910ELNS1_3gpuE8ELNS1_3repE0EEENS1_30default_config_static_selectorELNS0_4arch9wavefront6targetE0EEEvS14_
	.p2align	8
	.type	_ZN7rocprim17ROCPRIM_400000_NS6detail17trampoline_kernelINS0_14default_configENS1_22reduce_config_selectorIN6thrust23THRUST_200600_302600_NS5tupleIblNS6_9null_typeES8_S8_S8_S8_S8_S8_S8_EEEEZNS1_11reduce_implILb1ES3_NS6_12zip_iteratorINS7_INS6_11hip_rocprim26transform_input_iterator_tIbNSD_35transform_pair_of_input_iterators_tIbNS6_6detail15normal_iteratorINS6_10device_ptrIKxEEEESL_NS6_8equal_toIxEEEENSG_9not_fun_tINSD_8identityEEEEENSD_19counting_iterator_tIlEES8_S8_S8_S8_S8_S8_S8_S8_EEEEPS9_S9_NSD_9__find_if7functorIS9_EEEE10hipError_tPvRmT1_T2_T3_mT4_P12ihipStream_tbEUlT_E1_NS1_11comp_targetILNS1_3genE4ELNS1_11target_archE910ELNS1_3gpuE8ELNS1_3repE0EEENS1_30default_config_static_selectorELNS0_4arch9wavefront6targetE0EEEvS14_,@function
_ZN7rocprim17ROCPRIM_400000_NS6detail17trampoline_kernelINS0_14default_configENS1_22reduce_config_selectorIN6thrust23THRUST_200600_302600_NS5tupleIblNS6_9null_typeES8_S8_S8_S8_S8_S8_S8_EEEEZNS1_11reduce_implILb1ES3_NS6_12zip_iteratorINS7_INS6_11hip_rocprim26transform_input_iterator_tIbNSD_35transform_pair_of_input_iterators_tIbNS6_6detail15normal_iteratorINS6_10device_ptrIKxEEEESL_NS6_8equal_toIxEEEENSG_9not_fun_tINSD_8identityEEEEENSD_19counting_iterator_tIlEES8_S8_S8_S8_S8_S8_S8_S8_EEEEPS9_S9_NSD_9__find_if7functorIS9_EEEE10hipError_tPvRmT1_T2_T3_mT4_P12ihipStream_tbEUlT_E1_NS1_11comp_targetILNS1_3genE4ELNS1_11target_archE910ELNS1_3gpuE8ELNS1_3repE0EEENS1_30default_config_static_selectorELNS0_4arch9wavefront6targetE0EEEvS14_: ; @_ZN7rocprim17ROCPRIM_400000_NS6detail17trampoline_kernelINS0_14default_configENS1_22reduce_config_selectorIN6thrust23THRUST_200600_302600_NS5tupleIblNS6_9null_typeES8_S8_S8_S8_S8_S8_S8_EEEEZNS1_11reduce_implILb1ES3_NS6_12zip_iteratorINS7_INS6_11hip_rocprim26transform_input_iterator_tIbNSD_35transform_pair_of_input_iterators_tIbNS6_6detail15normal_iteratorINS6_10device_ptrIKxEEEESL_NS6_8equal_toIxEEEENSG_9not_fun_tINSD_8identityEEEEENSD_19counting_iterator_tIlEES8_S8_S8_S8_S8_S8_S8_S8_EEEEPS9_S9_NSD_9__find_if7functorIS9_EEEE10hipError_tPvRmT1_T2_T3_mT4_P12ihipStream_tbEUlT_E1_NS1_11comp_targetILNS1_3genE4ELNS1_11target_archE910ELNS1_3gpuE8ELNS1_3repE0EEENS1_30default_config_static_selectorELNS0_4arch9wavefront6targetE0EEEvS14_
; %bb.0:
	.section	.rodata,"a",@progbits
	.p2align	6, 0x0
	.amdhsa_kernel _ZN7rocprim17ROCPRIM_400000_NS6detail17trampoline_kernelINS0_14default_configENS1_22reduce_config_selectorIN6thrust23THRUST_200600_302600_NS5tupleIblNS6_9null_typeES8_S8_S8_S8_S8_S8_S8_EEEEZNS1_11reduce_implILb1ES3_NS6_12zip_iteratorINS7_INS6_11hip_rocprim26transform_input_iterator_tIbNSD_35transform_pair_of_input_iterators_tIbNS6_6detail15normal_iteratorINS6_10device_ptrIKxEEEESL_NS6_8equal_toIxEEEENSG_9not_fun_tINSD_8identityEEEEENSD_19counting_iterator_tIlEES8_S8_S8_S8_S8_S8_S8_S8_EEEEPS9_S9_NSD_9__find_if7functorIS9_EEEE10hipError_tPvRmT1_T2_T3_mT4_P12ihipStream_tbEUlT_E1_NS1_11comp_targetILNS1_3genE4ELNS1_11target_archE910ELNS1_3gpuE8ELNS1_3repE0EEENS1_30default_config_static_selectorELNS0_4arch9wavefront6targetE0EEEvS14_
		.amdhsa_group_segment_fixed_size 0
		.amdhsa_private_segment_fixed_size 0
		.amdhsa_kernarg_size 88
		.amdhsa_user_sgpr_count 15
		.amdhsa_user_sgpr_dispatch_ptr 0
		.amdhsa_user_sgpr_queue_ptr 0
		.amdhsa_user_sgpr_kernarg_segment_ptr 1
		.amdhsa_user_sgpr_dispatch_id 0
		.amdhsa_user_sgpr_private_segment_size 0
		.amdhsa_wavefront_size32 1
		.amdhsa_uses_dynamic_stack 0
		.amdhsa_enable_private_segment 0
		.amdhsa_system_sgpr_workgroup_id_x 1
		.amdhsa_system_sgpr_workgroup_id_y 0
		.amdhsa_system_sgpr_workgroup_id_z 0
		.amdhsa_system_sgpr_workgroup_info 0
		.amdhsa_system_vgpr_workitem_id 0
		.amdhsa_next_free_vgpr 1
		.amdhsa_next_free_sgpr 1
		.amdhsa_reserve_vcc 0
		.amdhsa_float_round_mode_32 0
		.amdhsa_float_round_mode_16_64 0
		.amdhsa_float_denorm_mode_32 3
		.amdhsa_float_denorm_mode_16_64 3
		.amdhsa_dx10_clamp 1
		.amdhsa_ieee_mode 1
		.amdhsa_fp16_overflow 0
		.amdhsa_workgroup_processor_mode 1
		.amdhsa_memory_ordered 1
		.amdhsa_forward_progress 0
		.amdhsa_shared_vgpr_count 0
		.amdhsa_exception_fp_ieee_invalid_op 0
		.amdhsa_exception_fp_denorm_src 0
		.amdhsa_exception_fp_ieee_div_zero 0
		.amdhsa_exception_fp_ieee_overflow 0
		.amdhsa_exception_fp_ieee_underflow 0
		.amdhsa_exception_fp_ieee_inexact 0
		.amdhsa_exception_int_div_zero 0
	.end_amdhsa_kernel
	.section	.text._ZN7rocprim17ROCPRIM_400000_NS6detail17trampoline_kernelINS0_14default_configENS1_22reduce_config_selectorIN6thrust23THRUST_200600_302600_NS5tupleIblNS6_9null_typeES8_S8_S8_S8_S8_S8_S8_EEEEZNS1_11reduce_implILb1ES3_NS6_12zip_iteratorINS7_INS6_11hip_rocprim26transform_input_iterator_tIbNSD_35transform_pair_of_input_iterators_tIbNS6_6detail15normal_iteratorINS6_10device_ptrIKxEEEESL_NS6_8equal_toIxEEEENSG_9not_fun_tINSD_8identityEEEEENSD_19counting_iterator_tIlEES8_S8_S8_S8_S8_S8_S8_S8_EEEEPS9_S9_NSD_9__find_if7functorIS9_EEEE10hipError_tPvRmT1_T2_T3_mT4_P12ihipStream_tbEUlT_E1_NS1_11comp_targetILNS1_3genE4ELNS1_11target_archE910ELNS1_3gpuE8ELNS1_3repE0EEENS1_30default_config_static_selectorELNS0_4arch9wavefront6targetE0EEEvS14_,"axG",@progbits,_ZN7rocprim17ROCPRIM_400000_NS6detail17trampoline_kernelINS0_14default_configENS1_22reduce_config_selectorIN6thrust23THRUST_200600_302600_NS5tupleIblNS6_9null_typeES8_S8_S8_S8_S8_S8_S8_EEEEZNS1_11reduce_implILb1ES3_NS6_12zip_iteratorINS7_INS6_11hip_rocprim26transform_input_iterator_tIbNSD_35transform_pair_of_input_iterators_tIbNS6_6detail15normal_iteratorINS6_10device_ptrIKxEEEESL_NS6_8equal_toIxEEEENSG_9not_fun_tINSD_8identityEEEEENSD_19counting_iterator_tIlEES8_S8_S8_S8_S8_S8_S8_S8_EEEEPS9_S9_NSD_9__find_if7functorIS9_EEEE10hipError_tPvRmT1_T2_T3_mT4_P12ihipStream_tbEUlT_E1_NS1_11comp_targetILNS1_3genE4ELNS1_11target_archE910ELNS1_3gpuE8ELNS1_3repE0EEENS1_30default_config_static_selectorELNS0_4arch9wavefront6targetE0EEEvS14_,comdat
.Lfunc_end530:
	.size	_ZN7rocprim17ROCPRIM_400000_NS6detail17trampoline_kernelINS0_14default_configENS1_22reduce_config_selectorIN6thrust23THRUST_200600_302600_NS5tupleIblNS6_9null_typeES8_S8_S8_S8_S8_S8_S8_EEEEZNS1_11reduce_implILb1ES3_NS6_12zip_iteratorINS7_INS6_11hip_rocprim26transform_input_iterator_tIbNSD_35transform_pair_of_input_iterators_tIbNS6_6detail15normal_iteratorINS6_10device_ptrIKxEEEESL_NS6_8equal_toIxEEEENSG_9not_fun_tINSD_8identityEEEEENSD_19counting_iterator_tIlEES8_S8_S8_S8_S8_S8_S8_S8_EEEEPS9_S9_NSD_9__find_if7functorIS9_EEEE10hipError_tPvRmT1_T2_T3_mT4_P12ihipStream_tbEUlT_E1_NS1_11comp_targetILNS1_3genE4ELNS1_11target_archE910ELNS1_3gpuE8ELNS1_3repE0EEENS1_30default_config_static_selectorELNS0_4arch9wavefront6targetE0EEEvS14_, .Lfunc_end530-_ZN7rocprim17ROCPRIM_400000_NS6detail17trampoline_kernelINS0_14default_configENS1_22reduce_config_selectorIN6thrust23THRUST_200600_302600_NS5tupleIblNS6_9null_typeES8_S8_S8_S8_S8_S8_S8_EEEEZNS1_11reduce_implILb1ES3_NS6_12zip_iteratorINS7_INS6_11hip_rocprim26transform_input_iterator_tIbNSD_35transform_pair_of_input_iterators_tIbNS6_6detail15normal_iteratorINS6_10device_ptrIKxEEEESL_NS6_8equal_toIxEEEENSG_9not_fun_tINSD_8identityEEEEENSD_19counting_iterator_tIlEES8_S8_S8_S8_S8_S8_S8_S8_EEEEPS9_S9_NSD_9__find_if7functorIS9_EEEE10hipError_tPvRmT1_T2_T3_mT4_P12ihipStream_tbEUlT_E1_NS1_11comp_targetILNS1_3genE4ELNS1_11target_archE910ELNS1_3gpuE8ELNS1_3repE0EEENS1_30default_config_static_selectorELNS0_4arch9wavefront6targetE0EEEvS14_
                                        ; -- End function
	.section	.AMDGPU.csdata,"",@progbits
; Kernel info:
; codeLenInByte = 0
; NumSgprs: 0
; NumVgprs: 0
; ScratchSize: 0
; MemoryBound: 0
; FloatMode: 240
; IeeeMode: 1
; LDSByteSize: 0 bytes/workgroup (compile time only)
; SGPRBlocks: 0
; VGPRBlocks: 0
; NumSGPRsForWavesPerEU: 1
; NumVGPRsForWavesPerEU: 1
; Occupancy: 16
; WaveLimiterHint : 0
; COMPUTE_PGM_RSRC2:SCRATCH_EN: 0
; COMPUTE_PGM_RSRC2:USER_SGPR: 15
; COMPUTE_PGM_RSRC2:TRAP_HANDLER: 0
; COMPUTE_PGM_RSRC2:TGID_X_EN: 1
; COMPUTE_PGM_RSRC2:TGID_Y_EN: 0
; COMPUTE_PGM_RSRC2:TGID_Z_EN: 0
; COMPUTE_PGM_RSRC2:TIDIG_COMP_CNT: 0
	.section	.text._ZN7rocprim17ROCPRIM_400000_NS6detail17trampoline_kernelINS0_14default_configENS1_22reduce_config_selectorIN6thrust23THRUST_200600_302600_NS5tupleIblNS6_9null_typeES8_S8_S8_S8_S8_S8_S8_EEEEZNS1_11reduce_implILb1ES3_NS6_12zip_iteratorINS7_INS6_11hip_rocprim26transform_input_iterator_tIbNSD_35transform_pair_of_input_iterators_tIbNS6_6detail15normal_iteratorINS6_10device_ptrIKxEEEESL_NS6_8equal_toIxEEEENSG_9not_fun_tINSD_8identityEEEEENSD_19counting_iterator_tIlEES8_S8_S8_S8_S8_S8_S8_S8_EEEEPS9_S9_NSD_9__find_if7functorIS9_EEEE10hipError_tPvRmT1_T2_T3_mT4_P12ihipStream_tbEUlT_E1_NS1_11comp_targetILNS1_3genE3ELNS1_11target_archE908ELNS1_3gpuE7ELNS1_3repE0EEENS1_30default_config_static_selectorELNS0_4arch9wavefront6targetE0EEEvS14_,"axG",@progbits,_ZN7rocprim17ROCPRIM_400000_NS6detail17trampoline_kernelINS0_14default_configENS1_22reduce_config_selectorIN6thrust23THRUST_200600_302600_NS5tupleIblNS6_9null_typeES8_S8_S8_S8_S8_S8_S8_EEEEZNS1_11reduce_implILb1ES3_NS6_12zip_iteratorINS7_INS6_11hip_rocprim26transform_input_iterator_tIbNSD_35transform_pair_of_input_iterators_tIbNS6_6detail15normal_iteratorINS6_10device_ptrIKxEEEESL_NS6_8equal_toIxEEEENSG_9not_fun_tINSD_8identityEEEEENSD_19counting_iterator_tIlEES8_S8_S8_S8_S8_S8_S8_S8_EEEEPS9_S9_NSD_9__find_if7functorIS9_EEEE10hipError_tPvRmT1_T2_T3_mT4_P12ihipStream_tbEUlT_E1_NS1_11comp_targetILNS1_3genE3ELNS1_11target_archE908ELNS1_3gpuE7ELNS1_3repE0EEENS1_30default_config_static_selectorELNS0_4arch9wavefront6targetE0EEEvS14_,comdat
	.protected	_ZN7rocprim17ROCPRIM_400000_NS6detail17trampoline_kernelINS0_14default_configENS1_22reduce_config_selectorIN6thrust23THRUST_200600_302600_NS5tupleIblNS6_9null_typeES8_S8_S8_S8_S8_S8_S8_EEEEZNS1_11reduce_implILb1ES3_NS6_12zip_iteratorINS7_INS6_11hip_rocprim26transform_input_iterator_tIbNSD_35transform_pair_of_input_iterators_tIbNS6_6detail15normal_iteratorINS6_10device_ptrIKxEEEESL_NS6_8equal_toIxEEEENSG_9not_fun_tINSD_8identityEEEEENSD_19counting_iterator_tIlEES8_S8_S8_S8_S8_S8_S8_S8_EEEEPS9_S9_NSD_9__find_if7functorIS9_EEEE10hipError_tPvRmT1_T2_T3_mT4_P12ihipStream_tbEUlT_E1_NS1_11comp_targetILNS1_3genE3ELNS1_11target_archE908ELNS1_3gpuE7ELNS1_3repE0EEENS1_30default_config_static_selectorELNS0_4arch9wavefront6targetE0EEEvS14_ ; -- Begin function _ZN7rocprim17ROCPRIM_400000_NS6detail17trampoline_kernelINS0_14default_configENS1_22reduce_config_selectorIN6thrust23THRUST_200600_302600_NS5tupleIblNS6_9null_typeES8_S8_S8_S8_S8_S8_S8_EEEEZNS1_11reduce_implILb1ES3_NS6_12zip_iteratorINS7_INS6_11hip_rocprim26transform_input_iterator_tIbNSD_35transform_pair_of_input_iterators_tIbNS6_6detail15normal_iteratorINS6_10device_ptrIKxEEEESL_NS6_8equal_toIxEEEENSG_9not_fun_tINSD_8identityEEEEENSD_19counting_iterator_tIlEES8_S8_S8_S8_S8_S8_S8_S8_EEEEPS9_S9_NSD_9__find_if7functorIS9_EEEE10hipError_tPvRmT1_T2_T3_mT4_P12ihipStream_tbEUlT_E1_NS1_11comp_targetILNS1_3genE3ELNS1_11target_archE908ELNS1_3gpuE7ELNS1_3repE0EEENS1_30default_config_static_selectorELNS0_4arch9wavefront6targetE0EEEvS14_
	.globl	_ZN7rocprim17ROCPRIM_400000_NS6detail17trampoline_kernelINS0_14default_configENS1_22reduce_config_selectorIN6thrust23THRUST_200600_302600_NS5tupleIblNS6_9null_typeES8_S8_S8_S8_S8_S8_S8_EEEEZNS1_11reduce_implILb1ES3_NS6_12zip_iteratorINS7_INS6_11hip_rocprim26transform_input_iterator_tIbNSD_35transform_pair_of_input_iterators_tIbNS6_6detail15normal_iteratorINS6_10device_ptrIKxEEEESL_NS6_8equal_toIxEEEENSG_9not_fun_tINSD_8identityEEEEENSD_19counting_iterator_tIlEES8_S8_S8_S8_S8_S8_S8_S8_EEEEPS9_S9_NSD_9__find_if7functorIS9_EEEE10hipError_tPvRmT1_T2_T3_mT4_P12ihipStream_tbEUlT_E1_NS1_11comp_targetILNS1_3genE3ELNS1_11target_archE908ELNS1_3gpuE7ELNS1_3repE0EEENS1_30default_config_static_selectorELNS0_4arch9wavefront6targetE0EEEvS14_
	.p2align	8
	.type	_ZN7rocprim17ROCPRIM_400000_NS6detail17trampoline_kernelINS0_14default_configENS1_22reduce_config_selectorIN6thrust23THRUST_200600_302600_NS5tupleIblNS6_9null_typeES8_S8_S8_S8_S8_S8_S8_EEEEZNS1_11reduce_implILb1ES3_NS6_12zip_iteratorINS7_INS6_11hip_rocprim26transform_input_iterator_tIbNSD_35transform_pair_of_input_iterators_tIbNS6_6detail15normal_iteratorINS6_10device_ptrIKxEEEESL_NS6_8equal_toIxEEEENSG_9not_fun_tINSD_8identityEEEEENSD_19counting_iterator_tIlEES8_S8_S8_S8_S8_S8_S8_S8_EEEEPS9_S9_NSD_9__find_if7functorIS9_EEEE10hipError_tPvRmT1_T2_T3_mT4_P12ihipStream_tbEUlT_E1_NS1_11comp_targetILNS1_3genE3ELNS1_11target_archE908ELNS1_3gpuE7ELNS1_3repE0EEENS1_30default_config_static_selectorELNS0_4arch9wavefront6targetE0EEEvS14_,@function
_ZN7rocprim17ROCPRIM_400000_NS6detail17trampoline_kernelINS0_14default_configENS1_22reduce_config_selectorIN6thrust23THRUST_200600_302600_NS5tupleIblNS6_9null_typeES8_S8_S8_S8_S8_S8_S8_EEEEZNS1_11reduce_implILb1ES3_NS6_12zip_iteratorINS7_INS6_11hip_rocprim26transform_input_iterator_tIbNSD_35transform_pair_of_input_iterators_tIbNS6_6detail15normal_iteratorINS6_10device_ptrIKxEEEESL_NS6_8equal_toIxEEEENSG_9not_fun_tINSD_8identityEEEEENSD_19counting_iterator_tIlEES8_S8_S8_S8_S8_S8_S8_S8_EEEEPS9_S9_NSD_9__find_if7functorIS9_EEEE10hipError_tPvRmT1_T2_T3_mT4_P12ihipStream_tbEUlT_E1_NS1_11comp_targetILNS1_3genE3ELNS1_11target_archE908ELNS1_3gpuE7ELNS1_3repE0EEENS1_30default_config_static_selectorELNS0_4arch9wavefront6targetE0EEEvS14_: ; @_ZN7rocprim17ROCPRIM_400000_NS6detail17trampoline_kernelINS0_14default_configENS1_22reduce_config_selectorIN6thrust23THRUST_200600_302600_NS5tupleIblNS6_9null_typeES8_S8_S8_S8_S8_S8_S8_EEEEZNS1_11reduce_implILb1ES3_NS6_12zip_iteratorINS7_INS6_11hip_rocprim26transform_input_iterator_tIbNSD_35transform_pair_of_input_iterators_tIbNS6_6detail15normal_iteratorINS6_10device_ptrIKxEEEESL_NS6_8equal_toIxEEEENSG_9not_fun_tINSD_8identityEEEEENSD_19counting_iterator_tIlEES8_S8_S8_S8_S8_S8_S8_S8_EEEEPS9_S9_NSD_9__find_if7functorIS9_EEEE10hipError_tPvRmT1_T2_T3_mT4_P12ihipStream_tbEUlT_E1_NS1_11comp_targetILNS1_3genE3ELNS1_11target_archE908ELNS1_3gpuE7ELNS1_3repE0EEENS1_30default_config_static_selectorELNS0_4arch9wavefront6targetE0EEEvS14_
; %bb.0:
	.section	.rodata,"a",@progbits
	.p2align	6, 0x0
	.amdhsa_kernel _ZN7rocprim17ROCPRIM_400000_NS6detail17trampoline_kernelINS0_14default_configENS1_22reduce_config_selectorIN6thrust23THRUST_200600_302600_NS5tupleIblNS6_9null_typeES8_S8_S8_S8_S8_S8_S8_EEEEZNS1_11reduce_implILb1ES3_NS6_12zip_iteratorINS7_INS6_11hip_rocprim26transform_input_iterator_tIbNSD_35transform_pair_of_input_iterators_tIbNS6_6detail15normal_iteratorINS6_10device_ptrIKxEEEESL_NS6_8equal_toIxEEEENSG_9not_fun_tINSD_8identityEEEEENSD_19counting_iterator_tIlEES8_S8_S8_S8_S8_S8_S8_S8_EEEEPS9_S9_NSD_9__find_if7functorIS9_EEEE10hipError_tPvRmT1_T2_T3_mT4_P12ihipStream_tbEUlT_E1_NS1_11comp_targetILNS1_3genE3ELNS1_11target_archE908ELNS1_3gpuE7ELNS1_3repE0EEENS1_30default_config_static_selectorELNS0_4arch9wavefront6targetE0EEEvS14_
		.amdhsa_group_segment_fixed_size 0
		.amdhsa_private_segment_fixed_size 0
		.amdhsa_kernarg_size 88
		.amdhsa_user_sgpr_count 15
		.amdhsa_user_sgpr_dispatch_ptr 0
		.amdhsa_user_sgpr_queue_ptr 0
		.amdhsa_user_sgpr_kernarg_segment_ptr 1
		.amdhsa_user_sgpr_dispatch_id 0
		.amdhsa_user_sgpr_private_segment_size 0
		.amdhsa_wavefront_size32 1
		.amdhsa_uses_dynamic_stack 0
		.amdhsa_enable_private_segment 0
		.amdhsa_system_sgpr_workgroup_id_x 1
		.amdhsa_system_sgpr_workgroup_id_y 0
		.amdhsa_system_sgpr_workgroup_id_z 0
		.amdhsa_system_sgpr_workgroup_info 0
		.amdhsa_system_vgpr_workitem_id 0
		.amdhsa_next_free_vgpr 1
		.amdhsa_next_free_sgpr 1
		.amdhsa_reserve_vcc 0
		.amdhsa_float_round_mode_32 0
		.amdhsa_float_round_mode_16_64 0
		.amdhsa_float_denorm_mode_32 3
		.amdhsa_float_denorm_mode_16_64 3
		.amdhsa_dx10_clamp 1
		.amdhsa_ieee_mode 1
		.amdhsa_fp16_overflow 0
		.amdhsa_workgroup_processor_mode 1
		.amdhsa_memory_ordered 1
		.amdhsa_forward_progress 0
		.amdhsa_shared_vgpr_count 0
		.amdhsa_exception_fp_ieee_invalid_op 0
		.amdhsa_exception_fp_denorm_src 0
		.amdhsa_exception_fp_ieee_div_zero 0
		.amdhsa_exception_fp_ieee_overflow 0
		.amdhsa_exception_fp_ieee_underflow 0
		.amdhsa_exception_fp_ieee_inexact 0
		.amdhsa_exception_int_div_zero 0
	.end_amdhsa_kernel
	.section	.text._ZN7rocprim17ROCPRIM_400000_NS6detail17trampoline_kernelINS0_14default_configENS1_22reduce_config_selectorIN6thrust23THRUST_200600_302600_NS5tupleIblNS6_9null_typeES8_S8_S8_S8_S8_S8_S8_EEEEZNS1_11reduce_implILb1ES3_NS6_12zip_iteratorINS7_INS6_11hip_rocprim26transform_input_iterator_tIbNSD_35transform_pair_of_input_iterators_tIbNS6_6detail15normal_iteratorINS6_10device_ptrIKxEEEESL_NS6_8equal_toIxEEEENSG_9not_fun_tINSD_8identityEEEEENSD_19counting_iterator_tIlEES8_S8_S8_S8_S8_S8_S8_S8_EEEEPS9_S9_NSD_9__find_if7functorIS9_EEEE10hipError_tPvRmT1_T2_T3_mT4_P12ihipStream_tbEUlT_E1_NS1_11comp_targetILNS1_3genE3ELNS1_11target_archE908ELNS1_3gpuE7ELNS1_3repE0EEENS1_30default_config_static_selectorELNS0_4arch9wavefront6targetE0EEEvS14_,"axG",@progbits,_ZN7rocprim17ROCPRIM_400000_NS6detail17trampoline_kernelINS0_14default_configENS1_22reduce_config_selectorIN6thrust23THRUST_200600_302600_NS5tupleIblNS6_9null_typeES8_S8_S8_S8_S8_S8_S8_EEEEZNS1_11reduce_implILb1ES3_NS6_12zip_iteratorINS7_INS6_11hip_rocprim26transform_input_iterator_tIbNSD_35transform_pair_of_input_iterators_tIbNS6_6detail15normal_iteratorINS6_10device_ptrIKxEEEESL_NS6_8equal_toIxEEEENSG_9not_fun_tINSD_8identityEEEEENSD_19counting_iterator_tIlEES8_S8_S8_S8_S8_S8_S8_S8_EEEEPS9_S9_NSD_9__find_if7functorIS9_EEEE10hipError_tPvRmT1_T2_T3_mT4_P12ihipStream_tbEUlT_E1_NS1_11comp_targetILNS1_3genE3ELNS1_11target_archE908ELNS1_3gpuE7ELNS1_3repE0EEENS1_30default_config_static_selectorELNS0_4arch9wavefront6targetE0EEEvS14_,comdat
.Lfunc_end531:
	.size	_ZN7rocprim17ROCPRIM_400000_NS6detail17trampoline_kernelINS0_14default_configENS1_22reduce_config_selectorIN6thrust23THRUST_200600_302600_NS5tupleIblNS6_9null_typeES8_S8_S8_S8_S8_S8_S8_EEEEZNS1_11reduce_implILb1ES3_NS6_12zip_iteratorINS7_INS6_11hip_rocprim26transform_input_iterator_tIbNSD_35transform_pair_of_input_iterators_tIbNS6_6detail15normal_iteratorINS6_10device_ptrIKxEEEESL_NS6_8equal_toIxEEEENSG_9not_fun_tINSD_8identityEEEEENSD_19counting_iterator_tIlEES8_S8_S8_S8_S8_S8_S8_S8_EEEEPS9_S9_NSD_9__find_if7functorIS9_EEEE10hipError_tPvRmT1_T2_T3_mT4_P12ihipStream_tbEUlT_E1_NS1_11comp_targetILNS1_3genE3ELNS1_11target_archE908ELNS1_3gpuE7ELNS1_3repE0EEENS1_30default_config_static_selectorELNS0_4arch9wavefront6targetE0EEEvS14_, .Lfunc_end531-_ZN7rocprim17ROCPRIM_400000_NS6detail17trampoline_kernelINS0_14default_configENS1_22reduce_config_selectorIN6thrust23THRUST_200600_302600_NS5tupleIblNS6_9null_typeES8_S8_S8_S8_S8_S8_S8_EEEEZNS1_11reduce_implILb1ES3_NS6_12zip_iteratorINS7_INS6_11hip_rocprim26transform_input_iterator_tIbNSD_35transform_pair_of_input_iterators_tIbNS6_6detail15normal_iteratorINS6_10device_ptrIKxEEEESL_NS6_8equal_toIxEEEENSG_9not_fun_tINSD_8identityEEEEENSD_19counting_iterator_tIlEES8_S8_S8_S8_S8_S8_S8_S8_EEEEPS9_S9_NSD_9__find_if7functorIS9_EEEE10hipError_tPvRmT1_T2_T3_mT4_P12ihipStream_tbEUlT_E1_NS1_11comp_targetILNS1_3genE3ELNS1_11target_archE908ELNS1_3gpuE7ELNS1_3repE0EEENS1_30default_config_static_selectorELNS0_4arch9wavefront6targetE0EEEvS14_
                                        ; -- End function
	.section	.AMDGPU.csdata,"",@progbits
; Kernel info:
; codeLenInByte = 0
; NumSgprs: 0
; NumVgprs: 0
; ScratchSize: 0
; MemoryBound: 0
; FloatMode: 240
; IeeeMode: 1
; LDSByteSize: 0 bytes/workgroup (compile time only)
; SGPRBlocks: 0
; VGPRBlocks: 0
; NumSGPRsForWavesPerEU: 1
; NumVGPRsForWavesPerEU: 1
; Occupancy: 16
; WaveLimiterHint : 0
; COMPUTE_PGM_RSRC2:SCRATCH_EN: 0
; COMPUTE_PGM_RSRC2:USER_SGPR: 15
; COMPUTE_PGM_RSRC2:TRAP_HANDLER: 0
; COMPUTE_PGM_RSRC2:TGID_X_EN: 1
; COMPUTE_PGM_RSRC2:TGID_Y_EN: 0
; COMPUTE_PGM_RSRC2:TGID_Z_EN: 0
; COMPUTE_PGM_RSRC2:TIDIG_COMP_CNT: 0
	.section	.text._ZN7rocprim17ROCPRIM_400000_NS6detail17trampoline_kernelINS0_14default_configENS1_22reduce_config_selectorIN6thrust23THRUST_200600_302600_NS5tupleIblNS6_9null_typeES8_S8_S8_S8_S8_S8_S8_EEEEZNS1_11reduce_implILb1ES3_NS6_12zip_iteratorINS7_INS6_11hip_rocprim26transform_input_iterator_tIbNSD_35transform_pair_of_input_iterators_tIbNS6_6detail15normal_iteratorINS6_10device_ptrIKxEEEESL_NS6_8equal_toIxEEEENSG_9not_fun_tINSD_8identityEEEEENSD_19counting_iterator_tIlEES8_S8_S8_S8_S8_S8_S8_S8_EEEEPS9_S9_NSD_9__find_if7functorIS9_EEEE10hipError_tPvRmT1_T2_T3_mT4_P12ihipStream_tbEUlT_E1_NS1_11comp_targetILNS1_3genE2ELNS1_11target_archE906ELNS1_3gpuE6ELNS1_3repE0EEENS1_30default_config_static_selectorELNS0_4arch9wavefront6targetE0EEEvS14_,"axG",@progbits,_ZN7rocprim17ROCPRIM_400000_NS6detail17trampoline_kernelINS0_14default_configENS1_22reduce_config_selectorIN6thrust23THRUST_200600_302600_NS5tupleIblNS6_9null_typeES8_S8_S8_S8_S8_S8_S8_EEEEZNS1_11reduce_implILb1ES3_NS6_12zip_iteratorINS7_INS6_11hip_rocprim26transform_input_iterator_tIbNSD_35transform_pair_of_input_iterators_tIbNS6_6detail15normal_iteratorINS6_10device_ptrIKxEEEESL_NS6_8equal_toIxEEEENSG_9not_fun_tINSD_8identityEEEEENSD_19counting_iterator_tIlEES8_S8_S8_S8_S8_S8_S8_S8_EEEEPS9_S9_NSD_9__find_if7functorIS9_EEEE10hipError_tPvRmT1_T2_T3_mT4_P12ihipStream_tbEUlT_E1_NS1_11comp_targetILNS1_3genE2ELNS1_11target_archE906ELNS1_3gpuE6ELNS1_3repE0EEENS1_30default_config_static_selectorELNS0_4arch9wavefront6targetE0EEEvS14_,comdat
	.protected	_ZN7rocprim17ROCPRIM_400000_NS6detail17trampoline_kernelINS0_14default_configENS1_22reduce_config_selectorIN6thrust23THRUST_200600_302600_NS5tupleIblNS6_9null_typeES8_S8_S8_S8_S8_S8_S8_EEEEZNS1_11reduce_implILb1ES3_NS6_12zip_iteratorINS7_INS6_11hip_rocprim26transform_input_iterator_tIbNSD_35transform_pair_of_input_iterators_tIbNS6_6detail15normal_iteratorINS6_10device_ptrIKxEEEESL_NS6_8equal_toIxEEEENSG_9not_fun_tINSD_8identityEEEEENSD_19counting_iterator_tIlEES8_S8_S8_S8_S8_S8_S8_S8_EEEEPS9_S9_NSD_9__find_if7functorIS9_EEEE10hipError_tPvRmT1_T2_T3_mT4_P12ihipStream_tbEUlT_E1_NS1_11comp_targetILNS1_3genE2ELNS1_11target_archE906ELNS1_3gpuE6ELNS1_3repE0EEENS1_30default_config_static_selectorELNS0_4arch9wavefront6targetE0EEEvS14_ ; -- Begin function _ZN7rocprim17ROCPRIM_400000_NS6detail17trampoline_kernelINS0_14default_configENS1_22reduce_config_selectorIN6thrust23THRUST_200600_302600_NS5tupleIblNS6_9null_typeES8_S8_S8_S8_S8_S8_S8_EEEEZNS1_11reduce_implILb1ES3_NS6_12zip_iteratorINS7_INS6_11hip_rocprim26transform_input_iterator_tIbNSD_35transform_pair_of_input_iterators_tIbNS6_6detail15normal_iteratorINS6_10device_ptrIKxEEEESL_NS6_8equal_toIxEEEENSG_9not_fun_tINSD_8identityEEEEENSD_19counting_iterator_tIlEES8_S8_S8_S8_S8_S8_S8_S8_EEEEPS9_S9_NSD_9__find_if7functorIS9_EEEE10hipError_tPvRmT1_T2_T3_mT4_P12ihipStream_tbEUlT_E1_NS1_11comp_targetILNS1_3genE2ELNS1_11target_archE906ELNS1_3gpuE6ELNS1_3repE0EEENS1_30default_config_static_selectorELNS0_4arch9wavefront6targetE0EEEvS14_
	.globl	_ZN7rocprim17ROCPRIM_400000_NS6detail17trampoline_kernelINS0_14default_configENS1_22reduce_config_selectorIN6thrust23THRUST_200600_302600_NS5tupleIblNS6_9null_typeES8_S8_S8_S8_S8_S8_S8_EEEEZNS1_11reduce_implILb1ES3_NS6_12zip_iteratorINS7_INS6_11hip_rocprim26transform_input_iterator_tIbNSD_35transform_pair_of_input_iterators_tIbNS6_6detail15normal_iteratorINS6_10device_ptrIKxEEEESL_NS6_8equal_toIxEEEENSG_9not_fun_tINSD_8identityEEEEENSD_19counting_iterator_tIlEES8_S8_S8_S8_S8_S8_S8_S8_EEEEPS9_S9_NSD_9__find_if7functorIS9_EEEE10hipError_tPvRmT1_T2_T3_mT4_P12ihipStream_tbEUlT_E1_NS1_11comp_targetILNS1_3genE2ELNS1_11target_archE906ELNS1_3gpuE6ELNS1_3repE0EEENS1_30default_config_static_selectorELNS0_4arch9wavefront6targetE0EEEvS14_
	.p2align	8
	.type	_ZN7rocprim17ROCPRIM_400000_NS6detail17trampoline_kernelINS0_14default_configENS1_22reduce_config_selectorIN6thrust23THRUST_200600_302600_NS5tupleIblNS6_9null_typeES8_S8_S8_S8_S8_S8_S8_EEEEZNS1_11reduce_implILb1ES3_NS6_12zip_iteratorINS7_INS6_11hip_rocprim26transform_input_iterator_tIbNSD_35transform_pair_of_input_iterators_tIbNS6_6detail15normal_iteratorINS6_10device_ptrIKxEEEESL_NS6_8equal_toIxEEEENSG_9not_fun_tINSD_8identityEEEEENSD_19counting_iterator_tIlEES8_S8_S8_S8_S8_S8_S8_S8_EEEEPS9_S9_NSD_9__find_if7functorIS9_EEEE10hipError_tPvRmT1_T2_T3_mT4_P12ihipStream_tbEUlT_E1_NS1_11comp_targetILNS1_3genE2ELNS1_11target_archE906ELNS1_3gpuE6ELNS1_3repE0EEENS1_30default_config_static_selectorELNS0_4arch9wavefront6targetE0EEEvS14_,@function
_ZN7rocprim17ROCPRIM_400000_NS6detail17trampoline_kernelINS0_14default_configENS1_22reduce_config_selectorIN6thrust23THRUST_200600_302600_NS5tupleIblNS6_9null_typeES8_S8_S8_S8_S8_S8_S8_EEEEZNS1_11reduce_implILb1ES3_NS6_12zip_iteratorINS7_INS6_11hip_rocprim26transform_input_iterator_tIbNSD_35transform_pair_of_input_iterators_tIbNS6_6detail15normal_iteratorINS6_10device_ptrIKxEEEESL_NS6_8equal_toIxEEEENSG_9not_fun_tINSD_8identityEEEEENSD_19counting_iterator_tIlEES8_S8_S8_S8_S8_S8_S8_S8_EEEEPS9_S9_NSD_9__find_if7functorIS9_EEEE10hipError_tPvRmT1_T2_T3_mT4_P12ihipStream_tbEUlT_E1_NS1_11comp_targetILNS1_3genE2ELNS1_11target_archE906ELNS1_3gpuE6ELNS1_3repE0EEENS1_30default_config_static_selectorELNS0_4arch9wavefront6targetE0EEEvS14_: ; @_ZN7rocprim17ROCPRIM_400000_NS6detail17trampoline_kernelINS0_14default_configENS1_22reduce_config_selectorIN6thrust23THRUST_200600_302600_NS5tupleIblNS6_9null_typeES8_S8_S8_S8_S8_S8_S8_EEEEZNS1_11reduce_implILb1ES3_NS6_12zip_iteratorINS7_INS6_11hip_rocprim26transform_input_iterator_tIbNSD_35transform_pair_of_input_iterators_tIbNS6_6detail15normal_iteratorINS6_10device_ptrIKxEEEESL_NS6_8equal_toIxEEEENSG_9not_fun_tINSD_8identityEEEEENSD_19counting_iterator_tIlEES8_S8_S8_S8_S8_S8_S8_S8_EEEEPS9_S9_NSD_9__find_if7functorIS9_EEEE10hipError_tPvRmT1_T2_T3_mT4_P12ihipStream_tbEUlT_E1_NS1_11comp_targetILNS1_3genE2ELNS1_11target_archE906ELNS1_3gpuE6ELNS1_3repE0EEENS1_30default_config_static_selectorELNS0_4arch9wavefront6targetE0EEEvS14_
; %bb.0:
	.section	.rodata,"a",@progbits
	.p2align	6, 0x0
	.amdhsa_kernel _ZN7rocprim17ROCPRIM_400000_NS6detail17trampoline_kernelINS0_14default_configENS1_22reduce_config_selectorIN6thrust23THRUST_200600_302600_NS5tupleIblNS6_9null_typeES8_S8_S8_S8_S8_S8_S8_EEEEZNS1_11reduce_implILb1ES3_NS6_12zip_iteratorINS7_INS6_11hip_rocprim26transform_input_iterator_tIbNSD_35transform_pair_of_input_iterators_tIbNS6_6detail15normal_iteratorINS6_10device_ptrIKxEEEESL_NS6_8equal_toIxEEEENSG_9not_fun_tINSD_8identityEEEEENSD_19counting_iterator_tIlEES8_S8_S8_S8_S8_S8_S8_S8_EEEEPS9_S9_NSD_9__find_if7functorIS9_EEEE10hipError_tPvRmT1_T2_T3_mT4_P12ihipStream_tbEUlT_E1_NS1_11comp_targetILNS1_3genE2ELNS1_11target_archE906ELNS1_3gpuE6ELNS1_3repE0EEENS1_30default_config_static_selectorELNS0_4arch9wavefront6targetE0EEEvS14_
		.amdhsa_group_segment_fixed_size 0
		.amdhsa_private_segment_fixed_size 0
		.amdhsa_kernarg_size 88
		.amdhsa_user_sgpr_count 15
		.amdhsa_user_sgpr_dispatch_ptr 0
		.amdhsa_user_sgpr_queue_ptr 0
		.amdhsa_user_sgpr_kernarg_segment_ptr 1
		.amdhsa_user_sgpr_dispatch_id 0
		.amdhsa_user_sgpr_private_segment_size 0
		.amdhsa_wavefront_size32 1
		.amdhsa_uses_dynamic_stack 0
		.amdhsa_enable_private_segment 0
		.amdhsa_system_sgpr_workgroup_id_x 1
		.amdhsa_system_sgpr_workgroup_id_y 0
		.amdhsa_system_sgpr_workgroup_id_z 0
		.amdhsa_system_sgpr_workgroup_info 0
		.amdhsa_system_vgpr_workitem_id 0
		.amdhsa_next_free_vgpr 1
		.amdhsa_next_free_sgpr 1
		.amdhsa_reserve_vcc 0
		.amdhsa_float_round_mode_32 0
		.amdhsa_float_round_mode_16_64 0
		.amdhsa_float_denorm_mode_32 3
		.amdhsa_float_denorm_mode_16_64 3
		.amdhsa_dx10_clamp 1
		.amdhsa_ieee_mode 1
		.amdhsa_fp16_overflow 0
		.amdhsa_workgroup_processor_mode 1
		.amdhsa_memory_ordered 1
		.amdhsa_forward_progress 0
		.amdhsa_shared_vgpr_count 0
		.amdhsa_exception_fp_ieee_invalid_op 0
		.amdhsa_exception_fp_denorm_src 0
		.amdhsa_exception_fp_ieee_div_zero 0
		.amdhsa_exception_fp_ieee_overflow 0
		.amdhsa_exception_fp_ieee_underflow 0
		.amdhsa_exception_fp_ieee_inexact 0
		.amdhsa_exception_int_div_zero 0
	.end_amdhsa_kernel
	.section	.text._ZN7rocprim17ROCPRIM_400000_NS6detail17trampoline_kernelINS0_14default_configENS1_22reduce_config_selectorIN6thrust23THRUST_200600_302600_NS5tupleIblNS6_9null_typeES8_S8_S8_S8_S8_S8_S8_EEEEZNS1_11reduce_implILb1ES3_NS6_12zip_iteratorINS7_INS6_11hip_rocprim26transform_input_iterator_tIbNSD_35transform_pair_of_input_iterators_tIbNS6_6detail15normal_iteratorINS6_10device_ptrIKxEEEESL_NS6_8equal_toIxEEEENSG_9not_fun_tINSD_8identityEEEEENSD_19counting_iterator_tIlEES8_S8_S8_S8_S8_S8_S8_S8_EEEEPS9_S9_NSD_9__find_if7functorIS9_EEEE10hipError_tPvRmT1_T2_T3_mT4_P12ihipStream_tbEUlT_E1_NS1_11comp_targetILNS1_3genE2ELNS1_11target_archE906ELNS1_3gpuE6ELNS1_3repE0EEENS1_30default_config_static_selectorELNS0_4arch9wavefront6targetE0EEEvS14_,"axG",@progbits,_ZN7rocprim17ROCPRIM_400000_NS6detail17trampoline_kernelINS0_14default_configENS1_22reduce_config_selectorIN6thrust23THRUST_200600_302600_NS5tupleIblNS6_9null_typeES8_S8_S8_S8_S8_S8_S8_EEEEZNS1_11reduce_implILb1ES3_NS6_12zip_iteratorINS7_INS6_11hip_rocprim26transform_input_iterator_tIbNSD_35transform_pair_of_input_iterators_tIbNS6_6detail15normal_iteratorINS6_10device_ptrIKxEEEESL_NS6_8equal_toIxEEEENSG_9not_fun_tINSD_8identityEEEEENSD_19counting_iterator_tIlEES8_S8_S8_S8_S8_S8_S8_S8_EEEEPS9_S9_NSD_9__find_if7functorIS9_EEEE10hipError_tPvRmT1_T2_T3_mT4_P12ihipStream_tbEUlT_E1_NS1_11comp_targetILNS1_3genE2ELNS1_11target_archE906ELNS1_3gpuE6ELNS1_3repE0EEENS1_30default_config_static_selectorELNS0_4arch9wavefront6targetE0EEEvS14_,comdat
.Lfunc_end532:
	.size	_ZN7rocprim17ROCPRIM_400000_NS6detail17trampoline_kernelINS0_14default_configENS1_22reduce_config_selectorIN6thrust23THRUST_200600_302600_NS5tupleIblNS6_9null_typeES8_S8_S8_S8_S8_S8_S8_EEEEZNS1_11reduce_implILb1ES3_NS6_12zip_iteratorINS7_INS6_11hip_rocprim26transform_input_iterator_tIbNSD_35transform_pair_of_input_iterators_tIbNS6_6detail15normal_iteratorINS6_10device_ptrIKxEEEESL_NS6_8equal_toIxEEEENSG_9not_fun_tINSD_8identityEEEEENSD_19counting_iterator_tIlEES8_S8_S8_S8_S8_S8_S8_S8_EEEEPS9_S9_NSD_9__find_if7functorIS9_EEEE10hipError_tPvRmT1_T2_T3_mT4_P12ihipStream_tbEUlT_E1_NS1_11comp_targetILNS1_3genE2ELNS1_11target_archE906ELNS1_3gpuE6ELNS1_3repE0EEENS1_30default_config_static_selectorELNS0_4arch9wavefront6targetE0EEEvS14_, .Lfunc_end532-_ZN7rocprim17ROCPRIM_400000_NS6detail17trampoline_kernelINS0_14default_configENS1_22reduce_config_selectorIN6thrust23THRUST_200600_302600_NS5tupleIblNS6_9null_typeES8_S8_S8_S8_S8_S8_S8_EEEEZNS1_11reduce_implILb1ES3_NS6_12zip_iteratorINS7_INS6_11hip_rocprim26transform_input_iterator_tIbNSD_35transform_pair_of_input_iterators_tIbNS6_6detail15normal_iteratorINS6_10device_ptrIKxEEEESL_NS6_8equal_toIxEEEENSG_9not_fun_tINSD_8identityEEEEENSD_19counting_iterator_tIlEES8_S8_S8_S8_S8_S8_S8_S8_EEEEPS9_S9_NSD_9__find_if7functorIS9_EEEE10hipError_tPvRmT1_T2_T3_mT4_P12ihipStream_tbEUlT_E1_NS1_11comp_targetILNS1_3genE2ELNS1_11target_archE906ELNS1_3gpuE6ELNS1_3repE0EEENS1_30default_config_static_selectorELNS0_4arch9wavefront6targetE0EEEvS14_
                                        ; -- End function
	.section	.AMDGPU.csdata,"",@progbits
; Kernel info:
; codeLenInByte = 0
; NumSgprs: 0
; NumVgprs: 0
; ScratchSize: 0
; MemoryBound: 0
; FloatMode: 240
; IeeeMode: 1
; LDSByteSize: 0 bytes/workgroup (compile time only)
; SGPRBlocks: 0
; VGPRBlocks: 0
; NumSGPRsForWavesPerEU: 1
; NumVGPRsForWavesPerEU: 1
; Occupancy: 16
; WaveLimiterHint : 0
; COMPUTE_PGM_RSRC2:SCRATCH_EN: 0
; COMPUTE_PGM_RSRC2:USER_SGPR: 15
; COMPUTE_PGM_RSRC2:TRAP_HANDLER: 0
; COMPUTE_PGM_RSRC2:TGID_X_EN: 1
; COMPUTE_PGM_RSRC2:TGID_Y_EN: 0
; COMPUTE_PGM_RSRC2:TGID_Z_EN: 0
; COMPUTE_PGM_RSRC2:TIDIG_COMP_CNT: 0
	.section	.text._ZN7rocprim17ROCPRIM_400000_NS6detail17trampoline_kernelINS0_14default_configENS1_22reduce_config_selectorIN6thrust23THRUST_200600_302600_NS5tupleIblNS6_9null_typeES8_S8_S8_S8_S8_S8_S8_EEEEZNS1_11reduce_implILb1ES3_NS6_12zip_iteratorINS7_INS6_11hip_rocprim26transform_input_iterator_tIbNSD_35transform_pair_of_input_iterators_tIbNS6_6detail15normal_iteratorINS6_10device_ptrIKxEEEESL_NS6_8equal_toIxEEEENSG_9not_fun_tINSD_8identityEEEEENSD_19counting_iterator_tIlEES8_S8_S8_S8_S8_S8_S8_S8_EEEEPS9_S9_NSD_9__find_if7functorIS9_EEEE10hipError_tPvRmT1_T2_T3_mT4_P12ihipStream_tbEUlT_E1_NS1_11comp_targetILNS1_3genE10ELNS1_11target_archE1201ELNS1_3gpuE5ELNS1_3repE0EEENS1_30default_config_static_selectorELNS0_4arch9wavefront6targetE0EEEvS14_,"axG",@progbits,_ZN7rocprim17ROCPRIM_400000_NS6detail17trampoline_kernelINS0_14default_configENS1_22reduce_config_selectorIN6thrust23THRUST_200600_302600_NS5tupleIblNS6_9null_typeES8_S8_S8_S8_S8_S8_S8_EEEEZNS1_11reduce_implILb1ES3_NS6_12zip_iteratorINS7_INS6_11hip_rocprim26transform_input_iterator_tIbNSD_35transform_pair_of_input_iterators_tIbNS6_6detail15normal_iteratorINS6_10device_ptrIKxEEEESL_NS6_8equal_toIxEEEENSG_9not_fun_tINSD_8identityEEEEENSD_19counting_iterator_tIlEES8_S8_S8_S8_S8_S8_S8_S8_EEEEPS9_S9_NSD_9__find_if7functorIS9_EEEE10hipError_tPvRmT1_T2_T3_mT4_P12ihipStream_tbEUlT_E1_NS1_11comp_targetILNS1_3genE10ELNS1_11target_archE1201ELNS1_3gpuE5ELNS1_3repE0EEENS1_30default_config_static_selectorELNS0_4arch9wavefront6targetE0EEEvS14_,comdat
	.protected	_ZN7rocprim17ROCPRIM_400000_NS6detail17trampoline_kernelINS0_14default_configENS1_22reduce_config_selectorIN6thrust23THRUST_200600_302600_NS5tupleIblNS6_9null_typeES8_S8_S8_S8_S8_S8_S8_EEEEZNS1_11reduce_implILb1ES3_NS6_12zip_iteratorINS7_INS6_11hip_rocprim26transform_input_iterator_tIbNSD_35transform_pair_of_input_iterators_tIbNS6_6detail15normal_iteratorINS6_10device_ptrIKxEEEESL_NS6_8equal_toIxEEEENSG_9not_fun_tINSD_8identityEEEEENSD_19counting_iterator_tIlEES8_S8_S8_S8_S8_S8_S8_S8_EEEEPS9_S9_NSD_9__find_if7functorIS9_EEEE10hipError_tPvRmT1_T2_T3_mT4_P12ihipStream_tbEUlT_E1_NS1_11comp_targetILNS1_3genE10ELNS1_11target_archE1201ELNS1_3gpuE5ELNS1_3repE0EEENS1_30default_config_static_selectorELNS0_4arch9wavefront6targetE0EEEvS14_ ; -- Begin function _ZN7rocprim17ROCPRIM_400000_NS6detail17trampoline_kernelINS0_14default_configENS1_22reduce_config_selectorIN6thrust23THRUST_200600_302600_NS5tupleIblNS6_9null_typeES8_S8_S8_S8_S8_S8_S8_EEEEZNS1_11reduce_implILb1ES3_NS6_12zip_iteratorINS7_INS6_11hip_rocprim26transform_input_iterator_tIbNSD_35transform_pair_of_input_iterators_tIbNS6_6detail15normal_iteratorINS6_10device_ptrIKxEEEESL_NS6_8equal_toIxEEEENSG_9not_fun_tINSD_8identityEEEEENSD_19counting_iterator_tIlEES8_S8_S8_S8_S8_S8_S8_S8_EEEEPS9_S9_NSD_9__find_if7functorIS9_EEEE10hipError_tPvRmT1_T2_T3_mT4_P12ihipStream_tbEUlT_E1_NS1_11comp_targetILNS1_3genE10ELNS1_11target_archE1201ELNS1_3gpuE5ELNS1_3repE0EEENS1_30default_config_static_selectorELNS0_4arch9wavefront6targetE0EEEvS14_
	.globl	_ZN7rocprim17ROCPRIM_400000_NS6detail17trampoline_kernelINS0_14default_configENS1_22reduce_config_selectorIN6thrust23THRUST_200600_302600_NS5tupleIblNS6_9null_typeES8_S8_S8_S8_S8_S8_S8_EEEEZNS1_11reduce_implILb1ES3_NS6_12zip_iteratorINS7_INS6_11hip_rocprim26transform_input_iterator_tIbNSD_35transform_pair_of_input_iterators_tIbNS6_6detail15normal_iteratorINS6_10device_ptrIKxEEEESL_NS6_8equal_toIxEEEENSG_9not_fun_tINSD_8identityEEEEENSD_19counting_iterator_tIlEES8_S8_S8_S8_S8_S8_S8_S8_EEEEPS9_S9_NSD_9__find_if7functorIS9_EEEE10hipError_tPvRmT1_T2_T3_mT4_P12ihipStream_tbEUlT_E1_NS1_11comp_targetILNS1_3genE10ELNS1_11target_archE1201ELNS1_3gpuE5ELNS1_3repE0EEENS1_30default_config_static_selectorELNS0_4arch9wavefront6targetE0EEEvS14_
	.p2align	8
	.type	_ZN7rocprim17ROCPRIM_400000_NS6detail17trampoline_kernelINS0_14default_configENS1_22reduce_config_selectorIN6thrust23THRUST_200600_302600_NS5tupleIblNS6_9null_typeES8_S8_S8_S8_S8_S8_S8_EEEEZNS1_11reduce_implILb1ES3_NS6_12zip_iteratorINS7_INS6_11hip_rocprim26transform_input_iterator_tIbNSD_35transform_pair_of_input_iterators_tIbNS6_6detail15normal_iteratorINS6_10device_ptrIKxEEEESL_NS6_8equal_toIxEEEENSG_9not_fun_tINSD_8identityEEEEENSD_19counting_iterator_tIlEES8_S8_S8_S8_S8_S8_S8_S8_EEEEPS9_S9_NSD_9__find_if7functorIS9_EEEE10hipError_tPvRmT1_T2_T3_mT4_P12ihipStream_tbEUlT_E1_NS1_11comp_targetILNS1_3genE10ELNS1_11target_archE1201ELNS1_3gpuE5ELNS1_3repE0EEENS1_30default_config_static_selectorELNS0_4arch9wavefront6targetE0EEEvS14_,@function
_ZN7rocprim17ROCPRIM_400000_NS6detail17trampoline_kernelINS0_14default_configENS1_22reduce_config_selectorIN6thrust23THRUST_200600_302600_NS5tupleIblNS6_9null_typeES8_S8_S8_S8_S8_S8_S8_EEEEZNS1_11reduce_implILb1ES3_NS6_12zip_iteratorINS7_INS6_11hip_rocprim26transform_input_iterator_tIbNSD_35transform_pair_of_input_iterators_tIbNS6_6detail15normal_iteratorINS6_10device_ptrIKxEEEESL_NS6_8equal_toIxEEEENSG_9not_fun_tINSD_8identityEEEEENSD_19counting_iterator_tIlEES8_S8_S8_S8_S8_S8_S8_S8_EEEEPS9_S9_NSD_9__find_if7functorIS9_EEEE10hipError_tPvRmT1_T2_T3_mT4_P12ihipStream_tbEUlT_E1_NS1_11comp_targetILNS1_3genE10ELNS1_11target_archE1201ELNS1_3gpuE5ELNS1_3repE0EEENS1_30default_config_static_selectorELNS0_4arch9wavefront6targetE0EEEvS14_: ; @_ZN7rocprim17ROCPRIM_400000_NS6detail17trampoline_kernelINS0_14default_configENS1_22reduce_config_selectorIN6thrust23THRUST_200600_302600_NS5tupleIblNS6_9null_typeES8_S8_S8_S8_S8_S8_S8_EEEEZNS1_11reduce_implILb1ES3_NS6_12zip_iteratorINS7_INS6_11hip_rocprim26transform_input_iterator_tIbNSD_35transform_pair_of_input_iterators_tIbNS6_6detail15normal_iteratorINS6_10device_ptrIKxEEEESL_NS6_8equal_toIxEEEENSG_9not_fun_tINSD_8identityEEEEENSD_19counting_iterator_tIlEES8_S8_S8_S8_S8_S8_S8_S8_EEEEPS9_S9_NSD_9__find_if7functorIS9_EEEE10hipError_tPvRmT1_T2_T3_mT4_P12ihipStream_tbEUlT_E1_NS1_11comp_targetILNS1_3genE10ELNS1_11target_archE1201ELNS1_3gpuE5ELNS1_3repE0EEENS1_30default_config_static_selectorELNS0_4arch9wavefront6targetE0EEEvS14_
; %bb.0:
	.section	.rodata,"a",@progbits
	.p2align	6, 0x0
	.amdhsa_kernel _ZN7rocprim17ROCPRIM_400000_NS6detail17trampoline_kernelINS0_14default_configENS1_22reduce_config_selectorIN6thrust23THRUST_200600_302600_NS5tupleIblNS6_9null_typeES8_S8_S8_S8_S8_S8_S8_EEEEZNS1_11reduce_implILb1ES3_NS6_12zip_iteratorINS7_INS6_11hip_rocprim26transform_input_iterator_tIbNSD_35transform_pair_of_input_iterators_tIbNS6_6detail15normal_iteratorINS6_10device_ptrIKxEEEESL_NS6_8equal_toIxEEEENSG_9not_fun_tINSD_8identityEEEEENSD_19counting_iterator_tIlEES8_S8_S8_S8_S8_S8_S8_S8_EEEEPS9_S9_NSD_9__find_if7functorIS9_EEEE10hipError_tPvRmT1_T2_T3_mT4_P12ihipStream_tbEUlT_E1_NS1_11comp_targetILNS1_3genE10ELNS1_11target_archE1201ELNS1_3gpuE5ELNS1_3repE0EEENS1_30default_config_static_selectorELNS0_4arch9wavefront6targetE0EEEvS14_
		.amdhsa_group_segment_fixed_size 0
		.amdhsa_private_segment_fixed_size 0
		.amdhsa_kernarg_size 88
		.amdhsa_user_sgpr_count 15
		.amdhsa_user_sgpr_dispatch_ptr 0
		.amdhsa_user_sgpr_queue_ptr 0
		.amdhsa_user_sgpr_kernarg_segment_ptr 1
		.amdhsa_user_sgpr_dispatch_id 0
		.amdhsa_user_sgpr_private_segment_size 0
		.amdhsa_wavefront_size32 1
		.amdhsa_uses_dynamic_stack 0
		.amdhsa_enable_private_segment 0
		.amdhsa_system_sgpr_workgroup_id_x 1
		.amdhsa_system_sgpr_workgroup_id_y 0
		.amdhsa_system_sgpr_workgroup_id_z 0
		.amdhsa_system_sgpr_workgroup_info 0
		.amdhsa_system_vgpr_workitem_id 0
		.amdhsa_next_free_vgpr 1
		.amdhsa_next_free_sgpr 1
		.amdhsa_reserve_vcc 0
		.amdhsa_float_round_mode_32 0
		.amdhsa_float_round_mode_16_64 0
		.amdhsa_float_denorm_mode_32 3
		.amdhsa_float_denorm_mode_16_64 3
		.amdhsa_dx10_clamp 1
		.amdhsa_ieee_mode 1
		.amdhsa_fp16_overflow 0
		.amdhsa_workgroup_processor_mode 1
		.amdhsa_memory_ordered 1
		.amdhsa_forward_progress 0
		.amdhsa_shared_vgpr_count 0
		.amdhsa_exception_fp_ieee_invalid_op 0
		.amdhsa_exception_fp_denorm_src 0
		.amdhsa_exception_fp_ieee_div_zero 0
		.amdhsa_exception_fp_ieee_overflow 0
		.amdhsa_exception_fp_ieee_underflow 0
		.amdhsa_exception_fp_ieee_inexact 0
		.amdhsa_exception_int_div_zero 0
	.end_amdhsa_kernel
	.section	.text._ZN7rocprim17ROCPRIM_400000_NS6detail17trampoline_kernelINS0_14default_configENS1_22reduce_config_selectorIN6thrust23THRUST_200600_302600_NS5tupleIblNS6_9null_typeES8_S8_S8_S8_S8_S8_S8_EEEEZNS1_11reduce_implILb1ES3_NS6_12zip_iteratorINS7_INS6_11hip_rocprim26transform_input_iterator_tIbNSD_35transform_pair_of_input_iterators_tIbNS6_6detail15normal_iteratorINS6_10device_ptrIKxEEEESL_NS6_8equal_toIxEEEENSG_9not_fun_tINSD_8identityEEEEENSD_19counting_iterator_tIlEES8_S8_S8_S8_S8_S8_S8_S8_EEEEPS9_S9_NSD_9__find_if7functorIS9_EEEE10hipError_tPvRmT1_T2_T3_mT4_P12ihipStream_tbEUlT_E1_NS1_11comp_targetILNS1_3genE10ELNS1_11target_archE1201ELNS1_3gpuE5ELNS1_3repE0EEENS1_30default_config_static_selectorELNS0_4arch9wavefront6targetE0EEEvS14_,"axG",@progbits,_ZN7rocprim17ROCPRIM_400000_NS6detail17trampoline_kernelINS0_14default_configENS1_22reduce_config_selectorIN6thrust23THRUST_200600_302600_NS5tupleIblNS6_9null_typeES8_S8_S8_S8_S8_S8_S8_EEEEZNS1_11reduce_implILb1ES3_NS6_12zip_iteratorINS7_INS6_11hip_rocprim26transform_input_iterator_tIbNSD_35transform_pair_of_input_iterators_tIbNS6_6detail15normal_iteratorINS6_10device_ptrIKxEEEESL_NS6_8equal_toIxEEEENSG_9not_fun_tINSD_8identityEEEEENSD_19counting_iterator_tIlEES8_S8_S8_S8_S8_S8_S8_S8_EEEEPS9_S9_NSD_9__find_if7functorIS9_EEEE10hipError_tPvRmT1_T2_T3_mT4_P12ihipStream_tbEUlT_E1_NS1_11comp_targetILNS1_3genE10ELNS1_11target_archE1201ELNS1_3gpuE5ELNS1_3repE0EEENS1_30default_config_static_selectorELNS0_4arch9wavefront6targetE0EEEvS14_,comdat
.Lfunc_end533:
	.size	_ZN7rocprim17ROCPRIM_400000_NS6detail17trampoline_kernelINS0_14default_configENS1_22reduce_config_selectorIN6thrust23THRUST_200600_302600_NS5tupleIblNS6_9null_typeES8_S8_S8_S8_S8_S8_S8_EEEEZNS1_11reduce_implILb1ES3_NS6_12zip_iteratorINS7_INS6_11hip_rocprim26transform_input_iterator_tIbNSD_35transform_pair_of_input_iterators_tIbNS6_6detail15normal_iteratorINS6_10device_ptrIKxEEEESL_NS6_8equal_toIxEEEENSG_9not_fun_tINSD_8identityEEEEENSD_19counting_iterator_tIlEES8_S8_S8_S8_S8_S8_S8_S8_EEEEPS9_S9_NSD_9__find_if7functorIS9_EEEE10hipError_tPvRmT1_T2_T3_mT4_P12ihipStream_tbEUlT_E1_NS1_11comp_targetILNS1_3genE10ELNS1_11target_archE1201ELNS1_3gpuE5ELNS1_3repE0EEENS1_30default_config_static_selectorELNS0_4arch9wavefront6targetE0EEEvS14_, .Lfunc_end533-_ZN7rocprim17ROCPRIM_400000_NS6detail17trampoline_kernelINS0_14default_configENS1_22reduce_config_selectorIN6thrust23THRUST_200600_302600_NS5tupleIblNS6_9null_typeES8_S8_S8_S8_S8_S8_S8_EEEEZNS1_11reduce_implILb1ES3_NS6_12zip_iteratorINS7_INS6_11hip_rocprim26transform_input_iterator_tIbNSD_35transform_pair_of_input_iterators_tIbNS6_6detail15normal_iteratorINS6_10device_ptrIKxEEEESL_NS6_8equal_toIxEEEENSG_9not_fun_tINSD_8identityEEEEENSD_19counting_iterator_tIlEES8_S8_S8_S8_S8_S8_S8_S8_EEEEPS9_S9_NSD_9__find_if7functorIS9_EEEE10hipError_tPvRmT1_T2_T3_mT4_P12ihipStream_tbEUlT_E1_NS1_11comp_targetILNS1_3genE10ELNS1_11target_archE1201ELNS1_3gpuE5ELNS1_3repE0EEENS1_30default_config_static_selectorELNS0_4arch9wavefront6targetE0EEEvS14_
                                        ; -- End function
	.section	.AMDGPU.csdata,"",@progbits
; Kernel info:
; codeLenInByte = 0
; NumSgprs: 0
; NumVgprs: 0
; ScratchSize: 0
; MemoryBound: 0
; FloatMode: 240
; IeeeMode: 1
; LDSByteSize: 0 bytes/workgroup (compile time only)
; SGPRBlocks: 0
; VGPRBlocks: 0
; NumSGPRsForWavesPerEU: 1
; NumVGPRsForWavesPerEU: 1
; Occupancy: 16
; WaveLimiterHint : 0
; COMPUTE_PGM_RSRC2:SCRATCH_EN: 0
; COMPUTE_PGM_RSRC2:USER_SGPR: 15
; COMPUTE_PGM_RSRC2:TRAP_HANDLER: 0
; COMPUTE_PGM_RSRC2:TGID_X_EN: 1
; COMPUTE_PGM_RSRC2:TGID_Y_EN: 0
; COMPUTE_PGM_RSRC2:TGID_Z_EN: 0
; COMPUTE_PGM_RSRC2:TIDIG_COMP_CNT: 0
	.section	.text._ZN7rocprim17ROCPRIM_400000_NS6detail17trampoline_kernelINS0_14default_configENS1_22reduce_config_selectorIN6thrust23THRUST_200600_302600_NS5tupleIblNS6_9null_typeES8_S8_S8_S8_S8_S8_S8_EEEEZNS1_11reduce_implILb1ES3_NS6_12zip_iteratorINS7_INS6_11hip_rocprim26transform_input_iterator_tIbNSD_35transform_pair_of_input_iterators_tIbNS6_6detail15normal_iteratorINS6_10device_ptrIKxEEEESL_NS6_8equal_toIxEEEENSG_9not_fun_tINSD_8identityEEEEENSD_19counting_iterator_tIlEES8_S8_S8_S8_S8_S8_S8_S8_EEEEPS9_S9_NSD_9__find_if7functorIS9_EEEE10hipError_tPvRmT1_T2_T3_mT4_P12ihipStream_tbEUlT_E1_NS1_11comp_targetILNS1_3genE10ELNS1_11target_archE1200ELNS1_3gpuE4ELNS1_3repE0EEENS1_30default_config_static_selectorELNS0_4arch9wavefront6targetE0EEEvS14_,"axG",@progbits,_ZN7rocprim17ROCPRIM_400000_NS6detail17trampoline_kernelINS0_14default_configENS1_22reduce_config_selectorIN6thrust23THRUST_200600_302600_NS5tupleIblNS6_9null_typeES8_S8_S8_S8_S8_S8_S8_EEEEZNS1_11reduce_implILb1ES3_NS6_12zip_iteratorINS7_INS6_11hip_rocprim26transform_input_iterator_tIbNSD_35transform_pair_of_input_iterators_tIbNS6_6detail15normal_iteratorINS6_10device_ptrIKxEEEESL_NS6_8equal_toIxEEEENSG_9not_fun_tINSD_8identityEEEEENSD_19counting_iterator_tIlEES8_S8_S8_S8_S8_S8_S8_S8_EEEEPS9_S9_NSD_9__find_if7functorIS9_EEEE10hipError_tPvRmT1_T2_T3_mT4_P12ihipStream_tbEUlT_E1_NS1_11comp_targetILNS1_3genE10ELNS1_11target_archE1200ELNS1_3gpuE4ELNS1_3repE0EEENS1_30default_config_static_selectorELNS0_4arch9wavefront6targetE0EEEvS14_,comdat
	.protected	_ZN7rocprim17ROCPRIM_400000_NS6detail17trampoline_kernelINS0_14default_configENS1_22reduce_config_selectorIN6thrust23THRUST_200600_302600_NS5tupleIblNS6_9null_typeES8_S8_S8_S8_S8_S8_S8_EEEEZNS1_11reduce_implILb1ES3_NS6_12zip_iteratorINS7_INS6_11hip_rocprim26transform_input_iterator_tIbNSD_35transform_pair_of_input_iterators_tIbNS6_6detail15normal_iteratorINS6_10device_ptrIKxEEEESL_NS6_8equal_toIxEEEENSG_9not_fun_tINSD_8identityEEEEENSD_19counting_iterator_tIlEES8_S8_S8_S8_S8_S8_S8_S8_EEEEPS9_S9_NSD_9__find_if7functorIS9_EEEE10hipError_tPvRmT1_T2_T3_mT4_P12ihipStream_tbEUlT_E1_NS1_11comp_targetILNS1_3genE10ELNS1_11target_archE1200ELNS1_3gpuE4ELNS1_3repE0EEENS1_30default_config_static_selectorELNS0_4arch9wavefront6targetE0EEEvS14_ ; -- Begin function _ZN7rocprim17ROCPRIM_400000_NS6detail17trampoline_kernelINS0_14default_configENS1_22reduce_config_selectorIN6thrust23THRUST_200600_302600_NS5tupleIblNS6_9null_typeES8_S8_S8_S8_S8_S8_S8_EEEEZNS1_11reduce_implILb1ES3_NS6_12zip_iteratorINS7_INS6_11hip_rocprim26transform_input_iterator_tIbNSD_35transform_pair_of_input_iterators_tIbNS6_6detail15normal_iteratorINS6_10device_ptrIKxEEEESL_NS6_8equal_toIxEEEENSG_9not_fun_tINSD_8identityEEEEENSD_19counting_iterator_tIlEES8_S8_S8_S8_S8_S8_S8_S8_EEEEPS9_S9_NSD_9__find_if7functorIS9_EEEE10hipError_tPvRmT1_T2_T3_mT4_P12ihipStream_tbEUlT_E1_NS1_11comp_targetILNS1_3genE10ELNS1_11target_archE1200ELNS1_3gpuE4ELNS1_3repE0EEENS1_30default_config_static_selectorELNS0_4arch9wavefront6targetE0EEEvS14_
	.globl	_ZN7rocprim17ROCPRIM_400000_NS6detail17trampoline_kernelINS0_14default_configENS1_22reduce_config_selectorIN6thrust23THRUST_200600_302600_NS5tupleIblNS6_9null_typeES8_S8_S8_S8_S8_S8_S8_EEEEZNS1_11reduce_implILb1ES3_NS6_12zip_iteratorINS7_INS6_11hip_rocprim26transform_input_iterator_tIbNSD_35transform_pair_of_input_iterators_tIbNS6_6detail15normal_iteratorINS6_10device_ptrIKxEEEESL_NS6_8equal_toIxEEEENSG_9not_fun_tINSD_8identityEEEEENSD_19counting_iterator_tIlEES8_S8_S8_S8_S8_S8_S8_S8_EEEEPS9_S9_NSD_9__find_if7functorIS9_EEEE10hipError_tPvRmT1_T2_T3_mT4_P12ihipStream_tbEUlT_E1_NS1_11comp_targetILNS1_3genE10ELNS1_11target_archE1200ELNS1_3gpuE4ELNS1_3repE0EEENS1_30default_config_static_selectorELNS0_4arch9wavefront6targetE0EEEvS14_
	.p2align	8
	.type	_ZN7rocprim17ROCPRIM_400000_NS6detail17trampoline_kernelINS0_14default_configENS1_22reduce_config_selectorIN6thrust23THRUST_200600_302600_NS5tupleIblNS6_9null_typeES8_S8_S8_S8_S8_S8_S8_EEEEZNS1_11reduce_implILb1ES3_NS6_12zip_iteratorINS7_INS6_11hip_rocprim26transform_input_iterator_tIbNSD_35transform_pair_of_input_iterators_tIbNS6_6detail15normal_iteratorINS6_10device_ptrIKxEEEESL_NS6_8equal_toIxEEEENSG_9not_fun_tINSD_8identityEEEEENSD_19counting_iterator_tIlEES8_S8_S8_S8_S8_S8_S8_S8_EEEEPS9_S9_NSD_9__find_if7functorIS9_EEEE10hipError_tPvRmT1_T2_T3_mT4_P12ihipStream_tbEUlT_E1_NS1_11comp_targetILNS1_3genE10ELNS1_11target_archE1200ELNS1_3gpuE4ELNS1_3repE0EEENS1_30default_config_static_selectorELNS0_4arch9wavefront6targetE0EEEvS14_,@function
_ZN7rocprim17ROCPRIM_400000_NS6detail17trampoline_kernelINS0_14default_configENS1_22reduce_config_selectorIN6thrust23THRUST_200600_302600_NS5tupleIblNS6_9null_typeES8_S8_S8_S8_S8_S8_S8_EEEEZNS1_11reduce_implILb1ES3_NS6_12zip_iteratorINS7_INS6_11hip_rocprim26transform_input_iterator_tIbNSD_35transform_pair_of_input_iterators_tIbNS6_6detail15normal_iteratorINS6_10device_ptrIKxEEEESL_NS6_8equal_toIxEEEENSG_9not_fun_tINSD_8identityEEEEENSD_19counting_iterator_tIlEES8_S8_S8_S8_S8_S8_S8_S8_EEEEPS9_S9_NSD_9__find_if7functorIS9_EEEE10hipError_tPvRmT1_T2_T3_mT4_P12ihipStream_tbEUlT_E1_NS1_11comp_targetILNS1_3genE10ELNS1_11target_archE1200ELNS1_3gpuE4ELNS1_3repE0EEENS1_30default_config_static_selectorELNS0_4arch9wavefront6targetE0EEEvS14_: ; @_ZN7rocprim17ROCPRIM_400000_NS6detail17trampoline_kernelINS0_14default_configENS1_22reduce_config_selectorIN6thrust23THRUST_200600_302600_NS5tupleIblNS6_9null_typeES8_S8_S8_S8_S8_S8_S8_EEEEZNS1_11reduce_implILb1ES3_NS6_12zip_iteratorINS7_INS6_11hip_rocprim26transform_input_iterator_tIbNSD_35transform_pair_of_input_iterators_tIbNS6_6detail15normal_iteratorINS6_10device_ptrIKxEEEESL_NS6_8equal_toIxEEEENSG_9not_fun_tINSD_8identityEEEEENSD_19counting_iterator_tIlEES8_S8_S8_S8_S8_S8_S8_S8_EEEEPS9_S9_NSD_9__find_if7functorIS9_EEEE10hipError_tPvRmT1_T2_T3_mT4_P12ihipStream_tbEUlT_E1_NS1_11comp_targetILNS1_3genE10ELNS1_11target_archE1200ELNS1_3gpuE4ELNS1_3repE0EEENS1_30default_config_static_selectorELNS0_4arch9wavefront6targetE0EEEvS14_
; %bb.0:
	.section	.rodata,"a",@progbits
	.p2align	6, 0x0
	.amdhsa_kernel _ZN7rocprim17ROCPRIM_400000_NS6detail17trampoline_kernelINS0_14default_configENS1_22reduce_config_selectorIN6thrust23THRUST_200600_302600_NS5tupleIblNS6_9null_typeES8_S8_S8_S8_S8_S8_S8_EEEEZNS1_11reduce_implILb1ES3_NS6_12zip_iteratorINS7_INS6_11hip_rocprim26transform_input_iterator_tIbNSD_35transform_pair_of_input_iterators_tIbNS6_6detail15normal_iteratorINS6_10device_ptrIKxEEEESL_NS6_8equal_toIxEEEENSG_9not_fun_tINSD_8identityEEEEENSD_19counting_iterator_tIlEES8_S8_S8_S8_S8_S8_S8_S8_EEEEPS9_S9_NSD_9__find_if7functorIS9_EEEE10hipError_tPvRmT1_T2_T3_mT4_P12ihipStream_tbEUlT_E1_NS1_11comp_targetILNS1_3genE10ELNS1_11target_archE1200ELNS1_3gpuE4ELNS1_3repE0EEENS1_30default_config_static_selectorELNS0_4arch9wavefront6targetE0EEEvS14_
		.amdhsa_group_segment_fixed_size 0
		.amdhsa_private_segment_fixed_size 0
		.amdhsa_kernarg_size 88
		.amdhsa_user_sgpr_count 15
		.amdhsa_user_sgpr_dispatch_ptr 0
		.amdhsa_user_sgpr_queue_ptr 0
		.amdhsa_user_sgpr_kernarg_segment_ptr 1
		.amdhsa_user_sgpr_dispatch_id 0
		.amdhsa_user_sgpr_private_segment_size 0
		.amdhsa_wavefront_size32 1
		.amdhsa_uses_dynamic_stack 0
		.amdhsa_enable_private_segment 0
		.amdhsa_system_sgpr_workgroup_id_x 1
		.amdhsa_system_sgpr_workgroup_id_y 0
		.amdhsa_system_sgpr_workgroup_id_z 0
		.amdhsa_system_sgpr_workgroup_info 0
		.amdhsa_system_vgpr_workitem_id 0
		.amdhsa_next_free_vgpr 1
		.amdhsa_next_free_sgpr 1
		.amdhsa_reserve_vcc 0
		.amdhsa_float_round_mode_32 0
		.amdhsa_float_round_mode_16_64 0
		.amdhsa_float_denorm_mode_32 3
		.amdhsa_float_denorm_mode_16_64 3
		.amdhsa_dx10_clamp 1
		.amdhsa_ieee_mode 1
		.amdhsa_fp16_overflow 0
		.amdhsa_workgroup_processor_mode 1
		.amdhsa_memory_ordered 1
		.amdhsa_forward_progress 0
		.amdhsa_shared_vgpr_count 0
		.amdhsa_exception_fp_ieee_invalid_op 0
		.amdhsa_exception_fp_denorm_src 0
		.amdhsa_exception_fp_ieee_div_zero 0
		.amdhsa_exception_fp_ieee_overflow 0
		.amdhsa_exception_fp_ieee_underflow 0
		.amdhsa_exception_fp_ieee_inexact 0
		.amdhsa_exception_int_div_zero 0
	.end_amdhsa_kernel
	.section	.text._ZN7rocprim17ROCPRIM_400000_NS6detail17trampoline_kernelINS0_14default_configENS1_22reduce_config_selectorIN6thrust23THRUST_200600_302600_NS5tupleIblNS6_9null_typeES8_S8_S8_S8_S8_S8_S8_EEEEZNS1_11reduce_implILb1ES3_NS6_12zip_iteratorINS7_INS6_11hip_rocprim26transform_input_iterator_tIbNSD_35transform_pair_of_input_iterators_tIbNS6_6detail15normal_iteratorINS6_10device_ptrIKxEEEESL_NS6_8equal_toIxEEEENSG_9not_fun_tINSD_8identityEEEEENSD_19counting_iterator_tIlEES8_S8_S8_S8_S8_S8_S8_S8_EEEEPS9_S9_NSD_9__find_if7functorIS9_EEEE10hipError_tPvRmT1_T2_T3_mT4_P12ihipStream_tbEUlT_E1_NS1_11comp_targetILNS1_3genE10ELNS1_11target_archE1200ELNS1_3gpuE4ELNS1_3repE0EEENS1_30default_config_static_selectorELNS0_4arch9wavefront6targetE0EEEvS14_,"axG",@progbits,_ZN7rocprim17ROCPRIM_400000_NS6detail17trampoline_kernelINS0_14default_configENS1_22reduce_config_selectorIN6thrust23THRUST_200600_302600_NS5tupleIblNS6_9null_typeES8_S8_S8_S8_S8_S8_S8_EEEEZNS1_11reduce_implILb1ES3_NS6_12zip_iteratorINS7_INS6_11hip_rocprim26transform_input_iterator_tIbNSD_35transform_pair_of_input_iterators_tIbNS6_6detail15normal_iteratorINS6_10device_ptrIKxEEEESL_NS6_8equal_toIxEEEENSG_9not_fun_tINSD_8identityEEEEENSD_19counting_iterator_tIlEES8_S8_S8_S8_S8_S8_S8_S8_EEEEPS9_S9_NSD_9__find_if7functorIS9_EEEE10hipError_tPvRmT1_T2_T3_mT4_P12ihipStream_tbEUlT_E1_NS1_11comp_targetILNS1_3genE10ELNS1_11target_archE1200ELNS1_3gpuE4ELNS1_3repE0EEENS1_30default_config_static_selectorELNS0_4arch9wavefront6targetE0EEEvS14_,comdat
.Lfunc_end534:
	.size	_ZN7rocprim17ROCPRIM_400000_NS6detail17trampoline_kernelINS0_14default_configENS1_22reduce_config_selectorIN6thrust23THRUST_200600_302600_NS5tupleIblNS6_9null_typeES8_S8_S8_S8_S8_S8_S8_EEEEZNS1_11reduce_implILb1ES3_NS6_12zip_iteratorINS7_INS6_11hip_rocprim26transform_input_iterator_tIbNSD_35transform_pair_of_input_iterators_tIbNS6_6detail15normal_iteratorINS6_10device_ptrIKxEEEESL_NS6_8equal_toIxEEEENSG_9not_fun_tINSD_8identityEEEEENSD_19counting_iterator_tIlEES8_S8_S8_S8_S8_S8_S8_S8_EEEEPS9_S9_NSD_9__find_if7functorIS9_EEEE10hipError_tPvRmT1_T2_T3_mT4_P12ihipStream_tbEUlT_E1_NS1_11comp_targetILNS1_3genE10ELNS1_11target_archE1200ELNS1_3gpuE4ELNS1_3repE0EEENS1_30default_config_static_selectorELNS0_4arch9wavefront6targetE0EEEvS14_, .Lfunc_end534-_ZN7rocprim17ROCPRIM_400000_NS6detail17trampoline_kernelINS0_14default_configENS1_22reduce_config_selectorIN6thrust23THRUST_200600_302600_NS5tupleIblNS6_9null_typeES8_S8_S8_S8_S8_S8_S8_EEEEZNS1_11reduce_implILb1ES3_NS6_12zip_iteratorINS7_INS6_11hip_rocprim26transform_input_iterator_tIbNSD_35transform_pair_of_input_iterators_tIbNS6_6detail15normal_iteratorINS6_10device_ptrIKxEEEESL_NS6_8equal_toIxEEEENSG_9not_fun_tINSD_8identityEEEEENSD_19counting_iterator_tIlEES8_S8_S8_S8_S8_S8_S8_S8_EEEEPS9_S9_NSD_9__find_if7functorIS9_EEEE10hipError_tPvRmT1_T2_T3_mT4_P12ihipStream_tbEUlT_E1_NS1_11comp_targetILNS1_3genE10ELNS1_11target_archE1200ELNS1_3gpuE4ELNS1_3repE0EEENS1_30default_config_static_selectorELNS0_4arch9wavefront6targetE0EEEvS14_
                                        ; -- End function
	.section	.AMDGPU.csdata,"",@progbits
; Kernel info:
; codeLenInByte = 0
; NumSgprs: 0
; NumVgprs: 0
; ScratchSize: 0
; MemoryBound: 0
; FloatMode: 240
; IeeeMode: 1
; LDSByteSize: 0 bytes/workgroup (compile time only)
; SGPRBlocks: 0
; VGPRBlocks: 0
; NumSGPRsForWavesPerEU: 1
; NumVGPRsForWavesPerEU: 1
; Occupancy: 16
; WaveLimiterHint : 0
; COMPUTE_PGM_RSRC2:SCRATCH_EN: 0
; COMPUTE_PGM_RSRC2:USER_SGPR: 15
; COMPUTE_PGM_RSRC2:TRAP_HANDLER: 0
; COMPUTE_PGM_RSRC2:TGID_X_EN: 1
; COMPUTE_PGM_RSRC2:TGID_Y_EN: 0
; COMPUTE_PGM_RSRC2:TGID_Z_EN: 0
; COMPUTE_PGM_RSRC2:TIDIG_COMP_CNT: 0
	.section	.text._ZN7rocprim17ROCPRIM_400000_NS6detail17trampoline_kernelINS0_14default_configENS1_22reduce_config_selectorIN6thrust23THRUST_200600_302600_NS5tupleIblNS6_9null_typeES8_S8_S8_S8_S8_S8_S8_EEEEZNS1_11reduce_implILb1ES3_NS6_12zip_iteratorINS7_INS6_11hip_rocprim26transform_input_iterator_tIbNSD_35transform_pair_of_input_iterators_tIbNS6_6detail15normal_iteratorINS6_10device_ptrIKxEEEESL_NS6_8equal_toIxEEEENSG_9not_fun_tINSD_8identityEEEEENSD_19counting_iterator_tIlEES8_S8_S8_S8_S8_S8_S8_S8_EEEEPS9_S9_NSD_9__find_if7functorIS9_EEEE10hipError_tPvRmT1_T2_T3_mT4_P12ihipStream_tbEUlT_E1_NS1_11comp_targetILNS1_3genE9ELNS1_11target_archE1100ELNS1_3gpuE3ELNS1_3repE0EEENS1_30default_config_static_selectorELNS0_4arch9wavefront6targetE0EEEvS14_,"axG",@progbits,_ZN7rocprim17ROCPRIM_400000_NS6detail17trampoline_kernelINS0_14default_configENS1_22reduce_config_selectorIN6thrust23THRUST_200600_302600_NS5tupleIblNS6_9null_typeES8_S8_S8_S8_S8_S8_S8_EEEEZNS1_11reduce_implILb1ES3_NS6_12zip_iteratorINS7_INS6_11hip_rocprim26transform_input_iterator_tIbNSD_35transform_pair_of_input_iterators_tIbNS6_6detail15normal_iteratorINS6_10device_ptrIKxEEEESL_NS6_8equal_toIxEEEENSG_9not_fun_tINSD_8identityEEEEENSD_19counting_iterator_tIlEES8_S8_S8_S8_S8_S8_S8_S8_EEEEPS9_S9_NSD_9__find_if7functorIS9_EEEE10hipError_tPvRmT1_T2_T3_mT4_P12ihipStream_tbEUlT_E1_NS1_11comp_targetILNS1_3genE9ELNS1_11target_archE1100ELNS1_3gpuE3ELNS1_3repE0EEENS1_30default_config_static_selectorELNS0_4arch9wavefront6targetE0EEEvS14_,comdat
	.protected	_ZN7rocprim17ROCPRIM_400000_NS6detail17trampoline_kernelINS0_14default_configENS1_22reduce_config_selectorIN6thrust23THRUST_200600_302600_NS5tupleIblNS6_9null_typeES8_S8_S8_S8_S8_S8_S8_EEEEZNS1_11reduce_implILb1ES3_NS6_12zip_iteratorINS7_INS6_11hip_rocprim26transform_input_iterator_tIbNSD_35transform_pair_of_input_iterators_tIbNS6_6detail15normal_iteratorINS6_10device_ptrIKxEEEESL_NS6_8equal_toIxEEEENSG_9not_fun_tINSD_8identityEEEEENSD_19counting_iterator_tIlEES8_S8_S8_S8_S8_S8_S8_S8_EEEEPS9_S9_NSD_9__find_if7functorIS9_EEEE10hipError_tPvRmT1_T2_T3_mT4_P12ihipStream_tbEUlT_E1_NS1_11comp_targetILNS1_3genE9ELNS1_11target_archE1100ELNS1_3gpuE3ELNS1_3repE0EEENS1_30default_config_static_selectorELNS0_4arch9wavefront6targetE0EEEvS14_ ; -- Begin function _ZN7rocprim17ROCPRIM_400000_NS6detail17trampoline_kernelINS0_14default_configENS1_22reduce_config_selectorIN6thrust23THRUST_200600_302600_NS5tupleIblNS6_9null_typeES8_S8_S8_S8_S8_S8_S8_EEEEZNS1_11reduce_implILb1ES3_NS6_12zip_iteratorINS7_INS6_11hip_rocprim26transform_input_iterator_tIbNSD_35transform_pair_of_input_iterators_tIbNS6_6detail15normal_iteratorINS6_10device_ptrIKxEEEESL_NS6_8equal_toIxEEEENSG_9not_fun_tINSD_8identityEEEEENSD_19counting_iterator_tIlEES8_S8_S8_S8_S8_S8_S8_S8_EEEEPS9_S9_NSD_9__find_if7functorIS9_EEEE10hipError_tPvRmT1_T2_T3_mT4_P12ihipStream_tbEUlT_E1_NS1_11comp_targetILNS1_3genE9ELNS1_11target_archE1100ELNS1_3gpuE3ELNS1_3repE0EEENS1_30default_config_static_selectorELNS0_4arch9wavefront6targetE0EEEvS14_
	.globl	_ZN7rocprim17ROCPRIM_400000_NS6detail17trampoline_kernelINS0_14default_configENS1_22reduce_config_selectorIN6thrust23THRUST_200600_302600_NS5tupleIblNS6_9null_typeES8_S8_S8_S8_S8_S8_S8_EEEEZNS1_11reduce_implILb1ES3_NS6_12zip_iteratorINS7_INS6_11hip_rocprim26transform_input_iterator_tIbNSD_35transform_pair_of_input_iterators_tIbNS6_6detail15normal_iteratorINS6_10device_ptrIKxEEEESL_NS6_8equal_toIxEEEENSG_9not_fun_tINSD_8identityEEEEENSD_19counting_iterator_tIlEES8_S8_S8_S8_S8_S8_S8_S8_EEEEPS9_S9_NSD_9__find_if7functorIS9_EEEE10hipError_tPvRmT1_T2_T3_mT4_P12ihipStream_tbEUlT_E1_NS1_11comp_targetILNS1_3genE9ELNS1_11target_archE1100ELNS1_3gpuE3ELNS1_3repE0EEENS1_30default_config_static_selectorELNS0_4arch9wavefront6targetE0EEEvS14_
	.p2align	8
	.type	_ZN7rocprim17ROCPRIM_400000_NS6detail17trampoline_kernelINS0_14default_configENS1_22reduce_config_selectorIN6thrust23THRUST_200600_302600_NS5tupleIblNS6_9null_typeES8_S8_S8_S8_S8_S8_S8_EEEEZNS1_11reduce_implILb1ES3_NS6_12zip_iteratorINS7_INS6_11hip_rocprim26transform_input_iterator_tIbNSD_35transform_pair_of_input_iterators_tIbNS6_6detail15normal_iteratorINS6_10device_ptrIKxEEEESL_NS6_8equal_toIxEEEENSG_9not_fun_tINSD_8identityEEEEENSD_19counting_iterator_tIlEES8_S8_S8_S8_S8_S8_S8_S8_EEEEPS9_S9_NSD_9__find_if7functorIS9_EEEE10hipError_tPvRmT1_T2_T3_mT4_P12ihipStream_tbEUlT_E1_NS1_11comp_targetILNS1_3genE9ELNS1_11target_archE1100ELNS1_3gpuE3ELNS1_3repE0EEENS1_30default_config_static_selectorELNS0_4arch9wavefront6targetE0EEEvS14_,@function
_ZN7rocprim17ROCPRIM_400000_NS6detail17trampoline_kernelINS0_14default_configENS1_22reduce_config_selectorIN6thrust23THRUST_200600_302600_NS5tupleIblNS6_9null_typeES8_S8_S8_S8_S8_S8_S8_EEEEZNS1_11reduce_implILb1ES3_NS6_12zip_iteratorINS7_INS6_11hip_rocprim26transform_input_iterator_tIbNSD_35transform_pair_of_input_iterators_tIbNS6_6detail15normal_iteratorINS6_10device_ptrIKxEEEESL_NS6_8equal_toIxEEEENSG_9not_fun_tINSD_8identityEEEEENSD_19counting_iterator_tIlEES8_S8_S8_S8_S8_S8_S8_S8_EEEEPS9_S9_NSD_9__find_if7functorIS9_EEEE10hipError_tPvRmT1_T2_T3_mT4_P12ihipStream_tbEUlT_E1_NS1_11comp_targetILNS1_3genE9ELNS1_11target_archE1100ELNS1_3gpuE3ELNS1_3repE0EEENS1_30default_config_static_selectorELNS0_4arch9wavefront6targetE0EEEvS14_: ; @_ZN7rocprim17ROCPRIM_400000_NS6detail17trampoline_kernelINS0_14default_configENS1_22reduce_config_selectorIN6thrust23THRUST_200600_302600_NS5tupleIblNS6_9null_typeES8_S8_S8_S8_S8_S8_S8_EEEEZNS1_11reduce_implILb1ES3_NS6_12zip_iteratorINS7_INS6_11hip_rocprim26transform_input_iterator_tIbNSD_35transform_pair_of_input_iterators_tIbNS6_6detail15normal_iteratorINS6_10device_ptrIKxEEEESL_NS6_8equal_toIxEEEENSG_9not_fun_tINSD_8identityEEEEENSD_19counting_iterator_tIlEES8_S8_S8_S8_S8_S8_S8_S8_EEEEPS9_S9_NSD_9__find_if7functorIS9_EEEE10hipError_tPvRmT1_T2_T3_mT4_P12ihipStream_tbEUlT_E1_NS1_11comp_targetILNS1_3genE9ELNS1_11target_archE1100ELNS1_3gpuE3ELNS1_3repE0EEENS1_30default_config_static_selectorELNS0_4arch9wavefront6targetE0EEEvS14_
; %bb.0:
	s_mov_b32 s10, s15
	s_clause 0x4
	s_load_b32 s25, s[0:1], 0x4
	s_load_b128 s[16:19], s[0:1], 0x8
	s_load_b128 s[12:15], s[0:1], 0x28
	s_load_b32 s24, s[0:1], 0x40
	s_load_b64 s[20:21], s[0:1], 0x48
	s_waitcnt lgkmcnt(0)
	s_cmp_lt_i32 s25, 4
	s_cbranch_scc1 .LBB535_19
; %bb.1:
	s_cmp_gt_i32 s25, 7
	s_cbranch_scc0 .LBB535_20
; %bb.2:
	s_cmp_eq_u32 s25, 8
	s_mov_b32 s27, 0
	s_cbranch_scc0 .LBB535_21
; %bb.3:
	s_mov_b32 s11, 0
	s_lshl_b32 s6, s10, 11
	s_mov_b32 s7, s11
	s_lshr_b64 s[4:5], s[14:15], 11
	s_lshl_b64 s[2:3], s[6:7], 3
	s_delay_alu instid0(SALU_CYCLE_1)
	s_add_u32 s8, s16, s2
	s_addc_u32 s9, s17, s3
	s_add_u32 s22, s18, s2
	s_addc_u32 s23, s19, s3
	;; [unrolled: 2-line block ×3, first 2 shown]
	s_cmp_lg_u64 s[4:5], s[10:11]
	s_cbranch_scc0 .LBB535_40
; %bb.4:
	v_lshlrev_b32_e32 v7, 3, v0
	v_mov_b32_e32 v33, 0x100
	s_delay_alu instid0(VALU_DEP_2) | instskip(NEXT) | instid1(VALU_DEP_1)
	v_add_co_u32 v27, s2, s8, v7
	v_add_co_ci_u32_e64 v28, null, s9, 0, s2
	v_add_co_u32 v25, s2, s22, v7
	s_delay_alu instid0(VALU_DEP_3) | instskip(NEXT) | instid1(VALU_DEP_3)
	v_add_co_u32 v9, vcc_lo, 0x1000, v27
	v_add_co_ci_u32_e32 v10, vcc_lo, 0, v28, vcc_lo
	v_add_co_ci_u32_e64 v26, null, s23, 0, s2
	v_add_co_u32 v11, vcc_lo, v27, 0x2000
	v_add_co_ci_u32_e32 v12, vcc_lo, 0, v28, vcc_lo
	s_clause 0x3
	global_load_b64 v[1:2], v7, s[8:9]
	global_load_b64 v[3:4], v7, s[22:23] offset:2048
	global_load_b64 v[5:6], v7, s[22:23]
	global_load_b64 v[7:8], v7, s[8:9] offset:2048
	v_add_co_u32 v13, vcc_lo, 0x1000, v25
	v_add_co_ci_u32_e32 v14, vcc_lo, 0, v26, vcc_lo
	v_add_co_u32 v15, vcc_lo, v25, 0x2000
	v_add_co_ci_u32_e32 v16, vcc_lo, 0, v26, vcc_lo
	;; [unrolled: 2-line block ×3, first 2 shown]
	v_add_co_u32 v21, vcc_lo, 0x2000, v25
	global_load_b64 v[9:10], v[9:10], off offset:2048
	global_load_b64 v[13:14], v[13:14], off offset:2048
	v_add_co_ci_u32_e32 v22, vcc_lo, 0, v26, vcc_lo
	v_add_co_u32 v25, vcc_lo, 0x3000, v25
	v_add_co_ci_u32_e32 v26, vcc_lo, 0, v26, vcc_lo
	s_clause 0x1
	global_load_b64 v[19:20], v[11:12], off offset:-4096
	global_load_b64 v[11:12], v[11:12], off
	v_add_co_u32 v27, vcc_lo, 0x3000, v27
	s_clause 0x1
	global_load_b64 v[23:24], v[15:16], off offset:-4096
	global_load_b64 v[15:16], v[15:16], off
	global_load_b64 v[17:18], v[17:18], off offset:2048
	v_add_co_ci_u32_e32 v28, vcc_lo, 0, v28, vcc_lo
	s_clause 0x1
	global_load_b64 v[21:22], v[21:22], off offset:2048
	global_load_b64 v[29:30], v[25:26], off
	s_clause 0x1
	global_load_b64 v[31:32], v[27:28], off
	global_load_b64 v[27:28], v[27:28], off offset:2048
	global_load_b64 v[25:26], v[25:26], off offset:2048
	s_waitcnt vmcnt(13)
	v_cmp_ne_u64_e64 s2, v[1:2], v[5:6]
	v_mov_b32_e32 v2, 0x500
	s_waitcnt vmcnt(12)
	v_cmp_ne_u64_e32 vcc_lo, v[7:8], v[3:4]
	v_mov_b32_e32 v1, 0x300
	v_cndmask_b32_e32 v3, 0x200, v33, vcc_lo
	s_or_b32 s5, s2, vcc_lo
	s_delay_alu instid0(VALU_DEP_1) | instskip(SKIP_2) | instid1(VALU_DEP_1)
	v_cndmask_b32_e64 v3, v3, 0, s2
	s_waitcnt vmcnt(10)
	v_cmp_ne_u64_e64 s2, v[9:10], v[13:14]
	v_cndmask_b32_e64 v1, 0x400, v1, s2
	s_waitcnt vmcnt(7)
	v_cmp_ne_u64_e32 vcc_lo, v[19:20], v[23:24]
	s_waitcnt vmcnt(6)
	v_cmp_ne_u64_e64 s3, v[11:12], v[15:16]
	s_waitcnt vmcnt(4)
	v_cmp_ne_u64_e64 s4, v[17:18], v[21:22]
	s_or_b32 vcc_lo, s5, vcc_lo
	s_waitcnt vmcnt(2)
	v_cmp_ne_u64_e64 s5, v[31:32], v[29:30]
	s_delay_alu instid0(VALU_DEP_2)
	v_cndmask_b32_e64 v2, 0x600, v2, s4
	v_cndmask_b32_e32 v1, v1, v3, vcc_lo
	s_or_b32 s2, vcc_lo, s2
	s_waitcnt vmcnt(0)
	v_cmp_ne_u64_e32 vcc_lo, v[27:28], v[25:26]
	s_or_b32 s2, s2, s3
	s_delay_alu instid0(SALU_CYCLE_1)
	v_cndmask_b32_e64 v1, v2, v1, s2
	s_or_b32 s2, s2, s4
	s_mov_b32 s4, exec_lo
	s_or_b32 s2, s2, s5
	s_delay_alu instid0(VALU_DEP_1) | instid1(SALU_CYCLE_1)
	v_cndmask_b32_e64 v1, 0x700, v1, s2
	s_or_b32 s3, s2, vcc_lo
	v_add_co_u32 v2, s2, s26, v0
	v_cndmask_b32_e64 v5, 0, 1, s3
	v_add_co_ci_u32_e64 v3, null, s28, 0, s2
	s_delay_alu instid0(VALU_DEP_3) | instskip(NEXT) | instid1(VALU_DEP_3)
	v_add_co_u32 v1, vcc_lo, v2, v1
	v_mov_b32_dpp v6, v5 quad_perm:[1,0,3,2] row_mask:0xf bank_mask:0xf
	s_delay_alu instid0(VALU_DEP_3) | instskip(NEXT) | instid1(VALU_DEP_3)
	v_add_co_ci_u32_e32 v2, vcc_lo, 0, v3, vcc_lo
	v_mov_b32_dpp v3, v1 quad_perm:[1,0,3,2] row_mask:0xf bank_mask:0xf
	s_delay_alu instid0(VALU_DEP_3) | instskip(NEXT) | instid1(VALU_DEP_3)
	v_and_b32_e32 v7, 1, v6
	v_mov_b32_dpp v4, v2 quad_perm:[1,0,3,2] row_mask:0xf bank_mask:0xf
	s_delay_alu instid0(VALU_DEP_2)
	v_cmpx_eq_u32_e32 1, v7
; %bb.5:
	v_cndmask_b32_e64 v5, v6, 1, s3
	s_delay_alu instid0(VALU_DEP_3) | instskip(NEXT) | instid1(VALU_DEP_2)
	v_cmp_lt_i64_e32 vcc_lo, v[1:2], v[3:4]
	v_and_b32_e32 v6, 1, v5
	v_and_b32_e32 v5, 0xff, v5
	s_and_b32 vcc_lo, s3, vcc_lo
	s_and_not1_b32 s3, s3, exec_lo
	v_dual_cndmask_b32 v2, v4, v2 :: v_dual_cndmask_b32 v1, v3, v1
	v_cmp_eq_u32_e64 s2, 1, v6
	s_delay_alu instid0(VALU_DEP_1) | instskip(NEXT) | instid1(SALU_CYCLE_1)
	s_and_b32 s2, s2, exec_lo
	s_or_b32 s3, s3, s2
; %bb.6:
	s_or_b32 exec_lo, exec_lo, s4
	v_mov_b32_dpp v6, v5 quad_perm:[2,3,0,1] row_mask:0xf bank_mask:0xf
	v_mov_b32_dpp v3, v1 quad_perm:[2,3,0,1] row_mask:0xf bank_mask:0xf
	;; [unrolled: 1-line block ×3, first 2 shown]
	s_mov_b32 s4, exec_lo
	s_delay_alu instid0(VALU_DEP_3) | instskip(NEXT) | instid1(VALU_DEP_1)
	v_and_b32_e32 v7, 1, v6
	v_cmpx_eq_u32_e32 1, v7
; %bb.7:
	v_cndmask_b32_e64 v5, v6, 1, s3
	v_cmp_lt_i64_e32 vcc_lo, v[1:2], v[3:4]
	s_delay_alu instid0(VALU_DEP_2)
	v_and_b32_e32 v6, 1, v5
	v_and_b32_e32 v5, 0xff, v5
	s_and_b32 vcc_lo, s3, vcc_lo
	s_and_not1_b32 s3, s3, exec_lo
	v_dual_cndmask_b32 v2, v4, v2 :: v_dual_cndmask_b32 v1, v3, v1
	v_cmp_eq_u32_e64 s2, 1, v6
	s_delay_alu instid0(VALU_DEP_1) | instskip(NEXT) | instid1(SALU_CYCLE_1)
	s_and_b32 s2, s2, exec_lo
	s_or_b32 s3, s3, s2
; %bb.8:
	s_or_b32 exec_lo, exec_lo, s4
	v_mov_b32_dpp v6, v5 row_ror:4 row_mask:0xf bank_mask:0xf
	v_mov_b32_dpp v3, v1 row_ror:4 row_mask:0xf bank_mask:0xf
	;; [unrolled: 1-line block ×3, first 2 shown]
	s_mov_b32 s4, exec_lo
	s_delay_alu instid0(VALU_DEP_3) | instskip(NEXT) | instid1(VALU_DEP_1)
	v_and_b32_e32 v7, 1, v6
	v_cmpx_eq_u32_e32 1, v7
; %bb.9:
	v_cndmask_b32_e64 v5, v6, 1, s3
	v_cmp_lt_i64_e32 vcc_lo, v[1:2], v[3:4]
	s_delay_alu instid0(VALU_DEP_2)
	v_and_b32_e32 v6, 1, v5
	v_and_b32_e32 v5, 0xff, v5
	s_and_b32 vcc_lo, s3, vcc_lo
	s_and_not1_b32 s3, s3, exec_lo
	v_dual_cndmask_b32 v2, v4, v2 :: v_dual_cndmask_b32 v1, v3, v1
	v_cmp_eq_u32_e64 s2, 1, v6
	s_delay_alu instid0(VALU_DEP_1) | instskip(NEXT) | instid1(SALU_CYCLE_1)
	s_and_b32 s2, s2, exec_lo
	s_or_b32 s3, s3, s2
; %bb.10:
	s_or_b32 exec_lo, exec_lo, s4
	v_mov_b32_dpp v6, v5 row_ror:8 row_mask:0xf bank_mask:0xf
	v_mov_b32_dpp v3, v1 row_ror:8 row_mask:0xf bank_mask:0xf
	;; [unrolled: 1-line block ×3, first 2 shown]
	s_mov_b32 s4, exec_lo
	s_delay_alu instid0(VALU_DEP_3) | instskip(NEXT) | instid1(VALU_DEP_1)
	v_and_b32_e32 v7, 1, v6
	v_cmpx_eq_u32_e32 1, v7
; %bb.11:
	v_cndmask_b32_e64 v5, v6, 1, s3
	v_cmp_lt_i64_e32 vcc_lo, v[1:2], v[3:4]
	s_delay_alu instid0(VALU_DEP_2)
	v_and_b32_e32 v6, 1, v5
	v_and_b32_e32 v5, 0xff, v5
	s_and_b32 vcc_lo, s3, vcc_lo
	s_and_not1_b32 s3, s3, exec_lo
	v_dual_cndmask_b32 v2, v4, v2 :: v_dual_cndmask_b32 v1, v3, v1
	v_cmp_eq_u32_e64 s2, 1, v6
	s_delay_alu instid0(VALU_DEP_1) | instskip(NEXT) | instid1(SALU_CYCLE_1)
	s_and_b32 s2, s2, exec_lo
	s_or_b32 s3, s3, s2
; %bb.12:
	s_or_b32 exec_lo, exec_lo, s4
	ds_swizzle_b32 v6, v5 offset:swizzle(BROADCAST,32,15)
	ds_swizzle_b32 v3, v1 offset:swizzle(BROADCAST,32,15)
	ds_swizzle_b32 v4, v2 offset:swizzle(BROADCAST,32,15)
	s_mov_b32 s2, exec_lo
	s_waitcnt lgkmcnt(2)
	v_and_b32_e32 v7, 1, v6
	s_delay_alu instid0(VALU_DEP_1)
	v_cmpx_eq_u32_e32 1, v7
	s_cbranch_execz .LBB535_14
; %bb.13:
	s_waitcnt lgkmcnt(0)
	v_cmp_lt_i64_e32 vcc_lo, v[1:2], v[3:4]
	v_and_b32_e32 v5, 0xff, v6
	s_delay_alu instid0(VALU_DEP_1)
	v_cndmask_b32_e64 v5, v5, 1, s3
	s_and_b32 vcc_lo, s3, vcc_lo
	v_dual_cndmask_b32 v1, v3, v1 :: v_dual_cndmask_b32 v2, v4, v2
.LBB535_14:
	s_or_b32 exec_lo, exec_lo, s2
	s_waitcnt lgkmcnt(1)
	v_mov_b32_e32 v3, 0
	s_mov_b32 s2, exec_lo
	ds_bpermute_b32 v6, v3, v5 offset:124
	ds_bpermute_b32 v1, v3, v1 offset:124
	;; [unrolled: 1-line block ×3, first 2 shown]
	v_mbcnt_lo_u32_b32 v3, -1, 0
	s_delay_alu instid0(VALU_DEP_1)
	v_cmpx_eq_u32_e32 0, v3
	s_cbranch_execz .LBB535_16
; %bb.15:
	s_waitcnt lgkmcnt(3)
	v_lshrrev_b32_e32 v4, 1, v0
	s_delay_alu instid0(VALU_DEP_1)
	v_and_b32_e32 v4, 0x70, v4
	s_waitcnt lgkmcnt(2)
	ds_store_b8 v4, v6 offset:384
	s_waitcnt lgkmcnt(1)
	ds_store_b64 v4, v[1:2] offset:392
.LBB535_16:
	s_or_b32 exec_lo, exec_lo, s2
	s_delay_alu instid0(SALU_CYCLE_1)
	s_mov_b32 s4, exec_lo
	s_waitcnt lgkmcnt(0)
	s_barrier
	buffer_gl0_inv
	v_cmpx_gt_u32_e32 32, v0
	s_cbranch_execz .LBB535_18
; %bb.17:
	v_and_b32_e32 v6, 7, v3
	s_delay_alu instid0(VALU_DEP_1)
	v_lshlrev_b32_e32 v1, 4, v6
	v_cmp_ne_u32_e32 vcc_lo, 7, v6
	ds_load_u8 v7, v1 offset:384
	ds_load_b64 v[1:2], v1 offset:392
	v_add_co_ci_u32_e32 v4, vcc_lo, 0, v3, vcc_lo
	v_cmp_gt_u32_e32 vcc_lo, 6, v6
	s_delay_alu instid0(VALU_DEP_2)
	v_lshlrev_b32_e32 v5, 2, v4
	v_cndmask_b32_e64 v10, 0, 1, vcc_lo
	s_waitcnt lgkmcnt(1)
	v_and_b32_e32 v4, 0xff, v7
	v_and_b32_e32 v11, 1, v7
	ds_bpermute_b32 v8, v5, v4
	s_waitcnt lgkmcnt(1)
	ds_bpermute_b32 v4, v5, v1
	ds_bpermute_b32 v5, v5, v2
	v_cmp_eq_u32_e64 s3, 1, v11
	s_waitcnt lgkmcnt(2)
	v_and_b32_e32 v9, 1, v8
	s_waitcnt lgkmcnt(0)
	v_cmp_lt_i64_e64 s2, v[4:5], v[1:2]
	s_delay_alu instid0(VALU_DEP_2) | instskip(SKIP_2) | instid1(VALU_DEP_4)
	v_cmp_eq_u32_e32 vcc_lo, 1, v9
	v_lshlrev_b32_e32 v9, 1, v10
	v_cndmask_b32_e64 v7, v7, 1, vcc_lo
	s_and_b32 vcc_lo, vcc_lo, s2
	v_dual_cndmask_b32 v1, v1, v4 :: v_dual_cndmask_b32 v2, v2, v5
	s_delay_alu instid0(VALU_DEP_2) | instskip(SKIP_2) | instid1(VALU_DEP_4)
	v_cndmask_b32_e64 v7, v8, v7, s3
	v_add_lshl_u32 v8, v9, v3, 2
	v_cmp_gt_u32_e32 vcc_lo, 4, v6
	v_cndmask_b32_e64 v1, v4, v1, s3
	v_cndmask_b32_e64 v2, v5, v2, s3
	v_and_b32_e32 v9, 0xff, v7
	v_and_b32_e32 v10, 1, v7
	v_cndmask_b32_e64 v6, 0, 1, vcc_lo
	ds_bpermute_b32 v4, v8, v1
	ds_bpermute_b32 v5, v8, v2
	;; [unrolled: 1-line block ×3, first 2 shown]
	v_cmp_eq_u32_e64 s3, 1, v10
	s_waitcnt lgkmcnt(1)
	v_cmp_lt_i64_e64 s2, v[4:5], v[1:2]
	s_waitcnt lgkmcnt(0)
	v_and_b32_e32 v8, 1, v9
	s_delay_alu instid0(VALU_DEP_1) | instskip(SKIP_1) | instid1(VALU_DEP_4)
	v_cmp_eq_u32_e32 vcc_lo, 1, v8
	v_cndmask_b32_e64 v7, v7, 1, vcc_lo
	s_and_b32 vcc_lo, vcc_lo, s2
	v_dual_cndmask_b32 v1, v1, v4 :: v_dual_cndmask_b32 v2, v2, v5
	s_delay_alu instid0(VALU_DEP_2) | instskip(NEXT) | instid1(VALU_DEP_2)
	v_cndmask_b32_e64 v7, v9, v7, s3
	v_cndmask_b32_e64 v1, v4, v1, s3
	v_lshlrev_b32_e32 v6, 2, v6
	s_delay_alu instid0(VALU_DEP_4) | instskip(NEXT) | instid1(VALU_DEP_2)
	v_cndmask_b32_e64 v2, v5, v2, s3
	v_add_lshl_u32 v6, v6, v3, 2
	v_and_b32_e32 v3, 0xff, v7
	ds_bpermute_b32 v4, v6, v2
	ds_bpermute_b32 v5, v6, v3
	;; [unrolled: 1-line block ×3, first 2 shown]
	s_waitcnt lgkmcnt(1)
	v_and_b32_e32 v6, 1, v5
	s_waitcnt lgkmcnt(0)
	v_cmp_lt_i64_e32 vcc_lo, v[3:4], v[1:2]
	s_delay_alu instid0(VALU_DEP_2) | instskip(SKIP_1) | instid1(VALU_DEP_2)
	v_cmp_eq_u32_e64 s2, 1, v6
	v_and_b32_e32 v6, 1, v7
	v_cndmask_b32_e64 v7, v7, 1, s2
	s_and_b32 vcc_lo, s2, vcc_lo
	s_delay_alu instid0(VALU_DEP_2) | instskip(SKIP_1) | instid1(VALU_DEP_2)
	v_cmp_eq_u32_e64 s2, 1, v6
	v_dual_cndmask_b32 v1, v1, v3 :: v_dual_cndmask_b32 v2, v2, v4
	v_cndmask_b32_e64 v5, v5, v7, s2
	s_delay_alu instid0(VALU_DEP_2) | instskip(NEXT) | instid1(VALU_DEP_3)
	v_cndmask_b32_e64 v1, v3, v1, s2
	v_cndmask_b32_e64 v2, v4, v2, s2
	s_delay_alu instid0(VALU_DEP_3)
	v_and_b32_e32 v6, 0xff, v5
.LBB535_18:
	s_or_b32 exec_lo, exec_lo, s4
	s_branch .LBB535_85
.LBB535_19:
	s_mov_b32 s26, 0
                                        ; implicit-def: $vgpr3_vgpr4
                                        ; implicit-def: $vgpr5
	s_cbranch_execnz .LBB535_129
	s_branch .LBB535_200
.LBB535_20:
	s_mov_b32 s27, -1
.LBB535_21:
	s_mov_b32 s26, 0
                                        ; implicit-def: $vgpr3_vgpr4
                                        ; implicit-def: $vgpr5
	s_and_b32 vcc_lo, exec_lo, s27
	s_cbranch_vccz .LBB535_90
.LBB535_22:
	s_cmp_eq_u32 s25, 4
	s_cbranch_scc0 .LBB535_39
; %bb.23:
	s_mov_b32 s11, 0
	s_lshl_b32 s22, s10, 10
	s_mov_b32 s23, s11
	s_lshr_b64 s[28:29], s[14:15], 10
	s_lshl_b64 s[2:3], s[22:23], 3
	s_delay_alu instid0(SALU_CYCLE_1)
	s_add_u32 s6, s16, s2
	s_addc_u32 s7, s17, s3
	s_add_u32 s8, s18, s2
	s_addc_u32 s9, s19, s3
	;; [unrolled: 2-line block ×3, first 2 shown]
	s_cmp_lg_u64 s[28:29], s[10:11]
	s_cbranch_scc0 .LBB535_91
; %bb.24:
	v_lshlrev_b32_e32 v11, 3, v0
	v_mov_b32_e32 v17, 0x100
	global_load_b64 v[1:2], v11, s[8:9] offset:2048
	s_waitcnt lgkmcnt(0)
	global_load_b64 v[3:4], v11, s[6:7] offset:2048
	v_add_co_u32 v7, s2, s6, v11
	s_delay_alu instid0(VALU_DEP_1) | instskip(SKIP_1) | instid1(VALU_DEP_1)
	v_add_co_ci_u32_e64 v8, null, s7, 0, s2
	v_add_co_u32 v5, s2, s8, v11
	v_add_co_ci_u32_e64 v6, null, s9, 0, s2
	s_delay_alu instid0(VALU_DEP_2) | instskip(NEXT) | instid1(VALU_DEP_2)
	v_add_co_u32 v5, vcc_lo, 0x1000, v5
	v_add_co_ci_u32_e32 v6, vcc_lo, 0, v6, vcc_lo
	v_add_co_u32 v7, vcc_lo, 0x1000, v7
	v_add_co_ci_u32_e32 v8, vcc_lo, 0, v8, vcc_lo
	s_clause 0x1
	global_load_b64 v[9:10], v11, s[8:9]
	global_load_b64 v[11:12], v11, s[6:7]
	global_load_b64 v[13:14], v[5:6], off
	s_clause 0x1
	global_load_b64 v[15:16], v[7:8], off
	global_load_b64 v[7:8], v[7:8], off offset:2048
	global_load_b64 v[5:6], v[5:6], off offset:2048
	s_waitcnt vmcnt(6)
	v_cmp_ne_u64_e32 vcc_lo, v[3:4], v[1:2]
	v_cndmask_b32_e32 v1, 0x200, v17, vcc_lo
	s_waitcnt vmcnt(4)
	v_cmp_ne_u64_e64 s2, v[11:12], v[9:10]
	s_waitcnt vmcnt(2)
	v_cmp_ne_u64_e64 s3, v[15:16], v[13:14]
	;; [unrolled: 2-line block ×3, first 2 shown]
	s_delay_alu instid0(VALU_DEP_3)
	v_cndmask_b32_e64 v1, v1, 0, s2
	s_or_b32 s2, s2, vcc_lo
	s_delay_alu instid0(VALU_DEP_3) | instid1(SALU_CYCLE_1)
	s_or_b32 vcc_lo, s2, s3
	v_add_co_u32 v2, s2, s5, v0
	s_delay_alu instid0(VALU_DEP_2) | instskip(SKIP_3) | instid1(VALU_DEP_3)
	v_cndmask_b32_e32 v1, 0x300, v1, vcc_lo
	s_or_b32 s3, vcc_lo, s4
	v_add_co_ci_u32_e64 v3, null, s23, 0, s2
	v_cndmask_b32_e64 v5, 0, 1, s3
	v_add_co_u32 v1, vcc_lo, v2, v1
	s_delay_alu instid0(VALU_DEP_3) | instskip(NEXT) | instid1(VALU_DEP_3)
	v_add_co_ci_u32_e32 v2, vcc_lo, 0, v3, vcc_lo
	v_mov_b32_dpp v6, v5 quad_perm:[1,0,3,2] row_mask:0xf bank_mask:0xf
	s_delay_alu instid0(VALU_DEP_3) | instskip(SKIP_1) | instid1(VALU_DEP_3)
	v_mov_b32_dpp v3, v1 quad_perm:[1,0,3,2] row_mask:0xf bank_mask:0xf
	s_mov_b32 s4, exec_lo
	v_mov_b32_dpp v4, v2 quad_perm:[1,0,3,2] row_mask:0xf bank_mask:0xf
	s_delay_alu instid0(VALU_DEP_3) | instskip(NEXT) | instid1(VALU_DEP_1)
	v_and_b32_e32 v7, 1, v6
	v_cmpx_eq_u32_e32 1, v7
; %bb.25:
	v_cndmask_b32_e64 v5, v6, 1, s3
	s_delay_alu instid0(VALU_DEP_4) | instskip(NEXT) | instid1(VALU_DEP_2)
	v_cmp_lt_i64_e32 vcc_lo, v[1:2], v[3:4]
	v_and_b32_e32 v6, 1, v5
	v_and_b32_e32 v5, 0xff, v5
	s_and_b32 vcc_lo, s3, vcc_lo
	s_and_not1_b32 s3, s3, exec_lo
	v_dual_cndmask_b32 v2, v4, v2 :: v_dual_cndmask_b32 v1, v3, v1
	v_cmp_eq_u32_e64 s2, 1, v6
	s_delay_alu instid0(VALU_DEP_1) | instskip(NEXT) | instid1(SALU_CYCLE_1)
	s_and_b32 s2, s2, exec_lo
	s_or_b32 s3, s3, s2
; %bb.26:
	s_or_b32 exec_lo, exec_lo, s4
	v_mov_b32_dpp v6, v5 quad_perm:[2,3,0,1] row_mask:0xf bank_mask:0xf
	v_mov_b32_dpp v3, v1 quad_perm:[2,3,0,1] row_mask:0xf bank_mask:0xf
	;; [unrolled: 1-line block ×3, first 2 shown]
	s_mov_b32 s4, exec_lo
	s_delay_alu instid0(VALU_DEP_3) | instskip(NEXT) | instid1(VALU_DEP_1)
	v_and_b32_e32 v7, 1, v6
	v_cmpx_eq_u32_e32 1, v7
; %bb.27:
	v_cndmask_b32_e64 v5, v6, 1, s3
	v_cmp_lt_i64_e32 vcc_lo, v[1:2], v[3:4]
	s_delay_alu instid0(VALU_DEP_2)
	v_and_b32_e32 v6, 1, v5
	v_and_b32_e32 v5, 0xff, v5
	s_and_b32 vcc_lo, s3, vcc_lo
	s_and_not1_b32 s3, s3, exec_lo
	v_dual_cndmask_b32 v2, v4, v2 :: v_dual_cndmask_b32 v1, v3, v1
	v_cmp_eq_u32_e64 s2, 1, v6
	s_delay_alu instid0(VALU_DEP_1) | instskip(NEXT) | instid1(SALU_CYCLE_1)
	s_and_b32 s2, s2, exec_lo
	s_or_b32 s3, s3, s2
; %bb.28:
	s_or_b32 exec_lo, exec_lo, s4
	v_mov_b32_dpp v6, v5 row_ror:4 row_mask:0xf bank_mask:0xf
	v_mov_b32_dpp v3, v1 row_ror:4 row_mask:0xf bank_mask:0xf
	;; [unrolled: 1-line block ×3, first 2 shown]
	s_mov_b32 s4, exec_lo
	s_delay_alu instid0(VALU_DEP_3) | instskip(NEXT) | instid1(VALU_DEP_1)
	v_and_b32_e32 v7, 1, v6
	v_cmpx_eq_u32_e32 1, v7
; %bb.29:
	v_cndmask_b32_e64 v5, v6, 1, s3
	v_cmp_lt_i64_e32 vcc_lo, v[1:2], v[3:4]
	s_delay_alu instid0(VALU_DEP_2)
	v_and_b32_e32 v6, 1, v5
	v_and_b32_e32 v5, 0xff, v5
	s_and_b32 vcc_lo, s3, vcc_lo
	s_and_not1_b32 s3, s3, exec_lo
	v_dual_cndmask_b32 v2, v4, v2 :: v_dual_cndmask_b32 v1, v3, v1
	v_cmp_eq_u32_e64 s2, 1, v6
	s_delay_alu instid0(VALU_DEP_1) | instskip(NEXT) | instid1(SALU_CYCLE_1)
	s_and_b32 s2, s2, exec_lo
	s_or_b32 s3, s3, s2
; %bb.30:
	s_or_b32 exec_lo, exec_lo, s4
	v_mov_b32_dpp v6, v5 row_ror:8 row_mask:0xf bank_mask:0xf
	v_mov_b32_dpp v3, v1 row_ror:8 row_mask:0xf bank_mask:0xf
	;; [unrolled: 1-line block ×3, first 2 shown]
	s_mov_b32 s4, exec_lo
	s_delay_alu instid0(VALU_DEP_3) | instskip(NEXT) | instid1(VALU_DEP_1)
	v_and_b32_e32 v7, 1, v6
	v_cmpx_eq_u32_e32 1, v7
; %bb.31:
	v_cndmask_b32_e64 v5, v6, 1, s3
	v_cmp_lt_i64_e32 vcc_lo, v[1:2], v[3:4]
	s_delay_alu instid0(VALU_DEP_2)
	v_and_b32_e32 v6, 1, v5
	v_and_b32_e32 v5, 0xff, v5
	s_and_b32 vcc_lo, s3, vcc_lo
	s_and_not1_b32 s3, s3, exec_lo
	v_dual_cndmask_b32 v2, v4, v2 :: v_dual_cndmask_b32 v1, v3, v1
	v_cmp_eq_u32_e64 s2, 1, v6
	s_delay_alu instid0(VALU_DEP_1) | instskip(NEXT) | instid1(SALU_CYCLE_1)
	s_and_b32 s2, s2, exec_lo
	s_or_b32 s3, s3, s2
; %bb.32:
	s_or_b32 exec_lo, exec_lo, s4
	ds_swizzle_b32 v6, v5 offset:swizzle(BROADCAST,32,15)
	ds_swizzle_b32 v3, v1 offset:swizzle(BROADCAST,32,15)
	;; [unrolled: 1-line block ×3, first 2 shown]
	s_mov_b32 s2, exec_lo
	s_waitcnt lgkmcnt(2)
	v_and_b32_e32 v7, 1, v6
	s_delay_alu instid0(VALU_DEP_1)
	v_cmpx_eq_u32_e32 1, v7
	s_cbranch_execz .LBB535_34
; %bb.33:
	s_waitcnt lgkmcnt(0)
	v_cmp_lt_i64_e32 vcc_lo, v[1:2], v[3:4]
	v_and_b32_e32 v5, 0xff, v6
	s_delay_alu instid0(VALU_DEP_1)
	v_cndmask_b32_e64 v5, v5, 1, s3
	s_and_b32 vcc_lo, s3, vcc_lo
	v_dual_cndmask_b32 v1, v3, v1 :: v_dual_cndmask_b32 v2, v4, v2
.LBB535_34:
	s_or_b32 exec_lo, exec_lo, s2
	s_waitcnt lgkmcnt(1)
	v_mov_b32_e32 v3, 0
	s_mov_b32 s2, exec_lo
	ds_bpermute_b32 v6, v3, v5 offset:124
	ds_bpermute_b32 v1, v3, v1 offset:124
	;; [unrolled: 1-line block ×3, first 2 shown]
	v_mbcnt_lo_u32_b32 v3, -1, 0
	s_delay_alu instid0(VALU_DEP_1)
	v_cmpx_eq_u32_e32 0, v3
	s_cbranch_execz .LBB535_36
; %bb.35:
	s_waitcnt lgkmcnt(3)
	v_lshrrev_b32_e32 v4, 1, v0
	s_delay_alu instid0(VALU_DEP_1)
	v_and_b32_e32 v4, 0x70, v4
	s_waitcnt lgkmcnt(2)
	ds_store_b8 v4, v6 offset:256
	s_waitcnt lgkmcnt(1)
	ds_store_b64 v4, v[1:2] offset:264
.LBB535_36:
	s_or_b32 exec_lo, exec_lo, s2
	s_delay_alu instid0(SALU_CYCLE_1)
	s_mov_b32 s4, exec_lo
	s_waitcnt lgkmcnt(0)
	s_barrier
	buffer_gl0_inv
	v_cmpx_gt_u32_e32 32, v0
	s_cbranch_execz .LBB535_38
; %bb.37:
	v_and_b32_e32 v6, 7, v3
	s_delay_alu instid0(VALU_DEP_1)
	v_lshlrev_b32_e32 v1, 4, v6
	v_cmp_ne_u32_e32 vcc_lo, 7, v6
	ds_load_u8 v7, v1 offset:256
	ds_load_b64 v[1:2], v1 offset:264
	v_add_co_ci_u32_e32 v4, vcc_lo, 0, v3, vcc_lo
	v_cmp_gt_u32_e32 vcc_lo, 6, v6
	s_delay_alu instid0(VALU_DEP_2)
	v_lshlrev_b32_e32 v5, 2, v4
	v_cndmask_b32_e64 v10, 0, 1, vcc_lo
	s_waitcnt lgkmcnt(1)
	v_and_b32_e32 v4, 0xff, v7
	v_and_b32_e32 v11, 1, v7
	ds_bpermute_b32 v8, v5, v4
	s_waitcnt lgkmcnt(1)
	ds_bpermute_b32 v4, v5, v1
	ds_bpermute_b32 v5, v5, v2
	v_cmp_eq_u32_e64 s3, 1, v11
	s_waitcnt lgkmcnt(2)
	v_and_b32_e32 v9, 1, v8
	s_waitcnt lgkmcnt(0)
	v_cmp_lt_i64_e64 s2, v[4:5], v[1:2]
	s_delay_alu instid0(VALU_DEP_2) | instskip(SKIP_2) | instid1(VALU_DEP_4)
	v_cmp_eq_u32_e32 vcc_lo, 1, v9
	v_lshlrev_b32_e32 v9, 1, v10
	v_cndmask_b32_e64 v7, v7, 1, vcc_lo
	s_and_b32 vcc_lo, vcc_lo, s2
	v_dual_cndmask_b32 v1, v1, v4 :: v_dual_cndmask_b32 v2, v2, v5
	s_delay_alu instid0(VALU_DEP_2) | instskip(SKIP_2) | instid1(VALU_DEP_4)
	v_cndmask_b32_e64 v7, v8, v7, s3
	v_add_lshl_u32 v8, v9, v3, 2
	v_cmp_gt_u32_e32 vcc_lo, 4, v6
	v_cndmask_b32_e64 v1, v4, v1, s3
	v_cndmask_b32_e64 v2, v5, v2, s3
	v_and_b32_e32 v9, 0xff, v7
	v_and_b32_e32 v10, 1, v7
	v_cndmask_b32_e64 v6, 0, 1, vcc_lo
	ds_bpermute_b32 v4, v8, v1
	ds_bpermute_b32 v5, v8, v2
	;; [unrolled: 1-line block ×3, first 2 shown]
	v_cmp_eq_u32_e64 s3, 1, v10
	s_waitcnt lgkmcnt(1)
	v_cmp_lt_i64_e64 s2, v[4:5], v[1:2]
	s_waitcnt lgkmcnt(0)
	v_and_b32_e32 v8, 1, v9
	s_delay_alu instid0(VALU_DEP_1) | instskip(SKIP_1) | instid1(VALU_DEP_4)
	v_cmp_eq_u32_e32 vcc_lo, 1, v8
	v_cndmask_b32_e64 v7, v7, 1, vcc_lo
	s_and_b32 vcc_lo, vcc_lo, s2
	v_dual_cndmask_b32 v1, v1, v4 :: v_dual_cndmask_b32 v2, v2, v5
	s_delay_alu instid0(VALU_DEP_2) | instskip(NEXT) | instid1(VALU_DEP_2)
	v_cndmask_b32_e64 v7, v9, v7, s3
	v_cndmask_b32_e64 v1, v4, v1, s3
	v_lshlrev_b32_e32 v6, 2, v6
	s_delay_alu instid0(VALU_DEP_4) | instskip(NEXT) | instid1(VALU_DEP_2)
	v_cndmask_b32_e64 v2, v5, v2, s3
	v_add_lshl_u32 v6, v6, v3, 2
	v_and_b32_e32 v3, 0xff, v7
	ds_bpermute_b32 v4, v6, v2
	ds_bpermute_b32 v5, v6, v3
	;; [unrolled: 1-line block ×3, first 2 shown]
	s_waitcnt lgkmcnt(1)
	v_and_b32_e32 v6, 1, v5
	s_waitcnt lgkmcnt(0)
	v_cmp_lt_i64_e32 vcc_lo, v[3:4], v[1:2]
	s_delay_alu instid0(VALU_DEP_2) | instskip(SKIP_1) | instid1(VALU_DEP_2)
	v_cmp_eq_u32_e64 s2, 1, v6
	v_and_b32_e32 v6, 1, v7
	v_cndmask_b32_e64 v7, v7, 1, s2
	s_and_b32 vcc_lo, s2, vcc_lo
	s_delay_alu instid0(VALU_DEP_2) | instskip(SKIP_1) | instid1(VALU_DEP_2)
	v_cmp_eq_u32_e64 s2, 1, v6
	v_dual_cndmask_b32 v1, v1, v3 :: v_dual_cndmask_b32 v2, v2, v4
	v_cndmask_b32_e64 v5, v5, v7, s2
	s_delay_alu instid0(VALU_DEP_2) | instskip(NEXT) | instid1(VALU_DEP_3)
	v_cndmask_b32_e64 v1, v3, v1, s2
	v_cndmask_b32_e64 v2, v4, v2, s2
	s_delay_alu instid0(VALU_DEP_3)
	v_and_b32_e32 v6, 0xff, v5
.LBB535_38:
	s_or_b32 exec_lo, exec_lo, s4
	s_branch .LBB535_124
.LBB535_39:
                                        ; implicit-def: $vgpr3_vgpr4
                                        ; implicit-def: $vgpr5
	s_branch .LBB535_200
.LBB535_40:
                                        ; implicit-def: $vgpr1_vgpr2
                                        ; implicit-def: $vgpr6
	s_cbranch_execz .LBB535_85
; %bb.41:
	v_mov_b32_e32 v9, 0
	v_dual_mov_b32 v10, 0 :: v_dual_mov_b32 v21, 0
	s_delay_alu instid0(VALU_DEP_2) | instskip(SKIP_2) | instid1(VALU_DEP_3)
	v_mov_b32_e32 v1, v9
	v_mov_b32_e32 v17, 0
	s_sub_i32 s29, s14, s6
	v_mov_b32_e32 v2, v10
	s_mov_b32 s2, exec_lo
	v_cmpx_gt_u32_e64 s29, v0
	s_cbranch_execz .LBB535_43
; %bb.42:
	v_lshlrev_b32_e32 v1, 3, v0
	s_clause 0x1
	global_load_b64 v[3:4], v1, s[8:9]
	global_load_b64 v[5:6], v1, s[22:23]
	v_add_co_u32 v1, s3, s26, v0
	s_delay_alu instid0(VALU_DEP_1)
	v_add_co_ci_u32_e64 v2, null, s28, 0, s3
	s_waitcnt vmcnt(0)
	v_cmp_ne_u64_e32 vcc_lo, v[3:4], v[5:6]
	v_cndmask_b32_e64 v17, 0, 1, vcc_lo
.LBB535_43:
	s_or_b32 exec_lo, exec_lo, s2
	v_or_b32_e32 v3, 0x100, v0
	s_delay_alu instid0(VALU_DEP_1) | instskip(NEXT) | instid1(VALU_DEP_1)
	v_cmp_gt_u32_e64 s7, s29, v3
	s_and_saveexec_b32 s2, s7
	s_cbranch_execz .LBB535_45
; %bb.44:
	v_lshlrev_b32_e32 v6, 3, v0
	v_add_co_u32 v9, s3, s26, v3
	s_delay_alu instid0(VALU_DEP_1)
	v_add_co_ci_u32_e64 v10, null, s28, 0, s3
	s_clause 0x1
	global_load_b64 v[4:5], v6, s[8:9] offset:2048
	global_load_b64 v[6:7], v6, s[22:23] offset:2048
	s_waitcnt vmcnt(0)
	v_cmp_ne_u64_e32 vcc_lo, v[4:5], v[6:7]
	v_cndmask_b32_e64 v21, 0, 1, vcc_lo
.LBB535_45:
	s_or_b32 exec_lo, exec_lo, s2
	v_dual_mov_b32 v7, 0 :: v_dual_mov_b32 v20, 0
	v_mov_b32_e32 v8, 0
	v_or_b32_e32 v3, 0x200, v0
	v_mov_b32_e32 v24, 0
	s_delay_alu instid0(VALU_DEP_3) | instskip(NEXT) | instid1(VALU_DEP_3)
	v_dual_mov_b32 v16, v8 :: v_dual_mov_b32 v15, v7
	v_cmp_gt_u32_e64 s6, s29, v3
	s_delay_alu instid0(VALU_DEP_1)
	s_and_saveexec_b32 s2, s6
	s_cbranch_execz .LBB535_47
; %bb.46:
	v_lshlrev_b32_e32 v6, 3, v3
	v_add_co_u32 v15, s3, s26, v3
	s_delay_alu instid0(VALU_DEP_1)
	v_add_co_ci_u32_e64 v16, null, s28, 0, s3
	s_clause 0x1
	global_load_b64 v[4:5], v6, s[8:9]
	global_load_b64 v[11:12], v6, s[22:23]
	s_waitcnt vmcnt(0)
	v_cmp_ne_u64_e32 vcc_lo, v[4:5], v[11:12]
	v_cndmask_b32_e64 v24, 0, 1, vcc_lo
.LBB535_47:
	s_or_b32 exec_lo, exec_lo, s2
	v_or_b32_e32 v3, 0x300, v0
	s_delay_alu instid0(VALU_DEP_1) | instskip(NEXT) | instid1(VALU_DEP_1)
	v_cmp_gt_u32_e64 s5, s29, v3
	s_and_saveexec_b32 s2, s5
	s_cbranch_execz .LBB535_49
; %bb.48:
	v_lshlrev_b32_e32 v6, 3, v3
	v_add_co_u32 v7, s3, s26, v3
	s_delay_alu instid0(VALU_DEP_1)
	v_add_co_ci_u32_e64 v8, null, s28, 0, s3
	s_clause 0x1
	global_load_b64 v[4:5], v6, s[8:9]
	global_load_b64 v[11:12], v6, s[22:23]
	s_waitcnt vmcnt(0)
	v_cmp_ne_u64_e32 vcc_lo, v[4:5], v[11:12]
	v_cndmask_b32_e64 v20, 0, 1, vcc_lo
.LBB535_49:
	s_or_b32 exec_lo, exec_lo, s2
	v_mov_b32_e32 v5, 0
	v_dual_mov_b32 v6, 0 :: v_dual_mov_b32 v19, 0
	v_or_b32_e32 v3, 0x400, v0
	s_delay_alu instid0(VALU_DEP_2) | instskip(NEXT) | instid1(VALU_DEP_4)
	v_dual_mov_b32 v23, 0 :: v_dual_mov_b32 v14, v6
	v_mov_b32_e32 v13, v5
	s_delay_alu instid0(VALU_DEP_3) | instskip(NEXT) | instid1(VALU_DEP_1)
	v_cmp_gt_u32_e64 s4, s29, v3
	s_and_saveexec_b32 s2, s4
	s_cbranch_execz .LBB535_51
; %bb.50:
	v_lshlrev_b32_e32 v4, 3, v3
	v_add_co_u32 v13, s3, s26, v3
	s_delay_alu instid0(VALU_DEP_1)
	v_add_co_ci_u32_e64 v14, null, s28, 0, s3
	s_clause 0x1
	global_load_b64 v[11:12], v4, s[8:9]
	global_load_b64 v[22:23], v4, s[22:23]
	s_waitcnt vmcnt(0)
	v_cmp_ne_u64_e32 vcc_lo, v[11:12], v[22:23]
	v_cndmask_b32_e64 v23, 0, 1, vcc_lo
.LBB535_51:
	s_or_b32 exec_lo, exec_lo, s2
	v_or_b32_e32 v3, 0x500, v0
	s_delay_alu instid0(VALU_DEP_1) | instskip(NEXT) | instid1(VALU_DEP_1)
	v_cmp_gt_u32_e64 s3, s29, v3
	s_and_saveexec_b32 s2, s3
	s_cbranch_execz .LBB535_53
; %bb.52:
	v_lshlrev_b32_e32 v4, 3, v3
	v_add_co_u32 v5, s30, s26, v3
	s_delay_alu instid0(VALU_DEP_1)
	v_add_co_ci_u32_e64 v6, null, s28, 0, s30
	s_clause 0x1
	global_load_b64 v[11:12], v4, s[8:9]
	global_load_b64 v[18:19], v4, s[22:23]
	s_waitcnt vmcnt(0)
	v_cmp_ne_u64_e32 vcc_lo, v[11:12], v[18:19]
	v_cndmask_b32_e64 v19, 0, 1, vcc_lo
.LBB535_53:
	s_or_b32 exec_lo, exec_lo, s2
	v_dual_mov_b32 v3, 0 :: v_dual_mov_b32 v18, 0
	v_mov_b32_e32 v4, 0
	v_or_b32_e32 v25, 0x600, v0
	v_mov_b32_e32 v22, 0
	s_delay_alu instid0(VALU_DEP_3) | instskip(NEXT) | instid1(VALU_DEP_3)
	v_dual_mov_b32 v12, v4 :: v_dual_mov_b32 v11, v3
	v_cmp_gt_u32_e64 s2, s29, v25
	s_delay_alu instid0(VALU_DEP_1)
	s_and_saveexec_b32 s30, s2
	s_cbranch_execz .LBB535_55
; %bb.54:
	v_lshlrev_b32_e32 v11, 3, v25
	s_clause 0x1
	global_load_b64 v[26:27], v11, s[8:9]
	global_load_b64 v[28:29], v11, s[22:23]
	v_add_co_u32 v11, s31, s26, v25
	s_delay_alu instid0(VALU_DEP_1)
	v_add_co_ci_u32_e64 v12, null, s28, 0, s31
	s_waitcnt vmcnt(0)
	v_cmp_ne_u64_e32 vcc_lo, v[26:27], v[28:29]
	v_cndmask_b32_e64 v22, 0, 1, vcc_lo
.LBB535_55:
	s_or_b32 exec_lo, exec_lo, s30
	v_or_b32_e32 v25, 0x700, v0
	s_delay_alu instid0(VALU_DEP_1)
	v_cmp_gt_u32_e32 vcc_lo, s29, v25
	s_and_saveexec_b32 s30, vcc_lo
	s_cbranch_execnz .LBB535_232
; %bb.56:
	s_or_b32 exec_lo, exec_lo, s30
	s_and_saveexec_b32 s9, s7
	s_cbranch_execnz .LBB535_233
.LBB535_57:
	s_or_b32 exec_lo, exec_lo, s9
	s_and_saveexec_b32 s8, s6
	s_cbranch_execnz .LBB535_234
.LBB535_58:
	s_or_b32 exec_lo, exec_lo, s8
	s_and_saveexec_b32 s7, s5
	s_cbranch_execnz .LBB535_235
.LBB535_59:
	s_or_b32 exec_lo, exec_lo, s7
	s_and_saveexec_b32 s6, s4
	s_cbranch_execnz .LBB535_236
.LBB535_60:
	s_or_b32 exec_lo, exec_lo, s6
	s_and_saveexec_b32 s5, s3
	s_cbranch_execnz .LBB535_237
.LBB535_61:
	s_or_b32 exec_lo, exec_lo, s5
	s_and_saveexec_b32 s4, s2
	s_cbranch_execnz .LBB535_238
.LBB535_62:
	s_or_b32 exec_lo, exec_lo, s4
	s_and_saveexec_b32 s3, vcc_lo
.LBB535_63:
	v_and_b32_e32 v5, 1, v18
	v_cmp_lt_i64_e32 vcc_lo, v[3:4], v[1:2]
	s_delay_alu instid0(VALU_DEP_2) | instskip(NEXT) | instid1(VALU_DEP_1)
	v_cmp_eq_u32_e64 s2, 1, v5
	s_and_b32 vcc_lo, s2, vcc_lo
	v_cndmask_b32_e64 v6, v17, 1, s2
	v_dual_cndmask_b32 v2, v2, v4 :: v_dual_and_b32 v5, 1, v17
	v_cndmask_b32_e32 v1, v1, v3, vcc_lo
	s_delay_alu instid0(VALU_DEP_2) | instskip(NEXT) | instid1(VALU_DEP_3)
	v_cmp_eq_u32_e32 vcc_lo, 1, v5
	v_cndmask_b32_e32 v2, v4, v2, vcc_lo
	v_cndmask_b32_e32 v17, v18, v6, vcc_lo
	s_delay_alu instid0(VALU_DEP_4)
	v_cndmask_b32_e32 v1, v3, v1, vcc_lo
.LBB535_64:
	s_or_b32 exec_lo, exec_lo, s3
	v_mbcnt_lo_u32_b32 v5, -1, 0
	v_and_b32_e32 v7, 0xe0, v0
	s_min_u32 s3, s29, 0x100
	v_and_b32_e32 v6, 0xffff, v17
	s_delay_alu instid0(VALU_DEP_3) | instskip(NEXT) | instid1(VALU_DEP_3)
	v_cmp_ne_u32_e32 vcc_lo, 31, v5
	v_sub_nc_u32_e64 v8, s3, v7 clamp
	v_add_nc_u32_e32 v7, 1, v5
	v_add_co_ci_u32_e32 v3, vcc_lo, 0, v5, vcc_lo
	s_delay_alu instid0(VALU_DEP_2) | instskip(NEXT) | instid1(VALU_DEP_2)
	v_cmp_lt_u32_e32 vcc_lo, v7, v8
	v_dual_mov_b32 v7, v6 :: v_dual_lshlrev_b32 v4, 2, v3
	ds_bpermute_b32 v9, v4, v6
	ds_bpermute_b32 v3, v4, v1
	;; [unrolled: 1-line block ×3, first 2 shown]
	s_and_saveexec_b32 s2, vcc_lo
	s_delay_alu instid0(SALU_CYCLE_1)
	s_xor_b32 s4, exec_lo, s2
	s_cbranch_execz .LBB535_66
; %bb.65:
	s_waitcnt lgkmcnt(2)
	v_and_b32_e32 v7, 1, v9
	s_waitcnt lgkmcnt(0)
	v_cmp_lt_i64_e32 vcc_lo, v[3:4], v[1:2]
	s_delay_alu instid0(VALU_DEP_2) | instskip(SKIP_1) | instid1(VALU_DEP_2)
	v_cmp_eq_u32_e64 s2, 1, v7
	v_and_b32_e32 v7, 1, v17
	v_cndmask_b32_e64 v6, v6, 1, s2
	s_and_b32 vcc_lo, s2, vcc_lo
	s_delay_alu instid0(VALU_DEP_2) | instskip(SKIP_1) | instid1(VALU_DEP_2)
	v_cmp_eq_u32_e64 s2, 1, v7
	v_dual_cndmask_b32 v2, v2, v4 :: v_dual_cndmask_b32 v1, v1, v3
	v_cndmask_b32_e64 v7, v9, v6, s2
	s_delay_alu instid0(VALU_DEP_2) | instskip(NEXT) | instid1(VALU_DEP_3)
	v_cndmask_b32_e64 v2, v4, v2, s2
	v_cndmask_b32_e64 v1, v3, v1, s2
	s_delay_alu instid0(VALU_DEP_3)
	v_and_b32_e32 v6, 0xff, v7
.LBB535_66:
	s_or_b32 exec_lo, exec_lo, s4
	v_cmp_gt_u32_e32 vcc_lo, 30, v5
	v_add_nc_u32_e32 v10, 2, v5
	s_mov_b32 s4, exec_lo
	s_waitcnt lgkmcnt(1)
	v_cndmask_b32_e64 v3, 0, 1, vcc_lo
	s_delay_alu instid0(VALU_DEP_1) | instskip(SKIP_1) | instid1(VALU_DEP_1)
	v_lshlrev_b32_e32 v3, 1, v3
	s_waitcnt lgkmcnt(0)
	v_add_lshl_u32 v4, v3, v5, 2
	ds_bpermute_b32 v9, v4, v6
	ds_bpermute_b32 v3, v4, v1
	ds_bpermute_b32 v4, v4, v2
	v_cmpx_lt_u32_e64 v10, v8
	s_cbranch_execz .LBB535_68
; %bb.67:
	s_waitcnt lgkmcnt(2)
	v_and_b32_e32 v6, 1, v9
	s_waitcnt lgkmcnt(0)
	v_cmp_lt_i64_e32 vcc_lo, v[3:4], v[1:2]
	s_delay_alu instid0(VALU_DEP_2) | instskip(SKIP_1) | instid1(VALU_DEP_2)
	v_cmp_eq_u32_e64 s2, 1, v6
	v_and_b32_e32 v6, 1, v7
	v_cndmask_b32_e64 v7, v7, 1, s2
	s_and_b32 vcc_lo, s2, vcc_lo
	s_delay_alu instid0(VALU_DEP_2) | instskip(SKIP_1) | instid1(VALU_DEP_2)
	v_cmp_eq_u32_e64 s2, 1, v6
	v_dual_cndmask_b32 v1, v1, v3 :: v_dual_cndmask_b32 v2, v2, v4
	v_cndmask_b32_e64 v7, v9, v7, s2
	s_delay_alu instid0(VALU_DEP_2) | instskip(NEXT) | instid1(VALU_DEP_3)
	v_cndmask_b32_e64 v1, v3, v1, s2
	v_cndmask_b32_e64 v2, v4, v2, s2
	s_delay_alu instid0(VALU_DEP_3)
	v_and_b32_e32 v6, 0xff, v7
.LBB535_68:
	s_or_b32 exec_lo, exec_lo, s4
	v_cmp_gt_u32_e32 vcc_lo, 28, v5
	v_add_nc_u32_e32 v10, 4, v5
	s_mov_b32 s4, exec_lo
	s_waitcnt lgkmcnt(1)
	v_cndmask_b32_e64 v3, 0, 1, vcc_lo
	s_delay_alu instid0(VALU_DEP_1) | instskip(SKIP_1) | instid1(VALU_DEP_1)
	v_lshlrev_b32_e32 v3, 2, v3
	s_waitcnt lgkmcnt(0)
	v_add_lshl_u32 v4, v3, v5, 2
	ds_bpermute_b32 v9, v4, v6
	ds_bpermute_b32 v3, v4, v1
	ds_bpermute_b32 v4, v4, v2
	v_cmpx_lt_u32_e64 v10, v8
	;; [unrolled: 35-line block ×4, first 2 shown]
	s_cbranch_execz .LBB535_74
; %bb.73:
	s_waitcnt lgkmcnt(2)
	v_and_b32_e32 v6, 1, v9
	s_waitcnt lgkmcnt(0)
	v_cmp_lt_i64_e32 vcc_lo, v[3:4], v[1:2]
	s_delay_alu instid0(VALU_DEP_2) | instskip(SKIP_1) | instid1(VALU_DEP_2)
	v_cmp_eq_u32_e64 s2, 1, v6
	v_and_b32_e32 v6, 1, v7
	v_cndmask_b32_e64 v7, v7, 1, s2
	s_and_b32 vcc_lo, s2, vcc_lo
	s_delay_alu instid0(VALU_DEP_2) | instskip(SKIP_1) | instid1(VALU_DEP_2)
	v_cmp_eq_u32_e64 s2, 1, v6
	v_dual_cndmask_b32 v1, v1, v3 :: v_dual_cndmask_b32 v2, v2, v4
	v_cndmask_b32_e64 v7, v9, v7, s2
	s_delay_alu instid0(VALU_DEP_2) | instskip(NEXT) | instid1(VALU_DEP_3)
	v_cndmask_b32_e64 v1, v3, v1, s2
	v_cndmask_b32_e64 v2, v4, v2, s2
	s_delay_alu instid0(VALU_DEP_3)
	v_and_b32_e32 v6, 0xff, v7
.LBB535_74:
	s_or_b32 exec_lo, exec_lo, s4
	s_delay_alu instid0(SALU_CYCLE_1)
	s_mov_b32 s2, exec_lo
	v_cmpx_eq_u32_e32 0, v5
	s_cbranch_execz .LBB535_76
; %bb.75:
	s_waitcnt lgkmcnt(1)
	v_lshrrev_b32_e32 v3, 1, v0
	s_delay_alu instid0(VALU_DEP_1)
	v_and_b32_e32 v3, 0x70, v3
	ds_store_b8 v3, v7 offset:512
	ds_store_b64 v3, v[1:2] offset:520
.LBB535_76:
	s_or_b32 exec_lo, exec_lo, s2
	s_delay_alu instid0(SALU_CYCLE_1)
	s_mov_b32 s4, exec_lo
	s_waitcnt lgkmcnt(0)
	s_barrier
	buffer_gl0_inv
	v_cmpx_gt_u32_e32 8, v0
	s_cbranch_execz .LBB535_84
; %bb.77:
	v_lshlrev_b32_e32 v1, 4, v5
	v_and_b32_e32 v8, 7, v5
	s_add_i32 s3, s3, 31
	s_mov_b32 s5, exec_lo
	s_lshr_b32 s3, s3, 5
	ds_load_u8 v7, v1 offset:512
	ds_load_b64 v[1:2], v1 offset:520
	v_cmp_ne_u32_e32 vcc_lo, 7, v8
	v_add_nc_u32_e32 v10, 1, v8
	v_add_co_ci_u32_e32 v3, vcc_lo, 0, v5, vcc_lo
	s_delay_alu instid0(VALU_DEP_1)
	v_lshlrev_b32_e32 v4, 2, v3
	s_waitcnt lgkmcnt(1)
	v_and_b32_e32 v6, 0xff, v7
	s_waitcnt lgkmcnt(0)
	ds_bpermute_b32 v3, v4, v1
	ds_bpermute_b32 v9, v4, v6
	;; [unrolled: 1-line block ×3, first 2 shown]
	v_cmpx_gt_u32_e64 s3, v10
	s_cbranch_execz .LBB535_79
; %bb.78:
	s_waitcnt lgkmcnt(1)
	v_and_b32_e32 v6, 1, v9
	s_waitcnt lgkmcnt(0)
	v_cmp_lt_i64_e32 vcc_lo, v[3:4], v[1:2]
	s_delay_alu instid0(VALU_DEP_2) | instskip(SKIP_1) | instid1(VALU_DEP_2)
	v_cmp_eq_u32_e64 s2, 1, v6
	v_and_b32_e32 v6, 1, v7
	v_cndmask_b32_e64 v7, v7, 1, s2
	s_and_b32 vcc_lo, s2, vcc_lo
	s_delay_alu instid0(VALU_DEP_2) | instskip(SKIP_1) | instid1(VALU_DEP_2)
	v_cmp_eq_u32_e64 s2, 1, v6
	v_dual_cndmask_b32 v1, v1, v3 :: v_dual_cndmask_b32 v2, v2, v4
	v_cndmask_b32_e64 v7, v9, v7, s2
	s_delay_alu instid0(VALU_DEP_2) | instskip(NEXT) | instid1(VALU_DEP_3)
	v_cndmask_b32_e64 v1, v3, v1, s2
	v_cndmask_b32_e64 v2, v4, v2, s2
	s_delay_alu instid0(VALU_DEP_3)
	v_and_b32_e32 v6, 0xff, v7
.LBB535_79:
	s_or_b32 exec_lo, exec_lo, s5
	v_cmp_gt_u32_e32 vcc_lo, 6, v8
	v_add_nc_u32_e32 v10, 2, v8
	s_mov_b32 s5, exec_lo
	s_waitcnt lgkmcnt(2)
	v_cndmask_b32_e64 v3, 0, 1, vcc_lo
	s_delay_alu instid0(VALU_DEP_1) | instskip(SKIP_1) | instid1(VALU_DEP_1)
	v_lshlrev_b32_e32 v3, 1, v3
	s_waitcnt lgkmcnt(0)
	v_add_lshl_u32 v4, v3, v5, 2
	ds_bpermute_b32 v9, v4, v6
	ds_bpermute_b32 v3, v4, v1
	;; [unrolled: 1-line block ×3, first 2 shown]
	v_cmpx_gt_u32_e64 s3, v10
	s_cbranch_execz .LBB535_81
; %bb.80:
	s_waitcnt lgkmcnt(2)
	v_and_b32_e32 v6, 1, v9
	s_waitcnt lgkmcnt(0)
	v_cmp_lt_i64_e32 vcc_lo, v[3:4], v[1:2]
	s_delay_alu instid0(VALU_DEP_2) | instskip(SKIP_1) | instid1(VALU_DEP_2)
	v_cmp_eq_u32_e64 s2, 1, v6
	v_and_b32_e32 v6, 1, v7
	v_cndmask_b32_e64 v7, v7, 1, s2
	s_and_b32 vcc_lo, s2, vcc_lo
	s_delay_alu instid0(VALU_DEP_2) | instskip(SKIP_1) | instid1(VALU_DEP_2)
	v_cmp_eq_u32_e64 s2, 1, v6
	v_dual_cndmask_b32 v1, v1, v3 :: v_dual_cndmask_b32 v2, v2, v4
	v_cndmask_b32_e64 v7, v9, v7, s2
	s_delay_alu instid0(VALU_DEP_2) | instskip(NEXT) | instid1(VALU_DEP_3)
	v_cndmask_b32_e64 v1, v3, v1, s2
	v_cndmask_b32_e64 v2, v4, v2, s2
	s_delay_alu instid0(VALU_DEP_3)
	v_and_b32_e32 v6, 0xff, v7
.LBB535_81:
	s_or_b32 exec_lo, exec_lo, s5
	v_cmp_gt_u32_e32 vcc_lo, 4, v8
	v_add_nc_u32_e32 v8, 4, v8
	s_waitcnt lgkmcnt(1)
	v_cndmask_b32_e64 v3, 0, 1, vcc_lo
	s_delay_alu instid0(VALU_DEP_2) | instskip(NEXT) | instid1(VALU_DEP_2)
	v_cmp_gt_u32_e32 vcc_lo, s3, v8
	v_lshlrev_b32_e32 v3, 2, v3
	s_waitcnt lgkmcnt(0)
	s_delay_alu instid0(VALU_DEP_1)
	v_add_lshl_u32 v4, v3, v5, 2
	ds_bpermute_b32 v5, v4, v6
	ds_bpermute_b32 v3, v4, v1
	;; [unrolled: 1-line block ×3, first 2 shown]
	s_and_saveexec_b32 s3, vcc_lo
	s_cbranch_execz .LBB535_83
; %bb.82:
	s_waitcnt lgkmcnt(2)
	v_and_b32_e32 v6, 1, v5
	s_waitcnt lgkmcnt(0)
	v_cmp_lt_i64_e32 vcc_lo, v[3:4], v[1:2]
	s_delay_alu instid0(VALU_DEP_2) | instskip(SKIP_1) | instid1(VALU_DEP_2)
	v_cmp_eq_u32_e64 s2, 1, v6
	v_and_b32_e32 v6, 1, v7
	v_cndmask_b32_e64 v7, v7, 1, s2
	s_and_b32 vcc_lo, s2, vcc_lo
	s_delay_alu instid0(VALU_DEP_2) | instskip(SKIP_1) | instid1(VALU_DEP_2)
	v_cmp_eq_u32_e64 s2, 1, v6
	v_dual_cndmask_b32 v1, v1, v3 :: v_dual_cndmask_b32 v2, v2, v4
	v_cndmask_b32_e64 v5, v5, v7, s2
	s_delay_alu instid0(VALU_DEP_2) | instskip(NEXT) | instid1(VALU_DEP_3)
	v_cndmask_b32_e64 v1, v3, v1, s2
	v_cndmask_b32_e64 v2, v4, v2, s2
	s_delay_alu instid0(VALU_DEP_3)
	v_and_b32_e32 v6, 0xff, v5
.LBB535_83:
	s_or_b32 exec_lo, exec_lo, s3
.LBB535_84:
	s_delay_alu instid0(SALU_CYCLE_1)
	s_or_b32 exec_lo, exec_lo, s4
.LBB535_85:
	s_mov_b32 s26, 0
                                        ; implicit-def: $vgpr3_vgpr4
                                        ; implicit-def: $vgpr5
	s_mov_b32 s2, exec_lo
	v_cmpx_eq_u32_e32 0, v0
	s_xor_b32 s4, exec_lo, s2
	s_cbranch_execz .LBB535_89
; %bb.86:
	s_waitcnt lgkmcnt(0)
	v_dual_mov_b32 v3, s20 :: v_dual_mov_b32 v4, s21
	v_mov_b32_e32 v5, s24
	s_cmp_eq_u64 s[14:15], 0
	s_cbranch_scc1 .LBB535_88
; %bb.87:
	v_and_b32_e32 v3, 1, v6
	v_cmp_gt_i64_e32 vcc_lo, s[20:21], v[1:2]
	s_bitcmp1_b32 s24, 0
	s_cselect_b32 s3, -1, 0
	s_delay_alu instid0(VALU_DEP_2) | instskip(NEXT) | instid1(VALU_DEP_1)
	v_cmp_eq_u32_e64 s2, 1, v3
	s_and_b32 vcc_lo, s2, vcc_lo
	v_cndmask_b32_e64 v3, s24, 1, s2
	v_cndmask_b32_e32 v7, s20, v1, vcc_lo
	v_cndmask_b32_e32 v4, s21, v2, vcc_lo
	s_delay_alu instid0(VALU_DEP_3) | instskip(NEXT) | instid1(VALU_DEP_3)
	v_cndmask_b32_e64 v5, v6, v3, s3
	v_cndmask_b32_e64 v3, v1, v7, s3
	s_delay_alu instid0(VALU_DEP_3)
	v_cndmask_b32_e64 v4, v2, v4, s3
.LBB535_88:
	s_mov_b32 s26, exec_lo
.LBB535_89:
	s_or_b32 exec_lo, exec_lo, s4
	s_delay_alu instid0(SALU_CYCLE_1)
	s_and_b32 vcc_lo, exec_lo, s27
	s_cbranch_vccnz .LBB535_22
.LBB535_90:
	s_branch .LBB535_200
.LBB535_91:
                                        ; implicit-def: $vgpr1_vgpr2
                                        ; implicit-def: $vgpr6
	s_cbranch_execz .LBB535_124
; %bb.92:
	s_waitcnt lgkmcnt(2)
	v_mov_b32_e32 v5, 0
	v_dual_mov_b32 v6, 0 :: v_dual_mov_b32 v11, 0
	s_delay_alu instid0(VALU_DEP_2) | instskip(SKIP_2) | instid1(VALU_DEP_3)
	v_mov_b32_e32 v1, v5
	v_mov_b32_e32 v9, 0
	s_sub_i32 s22, s14, s22
	v_mov_b32_e32 v2, v6
	s_mov_b32 s2, exec_lo
	v_cmpx_gt_u32_e64 s22, v0
	s_cbranch_execz .LBB535_94
; %bb.93:
	v_lshlrev_b32_e32 v1, 3, v0
	s_waitcnt lgkmcnt(0)
	s_clause 0x1
	global_load_b64 v[3:4], v1, s[6:7]
	global_load_b64 v[7:8], v1, s[8:9]
	v_add_co_u32 v1, s3, s5, v0
	s_delay_alu instid0(VALU_DEP_1)
	v_add_co_ci_u32_e64 v2, null, s23, 0, s3
	s_waitcnt vmcnt(0)
	v_cmp_ne_u64_e32 vcc_lo, v[3:4], v[7:8]
	v_cndmask_b32_e64 v9, 0, 1, vcc_lo
.LBB535_94:
	s_or_b32 exec_lo, exec_lo, s2
	s_waitcnt lgkmcnt(1)
	v_or_b32_e32 v3, 0x100, v0
	s_delay_alu instid0(VALU_DEP_1) | instskip(NEXT) | instid1(VALU_DEP_1)
	v_cmp_gt_u32_e64 s3, s22, v3
	s_and_saveexec_b32 s2, s3
	s_cbranch_execz .LBB535_96
; %bb.95:
	s_waitcnt lgkmcnt(0)
	v_lshlrev_b32_e32 v4, 3, v0
	v_add_co_u32 v5, s4, s5, v3
	s_delay_alu instid0(VALU_DEP_1)
	v_add_co_ci_u32_e64 v6, null, s23, 0, s4
	s_clause 0x1
	global_load_b64 v[7:8], v4, s[6:7] offset:2048
	global_load_b64 v[10:11], v4, s[8:9] offset:2048
	s_waitcnt vmcnt(0)
	v_cmp_ne_u64_e32 vcc_lo, v[7:8], v[10:11]
	v_cndmask_b32_e64 v11, 0, 1, vcc_lo
.LBB535_96:
	s_or_b32 exec_lo, exec_lo, s2
	s_waitcnt lgkmcnt(0)
	v_dual_mov_b32 v3, 0 :: v_dual_mov_b32 v10, 0
	v_mov_b32_e32 v4, 0
	v_or_b32_e32 v13, 0x200, v0
	v_mov_b32_e32 v12, 0
	s_delay_alu instid0(VALU_DEP_3) | instskip(NEXT) | instid1(VALU_DEP_3)
	v_dual_mov_b32 v8, v4 :: v_dual_mov_b32 v7, v3
	v_cmp_gt_u32_e64 s2, s22, v13
	s_delay_alu instid0(VALU_DEP_1)
	s_and_saveexec_b32 s4, s2
	s_cbranch_execz .LBB535_98
; %bb.97:
	v_lshlrev_b32_e32 v7, 3, v13
	s_clause 0x1
	global_load_b64 v[14:15], v7, s[6:7]
	global_load_b64 v[16:17], v7, s[8:9]
	v_add_co_u32 v7, s27, s5, v13
	s_delay_alu instid0(VALU_DEP_1)
	v_add_co_ci_u32_e64 v8, null, s23, 0, s27
	s_waitcnt vmcnt(0)
	v_cmp_ne_u64_e32 vcc_lo, v[14:15], v[16:17]
	v_cndmask_b32_e64 v12, 0, 1, vcc_lo
.LBB535_98:
	s_or_b32 exec_lo, exec_lo, s4
	v_or_b32_e32 v13, 0x300, v0
	s_delay_alu instid0(VALU_DEP_1)
	v_cmp_gt_u32_e32 vcc_lo, s22, v13
	s_and_saveexec_b32 s27, vcc_lo
	s_cbranch_execnz .LBB535_239
; %bb.99:
	s_or_b32 exec_lo, exec_lo, s27
	s_and_saveexec_b32 s5, s3
	s_cbranch_execnz .LBB535_240
.LBB535_100:
	s_or_b32 exec_lo, exec_lo, s5
	s_and_saveexec_b32 s4, s2
	s_cbranch_execnz .LBB535_241
.LBB535_101:
	s_or_b32 exec_lo, exec_lo, s4
	s_and_saveexec_b32 s3, vcc_lo
.LBB535_102:
	v_and_b32_e32 v5, 1, v10
	v_cmp_lt_i64_e32 vcc_lo, v[3:4], v[1:2]
	s_delay_alu instid0(VALU_DEP_2) | instskip(NEXT) | instid1(VALU_DEP_1)
	v_cmp_eq_u32_e64 s2, 1, v5
	s_and_b32 vcc_lo, s2, vcc_lo
	v_cndmask_b32_e64 v6, v9, 1, s2
	v_dual_cndmask_b32 v2, v2, v4 :: v_dual_and_b32 v5, 1, v9
	v_cndmask_b32_e32 v1, v1, v3, vcc_lo
	s_delay_alu instid0(VALU_DEP_2) | instskip(NEXT) | instid1(VALU_DEP_3)
	v_cmp_eq_u32_e32 vcc_lo, 1, v5
	v_cndmask_b32_e32 v2, v4, v2, vcc_lo
	v_cndmask_b32_e32 v9, v10, v6, vcc_lo
	s_delay_alu instid0(VALU_DEP_4)
	v_cndmask_b32_e32 v1, v3, v1, vcc_lo
.LBB535_103:
	s_or_b32 exec_lo, exec_lo, s3
	v_mbcnt_lo_u32_b32 v5, -1, 0
	v_and_b32_e32 v7, 0xe0, v0
	s_min_u32 s3, s22, 0x100
	v_and_b32_e32 v6, 0xffff, v9
	s_delay_alu instid0(VALU_DEP_3) | instskip(NEXT) | instid1(VALU_DEP_3)
	v_cmp_ne_u32_e32 vcc_lo, 31, v5
	v_sub_nc_u32_e64 v8, s3, v7 clamp
	v_add_nc_u32_e32 v7, 1, v5
	v_add_co_ci_u32_e32 v3, vcc_lo, 0, v5, vcc_lo
	s_delay_alu instid0(VALU_DEP_2) | instskip(NEXT) | instid1(VALU_DEP_2)
	v_cmp_lt_u32_e32 vcc_lo, v7, v8
	v_dual_mov_b32 v7, v6 :: v_dual_lshlrev_b32 v4, 2, v3
	ds_bpermute_b32 v10, v4, v6
	ds_bpermute_b32 v3, v4, v1
	;; [unrolled: 1-line block ×3, first 2 shown]
	s_and_saveexec_b32 s2, vcc_lo
	s_delay_alu instid0(SALU_CYCLE_1)
	s_xor_b32 s4, exec_lo, s2
	s_cbranch_execz .LBB535_105
; %bb.104:
	s_waitcnt lgkmcnt(2)
	v_and_b32_e32 v7, 1, v10
	s_waitcnt lgkmcnt(0)
	v_cmp_lt_i64_e32 vcc_lo, v[3:4], v[1:2]
	s_delay_alu instid0(VALU_DEP_2) | instskip(SKIP_1) | instid1(VALU_DEP_2)
	v_cmp_eq_u32_e64 s2, 1, v7
	v_and_b32_e32 v7, 1, v9
	v_cndmask_b32_e64 v6, v6, 1, s2
	s_and_b32 vcc_lo, s2, vcc_lo
	s_delay_alu instid0(VALU_DEP_2) | instskip(SKIP_1) | instid1(VALU_DEP_2)
	v_cmp_eq_u32_e64 s2, 1, v7
	v_dual_cndmask_b32 v2, v2, v4 :: v_dual_cndmask_b32 v1, v1, v3
	v_cndmask_b32_e64 v7, v10, v6, s2
	s_delay_alu instid0(VALU_DEP_2) | instskip(NEXT) | instid1(VALU_DEP_3)
	v_cndmask_b32_e64 v2, v4, v2, s2
	v_cndmask_b32_e64 v1, v3, v1, s2
	s_delay_alu instid0(VALU_DEP_3)
	v_and_b32_e32 v6, 0xff, v7
.LBB535_105:
	s_or_b32 exec_lo, exec_lo, s4
	v_cmp_gt_u32_e32 vcc_lo, 30, v5
	s_waitcnt lgkmcnt(2)
	v_add_nc_u32_e32 v10, 2, v5
	s_mov_b32 s4, exec_lo
	s_waitcnt lgkmcnt(1)
	v_cndmask_b32_e64 v3, 0, 1, vcc_lo
	s_delay_alu instid0(VALU_DEP_1) | instskip(SKIP_1) | instid1(VALU_DEP_1)
	v_lshlrev_b32_e32 v3, 1, v3
	s_waitcnt lgkmcnt(0)
	v_add_lshl_u32 v4, v3, v5, 2
	ds_bpermute_b32 v9, v4, v6
	ds_bpermute_b32 v3, v4, v1
	ds_bpermute_b32 v4, v4, v2
	v_cmpx_lt_u32_e64 v10, v8
	s_cbranch_execz .LBB535_107
; %bb.106:
	s_waitcnt lgkmcnt(2)
	v_and_b32_e32 v6, 1, v9
	s_waitcnt lgkmcnt(0)
	v_cmp_lt_i64_e32 vcc_lo, v[3:4], v[1:2]
	s_delay_alu instid0(VALU_DEP_2) | instskip(SKIP_1) | instid1(VALU_DEP_2)
	v_cmp_eq_u32_e64 s2, 1, v6
	v_and_b32_e32 v6, 1, v7
	v_cndmask_b32_e64 v7, v7, 1, s2
	s_and_b32 vcc_lo, s2, vcc_lo
	s_delay_alu instid0(VALU_DEP_2) | instskip(SKIP_1) | instid1(VALU_DEP_2)
	v_cmp_eq_u32_e64 s2, 1, v6
	v_dual_cndmask_b32 v1, v1, v3 :: v_dual_cndmask_b32 v2, v2, v4
	v_cndmask_b32_e64 v7, v9, v7, s2
	s_delay_alu instid0(VALU_DEP_2) | instskip(NEXT) | instid1(VALU_DEP_3)
	v_cndmask_b32_e64 v1, v3, v1, s2
	v_cndmask_b32_e64 v2, v4, v2, s2
	s_delay_alu instid0(VALU_DEP_3)
	v_and_b32_e32 v6, 0xff, v7
.LBB535_107:
	s_or_b32 exec_lo, exec_lo, s4
	v_cmp_gt_u32_e32 vcc_lo, 28, v5
	v_add_nc_u32_e32 v10, 4, v5
	s_mov_b32 s4, exec_lo
	s_waitcnt lgkmcnt(1)
	v_cndmask_b32_e64 v3, 0, 1, vcc_lo
	s_delay_alu instid0(VALU_DEP_1) | instskip(SKIP_1) | instid1(VALU_DEP_1)
	v_lshlrev_b32_e32 v3, 2, v3
	s_waitcnt lgkmcnt(0)
	v_add_lshl_u32 v4, v3, v5, 2
	ds_bpermute_b32 v9, v4, v6
	ds_bpermute_b32 v3, v4, v1
	ds_bpermute_b32 v4, v4, v2
	v_cmpx_lt_u32_e64 v10, v8
	s_cbranch_execz .LBB535_109
; %bb.108:
	s_waitcnt lgkmcnt(2)
	v_and_b32_e32 v6, 1, v9
	s_waitcnt lgkmcnt(0)
	v_cmp_lt_i64_e32 vcc_lo, v[3:4], v[1:2]
	s_delay_alu instid0(VALU_DEP_2) | instskip(SKIP_1) | instid1(VALU_DEP_2)
	v_cmp_eq_u32_e64 s2, 1, v6
	v_and_b32_e32 v6, 1, v7
	v_cndmask_b32_e64 v7, v7, 1, s2
	s_and_b32 vcc_lo, s2, vcc_lo
	s_delay_alu instid0(VALU_DEP_2) | instskip(SKIP_1) | instid1(VALU_DEP_2)
	v_cmp_eq_u32_e64 s2, 1, v6
	v_dual_cndmask_b32 v1, v1, v3 :: v_dual_cndmask_b32 v2, v2, v4
	v_cndmask_b32_e64 v7, v9, v7, s2
	s_delay_alu instid0(VALU_DEP_2) | instskip(NEXT) | instid1(VALU_DEP_3)
	v_cndmask_b32_e64 v1, v3, v1, s2
	v_cndmask_b32_e64 v2, v4, v2, s2
	s_delay_alu instid0(VALU_DEP_3)
	v_and_b32_e32 v6, 0xff, v7
.LBB535_109:
	s_or_b32 exec_lo, exec_lo, s4
	v_cmp_gt_u32_e32 vcc_lo, 24, v5
	v_add_nc_u32_e32 v10, 8, v5
	s_mov_b32 s4, exec_lo
	s_waitcnt lgkmcnt(1)
	v_cndmask_b32_e64 v3, 0, 1, vcc_lo
	s_delay_alu instid0(VALU_DEP_1) | instskip(SKIP_1) | instid1(VALU_DEP_1)
	v_lshlrev_b32_e32 v3, 3, v3
	s_waitcnt lgkmcnt(0)
	v_add_lshl_u32 v4, v3, v5, 2
	ds_bpermute_b32 v9, v4, v6
	ds_bpermute_b32 v3, v4, v1
	ds_bpermute_b32 v4, v4, v2
	v_cmpx_lt_u32_e64 v10, v8
	s_cbranch_execz .LBB535_111
; %bb.110:
	s_waitcnt lgkmcnt(2)
	v_and_b32_e32 v6, 1, v9
	s_waitcnt lgkmcnt(0)
	v_cmp_lt_i64_e32 vcc_lo, v[3:4], v[1:2]
	s_delay_alu instid0(VALU_DEP_2) | instskip(SKIP_1) | instid1(VALU_DEP_2)
	v_cmp_eq_u32_e64 s2, 1, v6
	v_and_b32_e32 v6, 1, v7
	v_cndmask_b32_e64 v7, v7, 1, s2
	s_and_b32 vcc_lo, s2, vcc_lo
	s_delay_alu instid0(VALU_DEP_2) | instskip(SKIP_1) | instid1(VALU_DEP_2)
	v_cmp_eq_u32_e64 s2, 1, v6
	v_dual_cndmask_b32 v1, v1, v3 :: v_dual_cndmask_b32 v2, v2, v4
	v_cndmask_b32_e64 v7, v9, v7, s2
	s_delay_alu instid0(VALU_DEP_2) | instskip(NEXT) | instid1(VALU_DEP_3)
	v_cndmask_b32_e64 v1, v3, v1, s2
	v_cndmask_b32_e64 v2, v4, v2, s2
	s_delay_alu instid0(VALU_DEP_3)
	v_and_b32_e32 v6, 0xff, v7
.LBB535_111:
	s_or_b32 exec_lo, exec_lo, s4
	v_cmp_gt_u32_e32 vcc_lo, 16, v5
	v_add_nc_u32_e32 v10, 16, v5
	s_mov_b32 s4, exec_lo
	s_waitcnt lgkmcnt(1)
	v_cndmask_b32_e64 v3, 0, 1, vcc_lo
	s_delay_alu instid0(VALU_DEP_1) | instskip(SKIP_1) | instid1(VALU_DEP_1)
	v_lshlrev_b32_e32 v3, 4, v3
	s_waitcnt lgkmcnt(0)
	v_add_lshl_u32 v4, v3, v5, 2
	ds_bpermute_b32 v9, v4, v6
	ds_bpermute_b32 v3, v4, v1
	;; [unrolled: 1-line block ×3, first 2 shown]
	v_cmpx_lt_u32_e64 v10, v8
	s_cbranch_execz .LBB535_113
; %bb.112:
	s_waitcnt lgkmcnt(2)
	v_and_b32_e32 v6, 1, v9
	s_waitcnt lgkmcnt(0)
	v_cmp_lt_i64_e32 vcc_lo, v[3:4], v[1:2]
	s_delay_alu instid0(VALU_DEP_2) | instskip(SKIP_1) | instid1(VALU_DEP_2)
	v_cmp_eq_u32_e64 s2, 1, v6
	v_and_b32_e32 v6, 1, v7
	v_cndmask_b32_e64 v7, v7, 1, s2
	s_and_b32 vcc_lo, s2, vcc_lo
	s_delay_alu instid0(VALU_DEP_2) | instskip(SKIP_1) | instid1(VALU_DEP_2)
	v_cmp_eq_u32_e64 s2, 1, v6
	v_dual_cndmask_b32 v1, v1, v3 :: v_dual_cndmask_b32 v2, v2, v4
	v_cndmask_b32_e64 v7, v9, v7, s2
	s_delay_alu instid0(VALU_DEP_2) | instskip(NEXT) | instid1(VALU_DEP_3)
	v_cndmask_b32_e64 v1, v3, v1, s2
	v_cndmask_b32_e64 v2, v4, v2, s2
	s_delay_alu instid0(VALU_DEP_3)
	v_and_b32_e32 v6, 0xff, v7
.LBB535_113:
	s_or_b32 exec_lo, exec_lo, s4
	s_delay_alu instid0(SALU_CYCLE_1)
	s_mov_b32 s2, exec_lo
	v_cmpx_eq_u32_e32 0, v5
	s_cbranch_execz .LBB535_115
; %bb.114:
	s_waitcnt lgkmcnt(1)
	v_lshrrev_b32_e32 v3, 1, v0
	s_delay_alu instid0(VALU_DEP_1)
	v_and_b32_e32 v3, 0x70, v3
	ds_store_b8 v3, v7 offset:512
	ds_store_b64 v3, v[1:2] offset:520
.LBB535_115:
	s_or_b32 exec_lo, exec_lo, s2
	s_delay_alu instid0(SALU_CYCLE_1)
	s_mov_b32 s4, exec_lo
	s_waitcnt lgkmcnt(0)
	s_barrier
	buffer_gl0_inv
	v_cmpx_gt_u32_e32 8, v0
	s_cbranch_execz .LBB535_123
; %bb.116:
	v_lshlrev_b32_e32 v1, 4, v5
	v_and_b32_e32 v8, 7, v5
	s_add_i32 s3, s3, 31
	s_mov_b32 s5, exec_lo
	s_lshr_b32 s3, s3, 5
	ds_load_u8 v7, v1 offset:512
	ds_load_b64 v[1:2], v1 offset:520
	v_cmp_ne_u32_e32 vcc_lo, 7, v8
	v_add_nc_u32_e32 v10, 1, v8
	v_add_co_ci_u32_e32 v3, vcc_lo, 0, v5, vcc_lo
	s_delay_alu instid0(VALU_DEP_1)
	v_lshlrev_b32_e32 v4, 2, v3
	s_waitcnt lgkmcnt(1)
	v_and_b32_e32 v6, 0xff, v7
	s_waitcnt lgkmcnt(0)
	ds_bpermute_b32 v3, v4, v1
	ds_bpermute_b32 v9, v4, v6
	;; [unrolled: 1-line block ×3, first 2 shown]
	v_cmpx_gt_u32_e64 s3, v10
	s_cbranch_execz .LBB535_118
; %bb.117:
	s_waitcnt lgkmcnt(1)
	v_and_b32_e32 v6, 1, v9
	s_waitcnt lgkmcnt(0)
	v_cmp_lt_i64_e32 vcc_lo, v[3:4], v[1:2]
	s_delay_alu instid0(VALU_DEP_2) | instskip(SKIP_1) | instid1(VALU_DEP_2)
	v_cmp_eq_u32_e64 s2, 1, v6
	v_and_b32_e32 v6, 1, v7
	v_cndmask_b32_e64 v7, v7, 1, s2
	s_and_b32 vcc_lo, s2, vcc_lo
	s_delay_alu instid0(VALU_DEP_2) | instskip(SKIP_1) | instid1(VALU_DEP_2)
	v_cmp_eq_u32_e64 s2, 1, v6
	v_dual_cndmask_b32 v1, v1, v3 :: v_dual_cndmask_b32 v2, v2, v4
	v_cndmask_b32_e64 v7, v9, v7, s2
	s_delay_alu instid0(VALU_DEP_2) | instskip(NEXT) | instid1(VALU_DEP_3)
	v_cndmask_b32_e64 v1, v3, v1, s2
	v_cndmask_b32_e64 v2, v4, v2, s2
	s_delay_alu instid0(VALU_DEP_3)
	v_and_b32_e32 v6, 0xff, v7
.LBB535_118:
	s_or_b32 exec_lo, exec_lo, s5
	v_cmp_gt_u32_e32 vcc_lo, 6, v8
	v_add_nc_u32_e32 v10, 2, v8
	s_mov_b32 s5, exec_lo
	s_waitcnt lgkmcnt(2)
	v_cndmask_b32_e64 v3, 0, 1, vcc_lo
	s_delay_alu instid0(VALU_DEP_1) | instskip(SKIP_1) | instid1(VALU_DEP_1)
	v_lshlrev_b32_e32 v3, 1, v3
	s_waitcnt lgkmcnt(0)
	v_add_lshl_u32 v4, v3, v5, 2
	ds_bpermute_b32 v9, v4, v6
	ds_bpermute_b32 v3, v4, v1
	ds_bpermute_b32 v4, v4, v2
	v_cmpx_gt_u32_e64 s3, v10
	s_cbranch_execz .LBB535_120
; %bb.119:
	s_waitcnt lgkmcnt(2)
	v_and_b32_e32 v6, 1, v9
	s_waitcnt lgkmcnt(0)
	v_cmp_lt_i64_e32 vcc_lo, v[3:4], v[1:2]
	s_delay_alu instid0(VALU_DEP_2) | instskip(SKIP_1) | instid1(VALU_DEP_2)
	v_cmp_eq_u32_e64 s2, 1, v6
	v_and_b32_e32 v6, 1, v7
	v_cndmask_b32_e64 v7, v7, 1, s2
	s_and_b32 vcc_lo, s2, vcc_lo
	s_delay_alu instid0(VALU_DEP_2) | instskip(SKIP_1) | instid1(VALU_DEP_2)
	v_cmp_eq_u32_e64 s2, 1, v6
	v_dual_cndmask_b32 v1, v1, v3 :: v_dual_cndmask_b32 v2, v2, v4
	v_cndmask_b32_e64 v7, v9, v7, s2
	s_delay_alu instid0(VALU_DEP_2) | instskip(NEXT) | instid1(VALU_DEP_3)
	v_cndmask_b32_e64 v1, v3, v1, s2
	v_cndmask_b32_e64 v2, v4, v2, s2
	s_delay_alu instid0(VALU_DEP_3)
	v_and_b32_e32 v6, 0xff, v7
.LBB535_120:
	s_or_b32 exec_lo, exec_lo, s5
	v_cmp_gt_u32_e32 vcc_lo, 4, v8
	v_add_nc_u32_e32 v8, 4, v8
	s_waitcnt lgkmcnt(1)
	v_cndmask_b32_e64 v3, 0, 1, vcc_lo
	s_delay_alu instid0(VALU_DEP_2) | instskip(NEXT) | instid1(VALU_DEP_2)
	v_cmp_gt_u32_e32 vcc_lo, s3, v8
	v_lshlrev_b32_e32 v3, 2, v3
	s_waitcnt lgkmcnt(0)
	s_delay_alu instid0(VALU_DEP_1)
	v_add_lshl_u32 v4, v3, v5, 2
	ds_bpermute_b32 v5, v4, v6
	ds_bpermute_b32 v3, v4, v1
	;; [unrolled: 1-line block ×3, first 2 shown]
	s_and_saveexec_b32 s3, vcc_lo
	s_cbranch_execz .LBB535_122
; %bb.121:
	s_waitcnt lgkmcnt(2)
	v_and_b32_e32 v6, 1, v5
	s_waitcnt lgkmcnt(0)
	v_cmp_lt_i64_e32 vcc_lo, v[3:4], v[1:2]
	s_delay_alu instid0(VALU_DEP_2) | instskip(SKIP_1) | instid1(VALU_DEP_2)
	v_cmp_eq_u32_e64 s2, 1, v6
	v_and_b32_e32 v6, 1, v7
	v_cndmask_b32_e64 v7, v7, 1, s2
	s_and_b32 vcc_lo, s2, vcc_lo
	s_delay_alu instid0(VALU_DEP_2) | instskip(SKIP_1) | instid1(VALU_DEP_2)
	v_cmp_eq_u32_e64 s2, 1, v6
	v_dual_cndmask_b32 v1, v1, v3 :: v_dual_cndmask_b32 v2, v2, v4
	v_cndmask_b32_e64 v5, v5, v7, s2
	s_delay_alu instid0(VALU_DEP_2) | instskip(NEXT) | instid1(VALU_DEP_3)
	v_cndmask_b32_e64 v1, v3, v1, s2
	v_cndmask_b32_e64 v2, v4, v2, s2
	s_delay_alu instid0(VALU_DEP_3)
	v_and_b32_e32 v6, 0xff, v5
.LBB535_122:
	s_or_b32 exec_lo, exec_lo, s3
.LBB535_123:
	s_delay_alu instid0(SALU_CYCLE_1)
	s_or_b32 exec_lo, exec_lo, s4
.LBB535_124:
                                        ; implicit-def: $vgpr3_vgpr4
                                        ; implicit-def: $vgpr5
	s_delay_alu instid0(SALU_CYCLE_1)
	s_mov_b32 s2, exec_lo
	v_cmpx_eq_u32_e32 0, v0
	s_xor_b32 s4, exec_lo, s2
	s_cbranch_execz .LBB535_128
; %bb.125:
	s_waitcnt lgkmcnt(0)
	v_dual_mov_b32 v3, s20 :: v_dual_mov_b32 v4, s21
	v_mov_b32_e32 v5, s24
	s_cmp_eq_u64 s[14:15], 0
	s_cbranch_scc1 .LBB535_127
; %bb.126:
	v_and_b32_e32 v3, 1, v6
	v_cmp_gt_i64_e32 vcc_lo, s[20:21], v[1:2]
	s_bitcmp1_b32 s24, 0
	s_cselect_b32 s3, -1, 0
	s_delay_alu instid0(VALU_DEP_2) | instskip(NEXT) | instid1(VALU_DEP_1)
	v_cmp_eq_u32_e64 s2, 1, v3
	s_and_b32 vcc_lo, s2, vcc_lo
	v_cndmask_b32_e64 v3, s24, 1, s2
	v_cndmask_b32_e32 v7, s20, v1, vcc_lo
	v_cndmask_b32_e32 v4, s21, v2, vcc_lo
	s_delay_alu instid0(VALU_DEP_3) | instskip(NEXT) | instid1(VALU_DEP_3)
	v_cndmask_b32_e64 v5, v6, v3, s3
	v_cndmask_b32_e64 v3, v1, v7, s3
	s_delay_alu instid0(VALU_DEP_3)
	v_cndmask_b32_e64 v4, v2, v4, s3
.LBB535_127:
	s_or_b32 s26, s26, exec_lo
.LBB535_128:
	s_or_b32 exec_lo, exec_lo, s4
	s_branch .LBB535_200
.LBB535_129:
	s_cmp_gt_i32 s25, 1
	s_cbranch_scc0 .LBB535_147
; %bb.130:
	s_cmp_eq_u32 s25, 2
	s_cbranch_scc0 .LBB535_148
; %bb.131:
	s_mov_b32 s11, 0
	s_lshl_b32 s8, s10, 9
	s_mov_b32 s9, s11
	s_lshr_b64 s[28:29], s[14:15], 9
	s_lshl_b64 s[2:3], s[8:9], 3
	s_delay_alu instid0(SALU_CYCLE_1)
	s_add_u32 s4, s16, s2
	s_addc_u32 s5, s17, s3
	s_add_u32 s6, s18, s2
	s_addc_u32 s7, s19, s3
	;; [unrolled: 2-line block ×3, first 2 shown]
	s_cmp_lg_u64 s[28:29], s[10:11]
	s_cbranch_scc0 .LBB535_149
; %bb.132:
	v_lshlrev_b32_e32 v7, 3, v0
	v_add_co_u32 v9, s2, s9, v0
	s_delay_alu instid0(VALU_DEP_1)
	v_add_co_ci_u32_e64 v10, null, s22, 0, s2
	global_load_b64 v[1:2], v7, s[6:7] offset:2048
	s_waitcnt lgkmcnt(0)
	s_clause 0x2
	global_load_b64 v[3:4], v7, s[6:7]
	global_load_b64 v[5:6], v7, s[4:5] offset:2048
	global_load_b64 v[7:8], v7, s[4:5]
	v_add_co_u32 v11, vcc_lo, 0x100, v9
	v_add_co_ci_u32_e32 v12, vcc_lo, 0, v10, vcc_lo
	s_mov_b32 s23, exec_lo
	s_waitcnt vmcnt(1)
	v_cmp_ne_u64_e32 vcc_lo, v[5:6], v[1:2]
	s_waitcnt vmcnt(0)
	v_cmp_ne_u64_e64 s2, v[7:8], v[3:4]
	s_delay_alu instid0(VALU_DEP_1) | instskip(SKIP_3) | instid1(VALU_DEP_3)
	s_or_b32 s3, s2, vcc_lo
	v_cndmask_b32_e64 v2, v12, v10, s2
	v_cndmask_b32_e64 v5, 0, 1, s3
	;; [unrolled: 1-line block ×3, first 2 shown]
	v_mov_b32_dpp v4, v2 quad_perm:[1,0,3,2] row_mask:0xf bank_mask:0xf
	s_delay_alu instid0(VALU_DEP_3) | instskip(NEXT) | instid1(VALU_DEP_3)
	v_mov_b32_dpp v6, v5 quad_perm:[1,0,3,2] row_mask:0xf bank_mask:0xf
	v_mov_b32_dpp v3, v1 quad_perm:[1,0,3,2] row_mask:0xf bank_mask:0xf
	s_delay_alu instid0(VALU_DEP_2) | instskip(NEXT) | instid1(VALU_DEP_1)
	v_and_b32_e32 v7, 1, v6
	v_cmpx_eq_u32_e32 1, v7
; %bb.133:
	v_cndmask_b32_e64 v5, v6, 1, s3
	s_delay_alu instid0(VALU_DEP_4) | instskip(NEXT) | instid1(VALU_DEP_2)
	v_cmp_lt_i64_e32 vcc_lo, v[1:2], v[3:4]
	v_and_b32_e32 v6, 1, v5
	v_and_b32_e32 v5, 0xff, v5
	s_and_b32 vcc_lo, s3, vcc_lo
	s_and_not1_b32 s3, s3, exec_lo
	v_dual_cndmask_b32 v2, v4, v2 :: v_dual_cndmask_b32 v1, v3, v1
	v_cmp_eq_u32_e64 s2, 1, v6
	s_delay_alu instid0(VALU_DEP_1) | instskip(NEXT) | instid1(SALU_CYCLE_1)
	s_and_b32 s2, s2, exec_lo
	s_or_b32 s3, s3, s2
; %bb.134:
	s_or_b32 exec_lo, exec_lo, s23
	v_mov_b32_dpp v6, v5 quad_perm:[2,3,0,1] row_mask:0xf bank_mask:0xf
	v_mov_b32_dpp v3, v1 quad_perm:[2,3,0,1] row_mask:0xf bank_mask:0xf
	;; [unrolled: 1-line block ×3, first 2 shown]
	s_mov_b32 s23, exec_lo
	s_delay_alu instid0(VALU_DEP_3) | instskip(NEXT) | instid1(VALU_DEP_1)
	v_and_b32_e32 v7, 1, v6
	v_cmpx_eq_u32_e32 1, v7
; %bb.135:
	v_cndmask_b32_e64 v5, v6, 1, s3
	v_cmp_lt_i64_e32 vcc_lo, v[1:2], v[3:4]
	s_delay_alu instid0(VALU_DEP_2)
	v_and_b32_e32 v6, 1, v5
	v_and_b32_e32 v5, 0xff, v5
	s_and_b32 vcc_lo, s3, vcc_lo
	s_and_not1_b32 s3, s3, exec_lo
	v_dual_cndmask_b32 v2, v4, v2 :: v_dual_cndmask_b32 v1, v3, v1
	v_cmp_eq_u32_e64 s2, 1, v6
	s_delay_alu instid0(VALU_DEP_1) | instskip(NEXT) | instid1(SALU_CYCLE_1)
	s_and_b32 s2, s2, exec_lo
	s_or_b32 s3, s3, s2
; %bb.136:
	s_or_b32 exec_lo, exec_lo, s23
	v_mov_b32_dpp v6, v5 row_ror:4 row_mask:0xf bank_mask:0xf
	v_mov_b32_dpp v3, v1 row_ror:4 row_mask:0xf bank_mask:0xf
	;; [unrolled: 1-line block ×3, first 2 shown]
	s_mov_b32 s23, exec_lo
	s_delay_alu instid0(VALU_DEP_3) | instskip(NEXT) | instid1(VALU_DEP_1)
	v_and_b32_e32 v7, 1, v6
	v_cmpx_eq_u32_e32 1, v7
; %bb.137:
	v_cndmask_b32_e64 v5, v6, 1, s3
	v_cmp_lt_i64_e32 vcc_lo, v[1:2], v[3:4]
	s_delay_alu instid0(VALU_DEP_2)
	v_and_b32_e32 v6, 1, v5
	v_and_b32_e32 v5, 0xff, v5
	s_and_b32 vcc_lo, s3, vcc_lo
	s_and_not1_b32 s3, s3, exec_lo
	v_dual_cndmask_b32 v2, v4, v2 :: v_dual_cndmask_b32 v1, v3, v1
	v_cmp_eq_u32_e64 s2, 1, v6
	s_delay_alu instid0(VALU_DEP_1) | instskip(NEXT) | instid1(SALU_CYCLE_1)
	s_and_b32 s2, s2, exec_lo
	s_or_b32 s3, s3, s2
; %bb.138:
	s_or_b32 exec_lo, exec_lo, s23
	v_mov_b32_dpp v6, v5 row_ror:8 row_mask:0xf bank_mask:0xf
	v_mov_b32_dpp v3, v1 row_ror:8 row_mask:0xf bank_mask:0xf
	v_mov_b32_dpp v4, v2 row_ror:8 row_mask:0xf bank_mask:0xf
	s_mov_b32 s23, exec_lo
	s_delay_alu instid0(VALU_DEP_3) | instskip(NEXT) | instid1(VALU_DEP_1)
	v_and_b32_e32 v7, 1, v6
	v_cmpx_eq_u32_e32 1, v7
; %bb.139:
	v_cndmask_b32_e64 v5, v6, 1, s3
	v_cmp_lt_i64_e32 vcc_lo, v[1:2], v[3:4]
	s_delay_alu instid0(VALU_DEP_2)
	v_and_b32_e32 v6, 1, v5
	v_and_b32_e32 v5, 0xff, v5
	s_and_b32 vcc_lo, s3, vcc_lo
	s_and_not1_b32 s3, s3, exec_lo
	v_dual_cndmask_b32 v2, v4, v2 :: v_dual_cndmask_b32 v1, v3, v1
	v_cmp_eq_u32_e64 s2, 1, v6
	s_delay_alu instid0(VALU_DEP_1) | instskip(NEXT) | instid1(SALU_CYCLE_1)
	s_and_b32 s2, s2, exec_lo
	s_or_b32 s3, s3, s2
; %bb.140:
	s_or_b32 exec_lo, exec_lo, s23
	ds_swizzle_b32 v6, v5 offset:swizzle(BROADCAST,32,15)
	ds_swizzle_b32 v3, v1 offset:swizzle(BROADCAST,32,15)
	;; [unrolled: 1-line block ×3, first 2 shown]
	s_mov_b32 s2, exec_lo
	s_waitcnt lgkmcnt(2)
	v_and_b32_e32 v7, 1, v6
	s_delay_alu instid0(VALU_DEP_1)
	v_cmpx_eq_u32_e32 1, v7
	s_cbranch_execz .LBB535_142
; %bb.141:
	s_waitcnt lgkmcnt(0)
	v_cmp_lt_i64_e32 vcc_lo, v[1:2], v[3:4]
	v_and_b32_e32 v5, 0xff, v6
	s_delay_alu instid0(VALU_DEP_1)
	v_cndmask_b32_e64 v5, v5, 1, s3
	s_and_b32 vcc_lo, s3, vcc_lo
	v_dual_cndmask_b32 v1, v3, v1 :: v_dual_cndmask_b32 v2, v4, v2
.LBB535_142:
	s_or_b32 exec_lo, exec_lo, s2
	s_waitcnt lgkmcnt(1)
	v_mov_b32_e32 v3, 0
	s_mov_b32 s2, exec_lo
	ds_bpermute_b32 v6, v3, v5 offset:124
	ds_bpermute_b32 v1, v3, v1 offset:124
	;; [unrolled: 1-line block ×3, first 2 shown]
	v_mbcnt_lo_u32_b32 v3, -1, 0
	s_delay_alu instid0(VALU_DEP_1)
	v_cmpx_eq_u32_e32 0, v3
	s_cbranch_execz .LBB535_144
; %bb.143:
	s_waitcnt lgkmcnt(3)
	v_lshrrev_b32_e32 v4, 1, v0
	s_delay_alu instid0(VALU_DEP_1)
	v_and_b32_e32 v4, 0x70, v4
	s_waitcnt lgkmcnt(2)
	ds_store_b8 v4, v6 offset:128
	s_waitcnt lgkmcnt(1)
	ds_store_b64 v4, v[1:2] offset:136
.LBB535_144:
	s_or_b32 exec_lo, exec_lo, s2
	s_delay_alu instid0(SALU_CYCLE_1)
	s_mov_b32 s23, exec_lo
	s_waitcnt lgkmcnt(0)
	s_barrier
	buffer_gl0_inv
	v_cmpx_gt_u32_e32 32, v0
	s_cbranch_execz .LBB535_146
; %bb.145:
	v_and_b32_e32 v6, 7, v3
	s_delay_alu instid0(VALU_DEP_1)
	v_lshlrev_b32_e32 v1, 4, v6
	v_cmp_ne_u32_e32 vcc_lo, 7, v6
	ds_load_u8 v7, v1 offset:128
	ds_load_b64 v[1:2], v1 offset:136
	v_add_co_ci_u32_e32 v4, vcc_lo, 0, v3, vcc_lo
	v_cmp_gt_u32_e32 vcc_lo, 6, v6
	s_delay_alu instid0(VALU_DEP_2)
	v_lshlrev_b32_e32 v5, 2, v4
	v_cndmask_b32_e64 v10, 0, 1, vcc_lo
	s_waitcnt lgkmcnt(1)
	v_and_b32_e32 v4, 0xff, v7
	v_and_b32_e32 v11, 1, v7
	ds_bpermute_b32 v8, v5, v4
	s_waitcnt lgkmcnt(1)
	ds_bpermute_b32 v4, v5, v1
	ds_bpermute_b32 v5, v5, v2
	v_cmp_eq_u32_e64 s3, 1, v11
	s_waitcnt lgkmcnt(2)
	v_and_b32_e32 v9, 1, v8
	s_waitcnt lgkmcnt(0)
	v_cmp_lt_i64_e64 s2, v[4:5], v[1:2]
	s_delay_alu instid0(VALU_DEP_2) | instskip(SKIP_2) | instid1(VALU_DEP_4)
	v_cmp_eq_u32_e32 vcc_lo, 1, v9
	v_lshlrev_b32_e32 v9, 1, v10
	v_cndmask_b32_e64 v7, v7, 1, vcc_lo
	s_and_b32 vcc_lo, vcc_lo, s2
	v_dual_cndmask_b32 v1, v1, v4 :: v_dual_cndmask_b32 v2, v2, v5
	s_delay_alu instid0(VALU_DEP_2) | instskip(SKIP_2) | instid1(VALU_DEP_4)
	v_cndmask_b32_e64 v7, v8, v7, s3
	v_add_lshl_u32 v8, v9, v3, 2
	v_cmp_gt_u32_e32 vcc_lo, 4, v6
	v_cndmask_b32_e64 v1, v4, v1, s3
	v_cndmask_b32_e64 v2, v5, v2, s3
	v_and_b32_e32 v9, 0xff, v7
	v_and_b32_e32 v10, 1, v7
	v_cndmask_b32_e64 v6, 0, 1, vcc_lo
	ds_bpermute_b32 v4, v8, v1
	ds_bpermute_b32 v5, v8, v2
	;; [unrolled: 1-line block ×3, first 2 shown]
	v_cmp_eq_u32_e64 s3, 1, v10
	s_waitcnt lgkmcnt(1)
	v_cmp_lt_i64_e64 s2, v[4:5], v[1:2]
	s_waitcnt lgkmcnt(0)
	v_and_b32_e32 v8, 1, v9
	s_delay_alu instid0(VALU_DEP_1) | instskip(SKIP_1) | instid1(VALU_DEP_4)
	v_cmp_eq_u32_e32 vcc_lo, 1, v8
	v_cndmask_b32_e64 v7, v7, 1, vcc_lo
	s_and_b32 vcc_lo, vcc_lo, s2
	v_dual_cndmask_b32 v1, v1, v4 :: v_dual_cndmask_b32 v2, v2, v5
	s_delay_alu instid0(VALU_DEP_2) | instskip(NEXT) | instid1(VALU_DEP_2)
	v_cndmask_b32_e64 v7, v9, v7, s3
	v_cndmask_b32_e64 v1, v4, v1, s3
	v_lshlrev_b32_e32 v6, 2, v6
	s_delay_alu instid0(VALU_DEP_4) | instskip(NEXT) | instid1(VALU_DEP_2)
	v_cndmask_b32_e64 v2, v5, v2, s3
	v_add_lshl_u32 v6, v6, v3, 2
	v_and_b32_e32 v3, 0xff, v7
	ds_bpermute_b32 v4, v6, v2
	ds_bpermute_b32 v5, v6, v3
	;; [unrolled: 1-line block ×3, first 2 shown]
	s_waitcnt lgkmcnt(1)
	v_and_b32_e32 v6, 1, v5
	s_waitcnt lgkmcnt(0)
	v_cmp_lt_i64_e32 vcc_lo, v[3:4], v[1:2]
	s_delay_alu instid0(VALU_DEP_2) | instskip(SKIP_1) | instid1(VALU_DEP_2)
	v_cmp_eq_u32_e64 s2, 1, v6
	v_and_b32_e32 v6, 1, v7
	v_cndmask_b32_e64 v7, v7, 1, s2
	s_and_b32 vcc_lo, s2, vcc_lo
	s_delay_alu instid0(VALU_DEP_2) | instskip(SKIP_1) | instid1(VALU_DEP_2)
	v_cmp_eq_u32_e64 s2, 1, v6
	v_dual_cndmask_b32 v1, v1, v3 :: v_dual_cndmask_b32 v2, v2, v4
	v_cndmask_b32_e64 v5, v5, v7, s2
	s_delay_alu instid0(VALU_DEP_2) | instskip(NEXT) | instid1(VALU_DEP_3)
	v_cndmask_b32_e64 v1, v3, v1, s2
	v_cndmask_b32_e64 v2, v4, v2, s2
	s_delay_alu instid0(VALU_DEP_3)
	v_and_b32_e32 v6, 0xff, v5
.LBB535_146:
	s_or_b32 exec_lo, exec_lo, s23
	s_branch .LBB535_177
.LBB535_147:
                                        ; implicit-def: $vgpr3_vgpr4
                                        ; implicit-def: $vgpr5
	s_cbranch_execnz .LBB535_182
	s_branch .LBB535_200
.LBB535_148:
                                        ; implicit-def: $vgpr3_vgpr4
                                        ; implicit-def: $vgpr5
	s_branch .LBB535_200
.LBB535_149:
                                        ; implicit-def: $vgpr1_vgpr2
                                        ; implicit-def: $vgpr6
	s_cbranch_execz .LBB535_177
; %bb.150:
	s_waitcnt lgkmcnt(0)
	v_mov_b32_e32 v3, 0
	v_dual_mov_b32 v4, 0 :: v_dual_mov_b32 v5, 0
	s_delay_alu instid0(VALU_DEP_2) | instskip(SKIP_2) | instid1(VALU_DEP_3)
	v_mov_b32_e32 v1, v3
	v_mov_b32_e32 v7, 0
	s_sub_i32 s3, s14, s8
	v_mov_b32_e32 v2, v4
	s_mov_b32 s2, exec_lo
	v_cmpx_gt_u32_e64 s3, v0
	s_cbranch_execz .LBB535_152
; %bb.151:
	v_lshlrev_b32_e32 v1, 3, v0
	s_clause 0x1
	global_load_b64 v[6:7], v1, s[4:5]
	global_load_b64 v[8:9], v1, s[6:7]
	v_add_co_u32 v1, s8, s9, v0
	s_delay_alu instid0(VALU_DEP_1)
	v_add_co_ci_u32_e64 v2, null, s22, 0, s8
	s_waitcnt vmcnt(0)
	v_cmp_ne_u64_e32 vcc_lo, v[6:7], v[8:9]
	v_cndmask_b32_e64 v7, 0, 1, vcc_lo
.LBB535_152:
	s_or_b32 exec_lo, exec_lo, s2
	v_or_b32_e32 v6, 0x100, v0
	s_delay_alu instid0(VALU_DEP_1)
	v_cmp_gt_u32_e32 vcc_lo, s3, v6
	s_and_saveexec_b32 s8, vcc_lo
	s_cbranch_execz .LBB535_154
; %bb.153:
	v_lshlrev_b32_e32 v3, 3, v0
	s_clause 0x1
	global_load_b64 v[8:9], v3, s[4:5] offset:2048
	global_load_b64 v[10:11], v3, s[6:7] offset:2048
	v_add_co_u32 v3, s2, s9, v6
	s_delay_alu instid0(VALU_DEP_1) | instskip(SKIP_2) | instid1(VALU_DEP_1)
	v_add_co_ci_u32_e64 v4, null, s22, 0, s2
	s_waitcnt vmcnt(0)
	v_cmp_ne_u64_e64 s2, v[8:9], v[10:11]
	v_cndmask_b32_e64 v5, 0, 1, s2
.LBB535_154:
	s_or_b32 exec_lo, exec_lo, s8
	s_and_saveexec_b32 s4, vcc_lo
; %bb.155:
	s_delay_alu instid0(VALU_DEP_1) | instskip(SKIP_1) | instid1(VALU_DEP_2)
	v_and_b32_e32 v6, 1, v5
	v_cmp_lt_i64_e32 vcc_lo, v[3:4], v[1:2]
	v_cmp_eq_u32_e64 s2, 1, v6
	s_delay_alu instid0(VALU_DEP_1) | instskip(SKIP_4) | instid1(VALU_DEP_3)
	s_and_b32 vcc_lo, s2, vcc_lo
	v_cndmask_b32_e32 v1, v1, v3, vcc_lo
	v_and_b32_e32 v6, 1, v7
	v_cndmask_b32_e64 v7, v7, 1, s2
	v_cndmask_b32_e32 v2, v2, v4, vcc_lo
	v_cmp_eq_u32_e32 vcc_lo, 1, v6
	s_delay_alu instid0(VALU_DEP_2)
	v_dual_cndmask_b32 v7, v5, v7 :: v_dual_cndmask_b32 v2, v4, v2
	v_cndmask_b32_e32 v1, v3, v1, vcc_lo
; %bb.156:
	s_or_b32 exec_lo, exec_lo, s4
	v_mbcnt_lo_u32_b32 v5, -1, 0
	s_delay_alu instid0(VALU_DEP_3)
	v_and_b32_e32 v6, 0xffff, v7
	v_and_b32_e32 v8, 0xe0, v0
	s_min_u32 s3, s3, 0x100
	s_mov_b32 s4, exec_lo
	v_cmp_ne_u32_e32 vcc_lo, 31, v5
	v_add_nc_u32_e32 v10, 1, v5
	v_sub_nc_u32_e64 v8, s3, v8 clamp
	v_add_co_ci_u32_e32 v3, vcc_lo, 0, v5, vcc_lo
	s_delay_alu instid0(VALU_DEP_1)
	v_lshlrev_b32_e32 v4, 2, v3
	ds_bpermute_b32 v9, v4, v6
	ds_bpermute_b32 v3, v4, v1
	ds_bpermute_b32 v4, v4, v2
	v_cmpx_lt_u32_e64 v10, v8
	s_cbranch_execz .LBB535_158
; %bb.157:
	s_waitcnt lgkmcnt(2)
	v_and_b32_e32 v6, 1, v9
	s_waitcnt lgkmcnt(0)
	v_cmp_lt_i64_e32 vcc_lo, v[3:4], v[1:2]
	s_delay_alu instid0(VALU_DEP_2) | instskip(SKIP_1) | instid1(VALU_DEP_2)
	v_cmp_eq_u32_e64 s2, 1, v6
	v_and_b32_e32 v6, 1, v7
	v_cndmask_b32_e64 v7, v7, 1, s2
	s_and_b32 vcc_lo, s2, vcc_lo
	s_delay_alu instid0(VALU_DEP_2) | instskip(SKIP_1) | instid1(VALU_DEP_2)
	v_cmp_eq_u32_e64 s2, 1, v6
	v_dual_cndmask_b32 v1, v1, v3 :: v_dual_cndmask_b32 v2, v2, v4
	v_cndmask_b32_e64 v7, v9, v7, s2
	s_delay_alu instid0(VALU_DEP_2) | instskip(NEXT) | instid1(VALU_DEP_3)
	v_cndmask_b32_e64 v1, v3, v1, s2
	v_cndmask_b32_e64 v2, v4, v2, s2
	s_delay_alu instid0(VALU_DEP_3)
	v_and_b32_e32 v6, 0xff, v7
.LBB535_158:
	s_or_b32 exec_lo, exec_lo, s4
	v_cmp_gt_u32_e32 vcc_lo, 30, v5
	v_add_nc_u32_e32 v10, 2, v5
	s_mov_b32 s4, exec_lo
	s_waitcnt lgkmcnt(1)
	v_cndmask_b32_e64 v3, 0, 1, vcc_lo
	s_delay_alu instid0(VALU_DEP_1) | instskip(SKIP_1) | instid1(VALU_DEP_1)
	v_lshlrev_b32_e32 v3, 1, v3
	s_waitcnt lgkmcnt(0)
	v_add_lshl_u32 v4, v3, v5, 2
	ds_bpermute_b32 v9, v4, v6
	ds_bpermute_b32 v3, v4, v1
	ds_bpermute_b32 v4, v4, v2
	v_cmpx_lt_u32_e64 v10, v8
	s_cbranch_execz .LBB535_160
; %bb.159:
	s_waitcnt lgkmcnt(2)
	v_and_b32_e32 v6, 1, v9
	s_waitcnt lgkmcnt(0)
	v_cmp_lt_i64_e32 vcc_lo, v[3:4], v[1:2]
	s_delay_alu instid0(VALU_DEP_2) | instskip(SKIP_1) | instid1(VALU_DEP_2)
	v_cmp_eq_u32_e64 s2, 1, v6
	v_and_b32_e32 v6, 1, v7
	v_cndmask_b32_e64 v7, v7, 1, s2
	s_and_b32 vcc_lo, s2, vcc_lo
	s_delay_alu instid0(VALU_DEP_2) | instskip(SKIP_1) | instid1(VALU_DEP_2)
	v_cmp_eq_u32_e64 s2, 1, v6
	v_dual_cndmask_b32 v1, v1, v3 :: v_dual_cndmask_b32 v2, v2, v4
	v_cndmask_b32_e64 v7, v9, v7, s2
	s_delay_alu instid0(VALU_DEP_2) | instskip(NEXT) | instid1(VALU_DEP_3)
	v_cndmask_b32_e64 v1, v3, v1, s2
	v_cndmask_b32_e64 v2, v4, v2, s2
	s_delay_alu instid0(VALU_DEP_3)
	v_and_b32_e32 v6, 0xff, v7
.LBB535_160:
	s_or_b32 exec_lo, exec_lo, s4
	v_cmp_gt_u32_e32 vcc_lo, 28, v5
	v_add_nc_u32_e32 v10, 4, v5
	s_mov_b32 s4, exec_lo
	s_waitcnt lgkmcnt(1)
	v_cndmask_b32_e64 v3, 0, 1, vcc_lo
	s_delay_alu instid0(VALU_DEP_1) | instskip(SKIP_1) | instid1(VALU_DEP_1)
	v_lshlrev_b32_e32 v3, 2, v3
	s_waitcnt lgkmcnt(0)
	v_add_lshl_u32 v4, v3, v5, 2
	;; [unrolled: 35-line block ×4, first 2 shown]
	ds_bpermute_b32 v9, v4, v6
	ds_bpermute_b32 v3, v4, v1
	;; [unrolled: 1-line block ×3, first 2 shown]
	v_cmpx_lt_u32_e64 v10, v8
	s_cbranch_execz .LBB535_166
; %bb.165:
	s_waitcnt lgkmcnt(2)
	v_and_b32_e32 v6, 1, v9
	s_waitcnt lgkmcnt(0)
	v_cmp_lt_i64_e32 vcc_lo, v[3:4], v[1:2]
	s_delay_alu instid0(VALU_DEP_2) | instskip(SKIP_1) | instid1(VALU_DEP_2)
	v_cmp_eq_u32_e64 s2, 1, v6
	v_and_b32_e32 v6, 1, v7
	v_cndmask_b32_e64 v7, v7, 1, s2
	s_and_b32 vcc_lo, s2, vcc_lo
	s_delay_alu instid0(VALU_DEP_2) | instskip(SKIP_1) | instid1(VALU_DEP_2)
	v_cmp_eq_u32_e64 s2, 1, v6
	v_dual_cndmask_b32 v1, v1, v3 :: v_dual_cndmask_b32 v2, v2, v4
	v_cndmask_b32_e64 v7, v9, v7, s2
	s_delay_alu instid0(VALU_DEP_2) | instskip(NEXT) | instid1(VALU_DEP_3)
	v_cndmask_b32_e64 v1, v3, v1, s2
	v_cndmask_b32_e64 v2, v4, v2, s2
	s_delay_alu instid0(VALU_DEP_3)
	v_and_b32_e32 v6, 0xff, v7
.LBB535_166:
	s_or_b32 exec_lo, exec_lo, s4
	s_delay_alu instid0(SALU_CYCLE_1)
	s_mov_b32 s2, exec_lo
	v_cmpx_eq_u32_e32 0, v5
	s_cbranch_execz .LBB535_168
; %bb.167:
	s_waitcnt lgkmcnt(1)
	v_lshrrev_b32_e32 v3, 1, v0
	s_delay_alu instid0(VALU_DEP_1)
	v_and_b32_e32 v3, 0x70, v3
	ds_store_b8 v3, v7 offset:512
	ds_store_b64 v3, v[1:2] offset:520
.LBB535_168:
	s_or_b32 exec_lo, exec_lo, s2
	s_delay_alu instid0(SALU_CYCLE_1)
	s_mov_b32 s4, exec_lo
	s_waitcnt lgkmcnt(0)
	s_barrier
	buffer_gl0_inv
	v_cmpx_gt_u32_e32 8, v0
	s_cbranch_execz .LBB535_176
; %bb.169:
	v_lshlrev_b32_e32 v1, 4, v5
	v_and_b32_e32 v8, 7, v5
	s_add_i32 s3, s3, 31
	s_mov_b32 s5, exec_lo
	s_lshr_b32 s3, s3, 5
	ds_load_u8 v7, v1 offset:512
	ds_load_b64 v[1:2], v1 offset:520
	v_cmp_ne_u32_e32 vcc_lo, 7, v8
	v_add_nc_u32_e32 v10, 1, v8
	v_add_co_ci_u32_e32 v3, vcc_lo, 0, v5, vcc_lo
	s_delay_alu instid0(VALU_DEP_1)
	v_lshlrev_b32_e32 v4, 2, v3
	s_waitcnt lgkmcnt(1)
	v_and_b32_e32 v6, 0xff, v7
	s_waitcnt lgkmcnt(0)
	ds_bpermute_b32 v3, v4, v1
	ds_bpermute_b32 v9, v4, v6
	;; [unrolled: 1-line block ×3, first 2 shown]
	v_cmpx_gt_u32_e64 s3, v10
	s_cbranch_execz .LBB535_171
; %bb.170:
	s_waitcnt lgkmcnt(1)
	v_and_b32_e32 v6, 1, v9
	s_waitcnt lgkmcnt(0)
	v_cmp_lt_i64_e32 vcc_lo, v[3:4], v[1:2]
	s_delay_alu instid0(VALU_DEP_2) | instskip(SKIP_1) | instid1(VALU_DEP_2)
	v_cmp_eq_u32_e64 s2, 1, v6
	v_and_b32_e32 v6, 1, v7
	v_cndmask_b32_e64 v7, v7, 1, s2
	s_and_b32 vcc_lo, s2, vcc_lo
	s_delay_alu instid0(VALU_DEP_2) | instskip(SKIP_1) | instid1(VALU_DEP_2)
	v_cmp_eq_u32_e64 s2, 1, v6
	v_dual_cndmask_b32 v1, v1, v3 :: v_dual_cndmask_b32 v2, v2, v4
	v_cndmask_b32_e64 v7, v9, v7, s2
	s_delay_alu instid0(VALU_DEP_2) | instskip(NEXT) | instid1(VALU_DEP_3)
	v_cndmask_b32_e64 v1, v3, v1, s2
	v_cndmask_b32_e64 v2, v4, v2, s2
	s_delay_alu instid0(VALU_DEP_3)
	v_and_b32_e32 v6, 0xff, v7
.LBB535_171:
	s_or_b32 exec_lo, exec_lo, s5
	v_cmp_gt_u32_e32 vcc_lo, 6, v8
	v_add_nc_u32_e32 v10, 2, v8
	s_mov_b32 s5, exec_lo
	s_waitcnt lgkmcnt(2)
	v_cndmask_b32_e64 v3, 0, 1, vcc_lo
	s_delay_alu instid0(VALU_DEP_1) | instskip(SKIP_1) | instid1(VALU_DEP_1)
	v_lshlrev_b32_e32 v3, 1, v3
	s_waitcnt lgkmcnt(0)
	v_add_lshl_u32 v4, v3, v5, 2
	ds_bpermute_b32 v9, v4, v6
	ds_bpermute_b32 v3, v4, v1
	;; [unrolled: 1-line block ×3, first 2 shown]
	v_cmpx_gt_u32_e64 s3, v10
	s_cbranch_execz .LBB535_173
; %bb.172:
	s_waitcnt lgkmcnt(2)
	v_and_b32_e32 v6, 1, v9
	s_waitcnt lgkmcnt(0)
	v_cmp_lt_i64_e32 vcc_lo, v[3:4], v[1:2]
	s_delay_alu instid0(VALU_DEP_2) | instskip(SKIP_1) | instid1(VALU_DEP_2)
	v_cmp_eq_u32_e64 s2, 1, v6
	v_and_b32_e32 v6, 1, v7
	v_cndmask_b32_e64 v7, v7, 1, s2
	s_and_b32 vcc_lo, s2, vcc_lo
	s_delay_alu instid0(VALU_DEP_2) | instskip(SKIP_1) | instid1(VALU_DEP_2)
	v_cmp_eq_u32_e64 s2, 1, v6
	v_dual_cndmask_b32 v1, v1, v3 :: v_dual_cndmask_b32 v2, v2, v4
	v_cndmask_b32_e64 v7, v9, v7, s2
	s_delay_alu instid0(VALU_DEP_2) | instskip(NEXT) | instid1(VALU_DEP_3)
	v_cndmask_b32_e64 v1, v3, v1, s2
	v_cndmask_b32_e64 v2, v4, v2, s2
	s_delay_alu instid0(VALU_DEP_3)
	v_and_b32_e32 v6, 0xff, v7
.LBB535_173:
	s_or_b32 exec_lo, exec_lo, s5
	v_cmp_gt_u32_e32 vcc_lo, 4, v8
	v_add_nc_u32_e32 v8, 4, v8
	s_waitcnt lgkmcnt(1)
	v_cndmask_b32_e64 v3, 0, 1, vcc_lo
	s_delay_alu instid0(VALU_DEP_2) | instskip(NEXT) | instid1(VALU_DEP_2)
	v_cmp_gt_u32_e32 vcc_lo, s3, v8
	v_lshlrev_b32_e32 v3, 2, v3
	s_waitcnt lgkmcnt(0)
	s_delay_alu instid0(VALU_DEP_1)
	v_add_lshl_u32 v4, v3, v5, 2
	ds_bpermute_b32 v5, v4, v6
	ds_bpermute_b32 v3, v4, v1
	;; [unrolled: 1-line block ×3, first 2 shown]
	s_and_saveexec_b32 s3, vcc_lo
	s_cbranch_execz .LBB535_175
; %bb.174:
	s_waitcnt lgkmcnt(2)
	v_and_b32_e32 v6, 1, v5
	s_waitcnt lgkmcnt(0)
	v_cmp_lt_i64_e32 vcc_lo, v[3:4], v[1:2]
	s_delay_alu instid0(VALU_DEP_2) | instskip(SKIP_1) | instid1(VALU_DEP_2)
	v_cmp_eq_u32_e64 s2, 1, v6
	v_and_b32_e32 v6, 1, v7
	v_cndmask_b32_e64 v7, v7, 1, s2
	s_and_b32 vcc_lo, s2, vcc_lo
	s_delay_alu instid0(VALU_DEP_2) | instskip(SKIP_1) | instid1(VALU_DEP_2)
	v_cmp_eq_u32_e64 s2, 1, v6
	v_dual_cndmask_b32 v1, v1, v3 :: v_dual_cndmask_b32 v2, v2, v4
	v_cndmask_b32_e64 v5, v5, v7, s2
	s_delay_alu instid0(VALU_DEP_2) | instskip(NEXT) | instid1(VALU_DEP_3)
	v_cndmask_b32_e64 v1, v3, v1, s2
	v_cndmask_b32_e64 v2, v4, v2, s2
	s_delay_alu instid0(VALU_DEP_3)
	v_and_b32_e32 v6, 0xff, v5
.LBB535_175:
	s_or_b32 exec_lo, exec_lo, s3
.LBB535_176:
	s_delay_alu instid0(SALU_CYCLE_1)
	s_or_b32 exec_lo, exec_lo, s4
.LBB535_177:
                                        ; implicit-def: $vgpr3_vgpr4
                                        ; implicit-def: $vgpr5
	s_delay_alu instid0(SALU_CYCLE_1)
	s_mov_b32 s2, exec_lo
	v_cmpx_eq_u32_e32 0, v0
	s_xor_b32 s4, exec_lo, s2
	s_cbranch_execz .LBB535_181
; %bb.178:
	s_waitcnt lgkmcnt(0)
	v_dual_mov_b32 v3, s20 :: v_dual_mov_b32 v4, s21
	v_mov_b32_e32 v5, s24
	s_cmp_eq_u64 s[14:15], 0
	s_cbranch_scc1 .LBB535_180
; %bb.179:
	v_and_b32_e32 v3, 1, v6
	v_cmp_gt_i64_e32 vcc_lo, s[20:21], v[1:2]
	s_bitcmp1_b32 s24, 0
	s_cselect_b32 s3, -1, 0
	s_delay_alu instid0(VALU_DEP_2) | instskip(NEXT) | instid1(VALU_DEP_1)
	v_cmp_eq_u32_e64 s2, 1, v3
	s_and_b32 vcc_lo, s2, vcc_lo
	v_cndmask_b32_e64 v3, s24, 1, s2
	v_cndmask_b32_e32 v7, s20, v1, vcc_lo
	v_cndmask_b32_e32 v4, s21, v2, vcc_lo
	s_delay_alu instid0(VALU_DEP_3) | instskip(NEXT) | instid1(VALU_DEP_3)
	v_cndmask_b32_e64 v5, v6, v3, s3
	v_cndmask_b32_e64 v3, v1, v7, s3
	s_delay_alu instid0(VALU_DEP_3)
	v_cndmask_b32_e64 v4, v2, v4, s3
.LBB535_180:
	s_or_b32 s26, s26, exec_lo
.LBB535_181:
	s_or_b32 exec_lo, exec_lo, s4
	s_branch .LBB535_200
.LBB535_182:
	s_cmp_eq_u32 s25, 1
	s_cbranch_scc0 .LBB535_199
; %bb.183:
	s_mov_b32 s5, 0
	s_lshr_b64 s[2:3], s[14:15], 8
	s_mov_b32 s11, s5
	s_lshl_b32 s4, s10, 8
	s_cmp_lg_u64 s[2:3], s[10:11]
	s_cbranch_scc0 .LBB535_203
; %bb.184:
	s_lshl_b64 s[2:3], s[4:5], 3
	s_waitcnt lgkmcnt(1)
	v_lshlrev_b32_e32 v3, 3, v0
	s_add_u32 s6, s16, s2
	s_addc_u32 s7, s17, s3
	s_add_u32 s2, s18, s2
	s_addc_u32 s3, s19, s3
	global_load_b64 v[1:2], v3, s[6:7]
	s_waitcnt lgkmcnt(0)
	global_load_b64 v[3:4], v3, s[2:3]
	s_add_u32 s2, s12, s4
	s_addc_u32 s3, s13, 0
	s_waitcnt vmcnt(0)
	v_cmp_ne_u64_e32 vcc_lo, v[1:2], v[3:4]
	v_cndmask_b32_e64 v1, 0, 1, vcc_lo
	v_cndmask_b32_e64 v6, 0, 1, vcc_lo
	s_delay_alu instid0(VALU_DEP_2) | instskip(SKIP_1) | instid1(VALU_DEP_1)
	v_mov_b32_dpp v5, v1 quad_perm:[1,0,3,2] row_mask:0xf bank_mask:0xf
	v_add_co_u32 v1, s2, s2, v0
	v_add_co_ci_u32_e64 v2, null, s3, 0, s2
	s_delay_alu instid0(VALU_DEP_3) | instskip(NEXT) | instid1(VALU_DEP_3)
	v_and_b32_e32 v7, 1, v5
	v_mov_b32_dpp v3, v1 quad_perm:[1,0,3,2] row_mask:0xf bank_mask:0xf
	s_mov_b32 s3, exec_lo
	s_delay_alu instid0(VALU_DEP_3) | instskip(NEXT) | instid1(VALU_DEP_3)
	v_mov_b32_dpp v4, v2 quad_perm:[1,0,3,2] row_mask:0xf bank_mask:0xf
	v_cmpx_eq_u32_e32 1, v7
; %bb.185:
	s_delay_alu instid0(VALU_DEP_2) | instskip(SKIP_1) | instid1(VALU_DEP_2)
	v_cmp_lt_i64_e64 s2, v[1:2], v[3:4]
	v_cndmask_b32_e64 v6, v5, 1, vcc_lo
	s_and_b32 vcc_lo, vcc_lo, s2
	v_dual_cndmask_b32 v2, v4, v2 :: v_dual_cndmask_b32 v1, v3, v1
; %bb.186:
	s_or_b32 exec_lo, exec_lo, s3
	s_delay_alu instid0(VALU_DEP_2) | instskip(SKIP_1) | instid1(VALU_DEP_3)
	v_and_b32_e32 v5, 0xff, v6
	v_and_b32_e32 v6, 1, v6
	v_mov_b32_dpp v3, v1 quad_perm:[2,3,0,1] row_mask:0xf bank_mask:0xf
	v_mov_b32_dpp v4, v2 quad_perm:[2,3,0,1] row_mask:0xf bank_mask:0xf
	s_mov_b32 s6, exec_lo
	v_mov_b32_dpp v7, v5 quad_perm:[2,3,0,1] row_mask:0xf bank_mask:0xf
	v_cmp_eq_u32_e64 s3, 1, v6
	s_delay_alu instid0(VALU_DEP_2) | instskip(NEXT) | instid1(VALU_DEP_1)
	v_and_b32_e32 v8, 1, v7
	v_cmpx_eq_u32_e32 1, v8
; %bb.187:
	s_delay_alu instid0(VALU_DEP_3) | instskip(SKIP_1) | instid1(VALU_DEP_2)
	v_cndmask_b32_e64 v5, v7, 1, s3
	v_cmp_lt_i64_e32 vcc_lo, v[1:2], v[3:4]
	v_and_b32_e32 v6, 1, v5
	v_and_b32_e32 v5, 0xff, v5
	s_and_b32 vcc_lo, s3, vcc_lo
	s_and_not1_b32 s3, s3, exec_lo
	v_dual_cndmask_b32 v2, v4, v2 :: v_dual_cndmask_b32 v1, v3, v1
	v_cmp_eq_u32_e64 s2, 1, v6
	s_delay_alu instid0(VALU_DEP_1) | instskip(NEXT) | instid1(SALU_CYCLE_1)
	s_and_b32 s2, s2, exec_lo
	s_or_b32 s3, s3, s2
; %bb.188:
	s_or_b32 exec_lo, exec_lo, s6
	v_mov_b32_dpp v6, v5 row_ror:4 row_mask:0xf bank_mask:0xf
	v_mov_b32_dpp v3, v1 row_ror:4 row_mask:0xf bank_mask:0xf
	v_mov_b32_dpp v4, v2 row_ror:4 row_mask:0xf bank_mask:0xf
	s_mov_b32 s6, exec_lo
	s_delay_alu instid0(VALU_DEP_3) | instskip(NEXT) | instid1(VALU_DEP_1)
	v_and_b32_e32 v7, 1, v6
	v_cmpx_eq_u32_e32 1, v7
; %bb.189:
	v_cndmask_b32_e64 v5, v6, 1, s3
	v_cmp_lt_i64_e32 vcc_lo, v[1:2], v[3:4]
	s_delay_alu instid0(VALU_DEP_2)
	v_and_b32_e32 v6, 1, v5
	v_and_b32_e32 v5, 0xff, v5
	s_and_b32 vcc_lo, s3, vcc_lo
	s_and_not1_b32 s3, s3, exec_lo
	v_dual_cndmask_b32 v2, v4, v2 :: v_dual_cndmask_b32 v1, v3, v1
	v_cmp_eq_u32_e64 s2, 1, v6
	s_delay_alu instid0(VALU_DEP_1) | instskip(NEXT) | instid1(SALU_CYCLE_1)
	s_and_b32 s2, s2, exec_lo
	s_or_b32 s3, s3, s2
; %bb.190:
	s_or_b32 exec_lo, exec_lo, s6
	v_mov_b32_dpp v6, v5 row_ror:8 row_mask:0xf bank_mask:0xf
	v_mov_b32_dpp v3, v1 row_ror:8 row_mask:0xf bank_mask:0xf
	;; [unrolled: 1-line block ×3, first 2 shown]
	s_mov_b32 s6, exec_lo
	s_delay_alu instid0(VALU_DEP_3) | instskip(NEXT) | instid1(VALU_DEP_1)
	v_and_b32_e32 v7, 1, v6
	v_cmpx_eq_u32_e32 1, v7
; %bb.191:
	v_cndmask_b32_e64 v5, v6, 1, s3
	v_cmp_lt_i64_e32 vcc_lo, v[1:2], v[3:4]
	s_delay_alu instid0(VALU_DEP_2)
	v_and_b32_e32 v6, 1, v5
	v_and_b32_e32 v5, 0xff, v5
	s_and_b32 vcc_lo, s3, vcc_lo
	s_and_not1_b32 s3, s3, exec_lo
	v_dual_cndmask_b32 v2, v4, v2 :: v_dual_cndmask_b32 v1, v3, v1
	v_cmp_eq_u32_e64 s2, 1, v6
	s_delay_alu instid0(VALU_DEP_1) | instskip(NEXT) | instid1(SALU_CYCLE_1)
	s_and_b32 s2, s2, exec_lo
	s_or_b32 s3, s3, s2
; %bb.192:
	s_or_b32 exec_lo, exec_lo, s6
	ds_swizzle_b32 v6, v5 offset:swizzle(BROADCAST,32,15)
	ds_swizzle_b32 v3, v1 offset:swizzle(BROADCAST,32,15)
	;; [unrolled: 1-line block ×3, first 2 shown]
	s_mov_b32 s2, exec_lo
	s_waitcnt lgkmcnt(2)
	v_and_b32_e32 v7, 1, v6
	s_delay_alu instid0(VALU_DEP_1)
	v_cmpx_eq_u32_e32 1, v7
	s_cbranch_execz .LBB535_194
; %bb.193:
	s_waitcnt lgkmcnt(0)
	v_cmp_lt_i64_e32 vcc_lo, v[1:2], v[3:4]
	v_and_b32_e32 v5, 0xff, v6
	s_delay_alu instid0(VALU_DEP_1)
	v_cndmask_b32_e64 v5, v5, 1, s3
	s_and_b32 vcc_lo, s3, vcc_lo
	v_dual_cndmask_b32 v1, v3, v1 :: v_dual_cndmask_b32 v2, v4, v2
.LBB535_194:
	s_or_b32 exec_lo, exec_lo, s2
	s_waitcnt lgkmcnt(1)
	v_mov_b32_e32 v3, 0
	s_mov_b32 s2, exec_lo
	ds_bpermute_b32 v6, v3, v5 offset:124
	ds_bpermute_b32 v1, v3, v1 offset:124
	;; [unrolled: 1-line block ×3, first 2 shown]
	v_mbcnt_lo_u32_b32 v3, -1, 0
	s_delay_alu instid0(VALU_DEP_1)
	v_cmpx_eq_u32_e32 0, v3
	s_cbranch_execz .LBB535_196
; %bb.195:
	s_waitcnt lgkmcnt(3)
	v_lshrrev_b32_e32 v4, 1, v0
	s_delay_alu instid0(VALU_DEP_1)
	v_and_b32_e32 v4, 0x70, v4
	s_waitcnt lgkmcnt(2)
	ds_store_b8 v4, v6
	s_waitcnt lgkmcnt(1)
	ds_store_b64 v4, v[1:2] offset:8
.LBB535_196:
	s_or_b32 exec_lo, exec_lo, s2
	s_delay_alu instid0(SALU_CYCLE_1)
	s_mov_b32 s6, exec_lo
	s_waitcnt lgkmcnt(0)
	s_barrier
	buffer_gl0_inv
	v_cmpx_gt_u32_e32 32, v0
	s_cbranch_execz .LBB535_198
; %bb.197:
	v_and_b32_e32 v6, 7, v3
	s_delay_alu instid0(VALU_DEP_1)
	v_lshlrev_b32_e32 v1, 4, v6
	v_cmp_ne_u32_e32 vcc_lo, 7, v6
	ds_load_u8 v7, v1
	ds_load_b64 v[1:2], v1 offset:8
	v_add_co_ci_u32_e32 v4, vcc_lo, 0, v3, vcc_lo
	v_cmp_gt_u32_e32 vcc_lo, 6, v6
	s_delay_alu instid0(VALU_DEP_2)
	v_lshlrev_b32_e32 v5, 2, v4
	v_cndmask_b32_e64 v10, 0, 1, vcc_lo
	s_waitcnt lgkmcnt(1)
	v_and_b32_e32 v4, 0xff, v7
	v_and_b32_e32 v11, 1, v7
	ds_bpermute_b32 v8, v5, v4
	s_waitcnt lgkmcnt(1)
	ds_bpermute_b32 v4, v5, v1
	ds_bpermute_b32 v5, v5, v2
	v_cmp_eq_u32_e64 s3, 1, v11
	s_waitcnt lgkmcnt(2)
	v_and_b32_e32 v9, 1, v8
	s_waitcnt lgkmcnt(0)
	v_cmp_lt_i64_e64 s2, v[4:5], v[1:2]
	s_delay_alu instid0(VALU_DEP_2) | instskip(SKIP_2) | instid1(VALU_DEP_4)
	v_cmp_eq_u32_e32 vcc_lo, 1, v9
	v_lshlrev_b32_e32 v9, 1, v10
	v_cndmask_b32_e64 v7, v7, 1, vcc_lo
	s_and_b32 vcc_lo, vcc_lo, s2
	v_dual_cndmask_b32 v1, v1, v4 :: v_dual_cndmask_b32 v2, v2, v5
	s_delay_alu instid0(VALU_DEP_2) | instskip(SKIP_2) | instid1(VALU_DEP_4)
	v_cndmask_b32_e64 v7, v8, v7, s3
	v_add_lshl_u32 v8, v9, v3, 2
	v_cmp_gt_u32_e32 vcc_lo, 4, v6
	v_cndmask_b32_e64 v1, v4, v1, s3
	v_cndmask_b32_e64 v2, v5, v2, s3
	v_and_b32_e32 v9, 0xff, v7
	v_and_b32_e32 v10, 1, v7
	v_cndmask_b32_e64 v6, 0, 1, vcc_lo
	ds_bpermute_b32 v4, v8, v1
	ds_bpermute_b32 v5, v8, v2
	;; [unrolled: 1-line block ×3, first 2 shown]
	v_cmp_eq_u32_e64 s3, 1, v10
	s_waitcnt lgkmcnt(1)
	v_cmp_lt_i64_e64 s2, v[4:5], v[1:2]
	s_waitcnt lgkmcnt(0)
	v_and_b32_e32 v8, 1, v9
	s_delay_alu instid0(VALU_DEP_1) | instskip(SKIP_1) | instid1(VALU_DEP_4)
	v_cmp_eq_u32_e32 vcc_lo, 1, v8
	v_cndmask_b32_e64 v7, v7, 1, vcc_lo
	s_and_b32 vcc_lo, vcc_lo, s2
	v_dual_cndmask_b32 v1, v1, v4 :: v_dual_cndmask_b32 v2, v2, v5
	s_delay_alu instid0(VALU_DEP_2) | instskip(NEXT) | instid1(VALU_DEP_2)
	v_cndmask_b32_e64 v7, v9, v7, s3
	v_cndmask_b32_e64 v1, v4, v1, s3
	v_lshlrev_b32_e32 v6, 2, v6
	s_delay_alu instid0(VALU_DEP_4) | instskip(NEXT) | instid1(VALU_DEP_2)
	v_cndmask_b32_e64 v2, v5, v2, s3
	v_add_lshl_u32 v6, v6, v3, 2
	v_and_b32_e32 v3, 0xff, v7
	ds_bpermute_b32 v4, v6, v2
	ds_bpermute_b32 v5, v6, v3
	;; [unrolled: 1-line block ×3, first 2 shown]
	s_waitcnt lgkmcnt(1)
	v_and_b32_e32 v6, 1, v5
	s_waitcnt lgkmcnt(0)
	v_cmp_lt_i64_e32 vcc_lo, v[3:4], v[1:2]
	s_delay_alu instid0(VALU_DEP_2) | instskip(SKIP_1) | instid1(VALU_DEP_2)
	v_cmp_eq_u32_e64 s2, 1, v6
	v_and_b32_e32 v6, 1, v7
	v_cndmask_b32_e64 v7, v7, 1, s2
	s_and_b32 vcc_lo, s2, vcc_lo
	s_delay_alu instid0(VALU_DEP_2) | instskip(SKIP_1) | instid1(VALU_DEP_2)
	v_cmp_eq_u32_e64 s2, 1, v6
	v_dual_cndmask_b32 v1, v1, v3 :: v_dual_cndmask_b32 v2, v2, v4
	v_cndmask_b32_e64 v5, v5, v7, s2
	s_delay_alu instid0(VALU_DEP_2) | instskip(NEXT) | instid1(VALU_DEP_3)
	v_cndmask_b32_e64 v1, v3, v1, s2
	v_cndmask_b32_e64 v2, v4, v2, s2
	s_delay_alu instid0(VALU_DEP_3)
	v_and_b32_e32 v6, 0xff, v5
.LBB535_198:
	s_or_b32 exec_lo, exec_lo, s6
	s_branch .LBB535_227
.LBB535_199:
                                        ; implicit-def: $vgpr3_vgpr4
                                        ; implicit-def: $vgpr5
                                        ; implicit-def: $sgpr10_sgpr11
.LBB535_200:
	s_and_saveexec_b32 s2, s26
	s_cbranch_execz .LBB535_202
.LBB535_201:
	s_load_b64 s[0:1], s[0:1], 0x38
	s_lshl_b64 s[2:3], s[10:11], 4
	v_mov_b32_e32 v0, 0
	s_waitcnt lgkmcnt(0)
	s_add_u32 s0, s0, s2
	s_addc_u32 s1, s1, s3
	s_clause 0x1
	global_store_b8 v0, v5, s[0:1]
	global_store_b64 v0, v[3:4], s[0:1] offset:8
.LBB535_202:
	s_nop 0
	s_sendmsg sendmsg(MSG_DEALLOC_VGPRS)
	s_endpgm
.LBB535_203:
                                        ; implicit-def: $vgpr1_vgpr2
                                        ; implicit-def: $vgpr6
	s_cbranch_execz .LBB535_227
; %bb.204:
	v_mov_b32_e32 v1, 0
	v_dual_mov_b32 v2, 0 :: v_dual_mov_b32 v7, 0
	s_sub_i32 s2, s14, s4
	s_mov_b32 s3, exec_lo
	v_cmpx_gt_u32_e64 s2, v0
	s_cbranch_execz .LBB535_206
; %bb.205:
	s_lshl_b64 s[6:7], s[4:5], 3
	v_lshlrev_b32_e32 v1, 3, v0
	s_add_u32 s8, s18, s6
	s_addc_u32 s9, s19, s7
	s_add_u32 s6, s16, s6
	s_addc_u32 s7, s17, s7
	s_add_u32 s4, s12, s4
	s_waitcnt lgkmcnt(0)
	s_clause 0x1
	global_load_b64 v[3:4], v1, s[6:7]
	global_load_b64 v[5:6], v1, s[8:9]
	s_addc_u32 s5, s13, 0
	v_add_co_u32 v1, s4, s4, v0
	s_delay_alu instid0(VALU_DEP_1)
	v_add_co_ci_u32_e64 v2, null, s5, 0, s4
	s_waitcnt vmcnt(0)
	v_cmp_ne_u64_e32 vcc_lo, v[3:4], v[5:6]
	v_cndmask_b32_e64 v7, 0, 1, vcc_lo
.LBB535_206:
	s_or_b32 exec_lo, exec_lo, s3
	s_waitcnt lgkmcnt(2)
	v_mbcnt_lo_u32_b32 v5, -1, 0
	s_delay_alu instid0(VALU_DEP_2)
	v_and_b32_e32 v6, 0xffff, v7
	v_and_b32_e32 v8, 0xe0, v0
	s_min_u32 s3, s2, 0x100
	s_mov_b32 s4, exec_lo
	v_cmp_ne_u32_e32 vcc_lo, 31, v5
	v_add_nc_u32_e32 v10, 1, v5
	v_sub_nc_u32_e64 v8, s3, v8 clamp
	s_waitcnt lgkmcnt(1)
	v_add_co_ci_u32_e32 v3, vcc_lo, 0, v5, vcc_lo
	s_waitcnt lgkmcnt(0)
	s_delay_alu instid0(VALU_DEP_1)
	v_lshlrev_b32_e32 v4, 2, v3
	ds_bpermute_b32 v9, v4, v6
	ds_bpermute_b32 v3, v4, v1
	ds_bpermute_b32 v4, v4, v2
	v_cmpx_lt_u32_e64 v10, v8
	s_cbranch_execz .LBB535_208
; %bb.207:
	s_waitcnt lgkmcnt(2)
	v_and_b32_e32 v6, 1, v9
	s_waitcnt lgkmcnt(0)
	v_cmp_lt_i64_e32 vcc_lo, v[3:4], v[1:2]
	s_delay_alu instid0(VALU_DEP_2) | instskip(SKIP_1) | instid1(VALU_DEP_2)
	v_cmp_eq_u32_e64 s2, 1, v6
	v_and_b32_e32 v6, 1, v7
	v_cndmask_b32_e64 v7, v7, 1, s2
	s_and_b32 vcc_lo, s2, vcc_lo
	s_delay_alu instid0(VALU_DEP_2) | instskip(SKIP_1) | instid1(VALU_DEP_2)
	v_cmp_eq_u32_e64 s2, 1, v6
	v_dual_cndmask_b32 v1, v1, v3 :: v_dual_cndmask_b32 v2, v2, v4
	v_cndmask_b32_e64 v7, v9, v7, s2
	s_delay_alu instid0(VALU_DEP_2) | instskip(NEXT) | instid1(VALU_DEP_3)
	v_cndmask_b32_e64 v1, v3, v1, s2
	v_cndmask_b32_e64 v2, v4, v2, s2
	s_delay_alu instid0(VALU_DEP_3)
	v_and_b32_e32 v6, 0xff, v7
.LBB535_208:
	s_or_b32 exec_lo, exec_lo, s4
	v_cmp_gt_u32_e32 vcc_lo, 30, v5
	v_add_nc_u32_e32 v10, 2, v5
	s_mov_b32 s4, exec_lo
	s_waitcnt lgkmcnt(1)
	v_cndmask_b32_e64 v3, 0, 1, vcc_lo
	s_delay_alu instid0(VALU_DEP_1) | instskip(SKIP_1) | instid1(VALU_DEP_1)
	v_lshlrev_b32_e32 v3, 1, v3
	s_waitcnt lgkmcnt(0)
	v_add_lshl_u32 v4, v3, v5, 2
	ds_bpermute_b32 v9, v4, v6
	ds_bpermute_b32 v3, v4, v1
	ds_bpermute_b32 v4, v4, v2
	v_cmpx_lt_u32_e64 v10, v8
	s_cbranch_execz .LBB535_210
; %bb.209:
	s_waitcnt lgkmcnt(2)
	v_and_b32_e32 v6, 1, v9
	s_waitcnt lgkmcnt(0)
	v_cmp_lt_i64_e32 vcc_lo, v[3:4], v[1:2]
	s_delay_alu instid0(VALU_DEP_2) | instskip(SKIP_1) | instid1(VALU_DEP_2)
	v_cmp_eq_u32_e64 s2, 1, v6
	v_and_b32_e32 v6, 1, v7
	v_cndmask_b32_e64 v7, v7, 1, s2
	s_and_b32 vcc_lo, s2, vcc_lo
	s_delay_alu instid0(VALU_DEP_2) | instskip(SKIP_1) | instid1(VALU_DEP_2)
	v_cmp_eq_u32_e64 s2, 1, v6
	v_dual_cndmask_b32 v1, v1, v3 :: v_dual_cndmask_b32 v2, v2, v4
	v_cndmask_b32_e64 v7, v9, v7, s2
	s_delay_alu instid0(VALU_DEP_2) | instskip(NEXT) | instid1(VALU_DEP_3)
	v_cndmask_b32_e64 v1, v3, v1, s2
	v_cndmask_b32_e64 v2, v4, v2, s2
	s_delay_alu instid0(VALU_DEP_3)
	v_and_b32_e32 v6, 0xff, v7
.LBB535_210:
	s_or_b32 exec_lo, exec_lo, s4
	v_cmp_gt_u32_e32 vcc_lo, 28, v5
	v_add_nc_u32_e32 v10, 4, v5
	s_mov_b32 s4, exec_lo
	s_waitcnt lgkmcnt(1)
	v_cndmask_b32_e64 v3, 0, 1, vcc_lo
	s_delay_alu instid0(VALU_DEP_1) | instskip(SKIP_1) | instid1(VALU_DEP_1)
	v_lshlrev_b32_e32 v3, 2, v3
	s_waitcnt lgkmcnt(0)
	v_add_lshl_u32 v4, v3, v5, 2
	;; [unrolled: 35-line block ×4, first 2 shown]
	ds_bpermute_b32 v9, v4, v6
	ds_bpermute_b32 v3, v4, v1
	;; [unrolled: 1-line block ×3, first 2 shown]
	v_cmpx_lt_u32_e64 v10, v8
	s_cbranch_execz .LBB535_216
; %bb.215:
	s_waitcnt lgkmcnt(2)
	v_and_b32_e32 v6, 1, v9
	s_waitcnt lgkmcnt(0)
	v_cmp_lt_i64_e32 vcc_lo, v[3:4], v[1:2]
	s_delay_alu instid0(VALU_DEP_2) | instskip(SKIP_1) | instid1(VALU_DEP_2)
	v_cmp_eq_u32_e64 s2, 1, v6
	v_and_b32_e32 v6, 1, v7
	v_cndmask_b32_e64 v7, v7, 1, s2
	s_and_b32 vcc_lo, s2, vcc_lo
	s_delay_alu instid0(VALU_DEP_2) | instskip(SKIP_1) | instid1(VALU_DEP_2)
	v_cmp_eq_u32_e64 s2, 1, v6
	v_dual_cndmask_b32 v1, v1, v3 :: v_dual_cndmask_b32 v2, v2, v4
	v_cndmask_b32_e64 v7, v9, v7, s2
	s_delay_alu instid0(VALU_DEP_2) | instskip(NEXT) | instid1(VALU_DEP_3)
	v_cndmask_b32_e64 v1, v3, v1, s2
	v_cndmask_b32_e64 v2, v4, v2, s2
	s_delay_alu instid0(VALU_DEP_3)
	v_and_b32_e32 v6, 0xff, v7
.LBB535_216:
	s_or_b32 exec_lo, exec_lo, s4
	s_delay_alu instid0(SALU_CYCLE_1)
	s_mov_b32 s2, exec_lo
	v_cmpx_eq_u32_e32 0, v5
	s_cbranch_execz .LBB535_218
; %bb.217:
	s_waitcnt lgkmcnt(1)
	v_lshrrev_b32_e32 v3, 1, v0
	s_delay_alu instid0(VALU_DEP_1)
	v_and_b32_e32 v3, 0x70, v3
	ds_store_b8 v3, v7 offset:512
	ds_store_b64 v3, v[1:2] offset:520
.LBB535_218:
	s_or_b32 exec_lo, exec_lo, s2
	s_delay_alu instid0(SALU_CYCLE_1)
	s_mov_b32 s4, exec_lo
	s_waitcnt lgkmcnt(0)
	s_barrier
	buffer_gl0_inv
	v_cmpx_gt_u32_e32 8, v0
	s_cbranch_execz .LBB535_226
; %bb.219:
	v_lshlrev_b32_e32 v1, 4, v5
	v_and_b32_e32 v8, 7, v5
	s_add_i32 s3, s3, 31
	s_mov_b32 s5, exec_lo
	s_lshr_b32 s3, s3, 5
	ds_load_u8 v7, v1 offset:512
	ds_load_b64 v[1:2], v1 offset:520
	v_cmp_ne_u32_e32 vcc_lo, 7, v8
	v_add_nc_u32_e32 v10, 1, v8
	v_add_co_ci_u32_e32 v3, vcc_lo, 0, v5, vcc_lo
	s_delay_alu instid0(VALU_DEP_1)
	v_lshlrev_b32_e32 v4, 2, v3
	s_waitcnt lgkmcnt(1)
	v_and_b32_e32 v6, 0xff, v7
	s_waitcnt lgkmcnt(0)
	ds_bpermute_b32 v3, v4, v1
	ds_bpermute_b32 v9, v4, v6
	;; [unrolled: 1-line block ×3, first 2 shown]
	v_cmpx_gt_u32_e64 s3, v10
	s_cbranch_execz .LBB535_221
; %bb.220:
	s_waitcnt lgkmcnt(1)
	v_and_b32_e32 v6, 1, v9
	s_waitcnt lgkmcnt(0)
	v_cmp_lt_i64_e32 vcc_lo, v[3:4], v[1:2]
	s_delay_alu instid0(VALU_DEP_2) | instskip(SKIP_1) | instid1(VALU_DEP_2)
	v_cmp_eq_u32_e64 s2, 1, v6
	v_and_b32_e32 v6, 1, v7
	v_cndmask_b32_e64 v7, v7, 1, s2
	s_and_b32 vcc_lo, s2, vcc_lo
	s_delay_alu instid0(VALU_DEP_2) | instskip(SKIP_1) | instid1(VALU_DEP_2)
	v_cmp_eq_u32_e64 s2, 1, v6
	v_dual_cndmask_b32 v1, v1, v3 :: v_dual_cndmask_b32 v2, v2, v4
	v_cndmask_b32_e64 v7, v9, v7, s2
	s_delay_alu instid0(VALU_DEP_2) | instskip(NEXT) | instid1(VALU_DEP_3)
	v_cndmask_b32_e64 v1, v3, v1, s2
	v_cndmask_b32_e64 v2, v4, v2, s2
	s_delay_alu instid0(VALU_DEP_3)
	v_and_b32_e32 v6, 0xff, v7
.LBB535_221:
	s_or_b32 exec_lo, exec_lo, s5
	v_cmp_gt_u32_e32 vcc_lo, 6, v8
	v_add_nc_u32_e32 v10, 2, v8
	s_mov_b32 s5, exec_lo
	s_waitcnt lgkmcnt(2)
	v_cndmask_b32_e64 v3, 0, 1, vcc_lo
	s_delay_alu instid0(VALU_DEP_1) | instskip(SKIP_1) | instid1(VALU_DEP_1)
	v_lshlrev_b32_e32 v3, 1, v3
	s_waitcnt lgkmcnt(0)
	v_add_lshl_u32 v4, v3, v5, 2
	ds_bpermute_b32 v9, v4, v6
	ds_bpermute_b32 v3, v4, v1
	ds_bpermute_b32 v4, v4, v2
	v_cmpx_gt_u32_e64 s3, v10
	s_cbranch_execz .LBB535_223
; %bb.222:
	s_waitcnt lgkmcnt(2)
	v_and_b32_e32 v6, 1, v9
	s_waitcnt lgkmcnt(0)
	v_cmp_lt_i64_e32 vcc_lo, v[3:4], v[1:2]
	s_delay_alu instid0(VALU_DEP_2) | instskip(SKIP_1) | instid1(VALU_DEP_2)
	v_cmp_eq_u32_e64 s2, 1, v6
	v_and_b32_e32 v6, 1, v7
	v_cndmask_b32_e64 v7, v7, 1, s2
	s_and_b32 vcc_lo, s2, vcc_lo
	s_delay_alu instid0(VALU_DEP_2) | instskip(SKIP_1) | instid1(VALU_DEP_2)
	v_cmp_eq_u32_e64 s2, 1, v6
	v_dual_cndmask_b32 v1, v1, v3 :: v_dual_cndmask_b32 v2, v2, v4
	v_cndmask_b32_e64 v7, v9, v7, s2
	s_delay_alu instid0(VALU_DEP_2) | instskip(NEXT) | instid1(VALU_DEP_3)
	v_cndmask_b32_e64 v1, v3, v1, s2
	v_cndmask_b32_e64 v2, v4, v2, s2
	s_delay_alu instid0(VALU_DEP_3)
	v_and_b32_e32 v6, 0xff, v7
.LBB535_223:
	s_or_b32 exec_lo, exec_lo, s5
	v_cmp_gt_u32_e32 vcc_lo, 4, v8
	v_add_nc_u32_e32 v8, 4, v8
	s_waitcnt lgkmcnt(1)
	v_cndmask_b32_e64 v3, 0, 1, vcc_lo
	s_delay_alu instid0(VALU_DEP_2) | instskip(NEXT) | instid1(VALU_DEP_2)
	v_cmp_gt_u32_e32 vcc_lo, s3, v8
	v_lshlrev_b32_e32 v3, 2, v3
	s_waitcnt lgkmcnt(0)
	s_delay_alu instid0(VALU_DEP_1)
	v_add_lshl_u32 v4, v3, v5, 2
	ds_bpermute_b32 v5, v4, v6
	ds_bpermute_b32 v3, v4, v1
	;; [unrolled: 1-line block ×3, first 2 shown]
	s_and_saveexec_b32 s3, vcc_lo
	s_cbranch_execz .LBB535_225
; %bb.224:
	s_waitcnt lgkmcnt(2)
	v_and_b32_e32 v6, 1, v5
	s_waitcnt lgkmcnt(0)
	v_cmp_lt_i64_e32 vcc_lo, v[3:4], v[1:2]
	s_delay_alu instid0(VALU_DEP_2) | instskip(SKIP_1) | instid1(VALU_DEP_2)
	v_cmp_eq_u32_e64 s2, 1, v6
	v_and_b32_e32 v6, 1, v7
	v_cndmask_b32_e64 v7, v7, 1, s2
	s_and_b32 vcc_lo, s2, vcc_lo
	s_delay_alu instid0(VALU_DEP_2) | instskip(SKIP_1) | instid1(VALU_DEP_2)
	v_cmp_eq_u32_e64 s2, 1, v6
	v_dual_cndmask_b32 v1, v1, v3 :: v_dual_cndmask_b32 v2, v2, v4
	v_cndmask_b32_e64 v5, v5, v7, s2
	s_delay_alu instid0(VALU_DEP_2) | instskip(NEXT) | instid1(VALU_DEP_3)
	v_cndmask_b32_e64 v1, v3, v1, s2
	v_cndmask_b32_e64 v2, v4, v2, s2
	s_delay_alu instid0(VALU_DEP_3)
	v_and_b32_e32 v6, 0xff, v5
.LBB535_225:
	s_or_b32 exec_lo, exec_lo, s3
.LBB535_226:
	s_delay_alu instid0(SALU_CYCLE_1)
	s_or_b32 exec_lo, exec_lo, s4
.LBB535_227:
	s_delay_alu instid0(SALU_CYCLE_1)
	s_mov_b32 s4, exec_lo
                                        ; implicit-def: $vgpr3_vgpr4
                                        ; implicit-def: $vgpr5
	v_cmpx_eq_u32_e32 0, v0
	s_cbranch_execz .LBB535_231
; %bb.228:
	s_waitcnt lgkmcnt(0)
	v_dual_mov_b32 v3, s20 :: v_dual_mov_b32 v4, s21
	v_mov_b32_e32 v5, s24
	s_cmp_eq_u64 s[14:15], 0
	s_cbranch_scc1 .LBB535_230
; %bb.229:
	v_and_b32_e32 v0, 1, v6
	v_cmp_gt_i64_e32 vcc_lo, s[20:21], v[1:2]
	s_bitcmp1_b32 s24, 0
	s_cselect_b32 s3, -1, 0
	s_delay_alu instid0(VALU_DEP_2) | instskip(NEXT) | instid1(VALU_DEP_1)
	v_cmp_eq_u32_e64 s2, 1, v0
	s_and_b32 vcc_lo, s2, vcc_lo
	v_cndmask_b32_e64 v0, s24, 1, s2
	v_cndmask_b32_e32 v3, s20, v1, vcc_lo
	v_cndmask_b32_e32 v4, s21, v2, vcc_lo
	s_delay_alu instid0(VALU_DEP_3) | instskip(NEXT) | instid1(VALU_DEP_3)
	v_cndmask_b32_e64 v5, v6, v0, s3
	v_cndmask_b32_e64 v3, v1, v3, s3
	s_delay_alu instid0(VALU_DEP_3)
	v_cndmask_b32_e64 v4, v2, v4, s3
.LBB535_230:
	s_or_b32 s26, s26, exec_lo
.LBB535_231:
	s_or_b32 exec_lo, exec_lo, s4
	s_and_saveexec_b32 s2, s26
	s_cbranch_execnz .LBB535_201
	s_branch .LBB535_202
.LBB535_232:
	v_lshlrev_b32_e32 v3, 3, v25
	s_clause 0x1
	global_load_b64 v[26:27], v3, s[8:9]
	global_load_b64 v[28:29], v3, s[22:23]
	v_add_co_u32 v3, s8, s26, v25
	s_delay_alu instid0(VALU_DEP_1) | instskip(SKIP_2) | instid1(VALU_DEP_1)
	v_add_co_ci_u32_e64 v4, null, s28, 0, s8
	s_waitcnt vmcnt(0)
	v_cmp_ne_u64_e64 s8, v[26:27], v[28:29]
	v_cndmask_b32_e64 v18, 0, 1, s8
	s_or_b32 exec_lo, exec_lo, s30
	s_and_saveexec_b32 s9, s7
	s_cbranch_execz .LBB535_57
.LBB535_233:
	v_and_b32_e32 v25, 1, v21
	v_cmp_lt_i64_e64 s7, v[9:10], v[1:2]
	s_delay_alu instid0(VALU_DEP_2) | instskip(SKIP_1) | instid1(VALU_DEP_2)
	v_cmp_eq_u32_e64 s8, 1, v25
	v_and_b32_e32 v25, 1, v17
	s_and_b32 s7, s8, s7
	v_cndmask_b32_e64 v17, v17, 1, s8
	v_cndmask_b32_e64 v1, v1, v9, s7
	;; [unrolled: 1-line block ×3, first 2 shown]
	v_cmp_eq_u32_e64 s7, 1, v25
	s_delay_alu instid0(VALU_DEP_1) | instskip(NEXT) | instid1(VALU_DEP_3)
	v_cndmask_b32_e64 v17, v21, v17, s7
	v_cndmask_b32_e64 v2, v10, v2, s7
	;; [unrolled: 1-line block ×3, first 2 shown]
	s_or_b32 exec_lo, exec_lo, s9
	s_and_saveexec_b32 s8, s6
	s_cbranch_execz .LBB535_58
.LBB535_234:
	v_and_b32_e32 v9, 1, v24
	v_cmp_lt_i64_e64 s6, v[15:16], v[1:2]
	s_delay_alu instid0(VALU_DEP_2) | instskip(SKIP_1) | instid1(VALU_DEP_2)
	v_cmp_eq_u32_e64 s7, 1, v9
	v_and_b32_e32 v9, 1, v17
	s_and_b32 s6, s7, s6
	v_cndmask_b32_e64 v10, v17, 1, s7
	v_cndmask_b32_e64 v1, v1, v15, s6
	;; [unrolled: 1-line block ×3, first 2 shown]
	v_cmp_eq_u32_e64 s6, 1, v9
	s_delay_alu instid0(VALU_DEP_1) | instskip(NEXT) | instid1(VALU_DEP_3)
	v_cndmask_b32_e64 v17, v24, v10, s6
	v_cndmask_b32_e64 v2, v16, v2, s6
	;; [unrolled: 1-line block ×3, first 2 shown]
	s_or_b32 exec_lo, exec_lo, s8
	s_and_saveexec_b32 s7, s5
	s_cbranch_execz .LBB535_59
.LBB535_235:
	v_and_b32_e32 v9, 1, v20
	v_cmp_lt_i64_e64 s5, v[7:8], v[1:2]
	s_delay_alu instid0(VALU_DEP_2) | instskip(SKIP_1) | instid1(VALU_DEP_2)
	v_cmp_eq_u32_e64 s6, 1, v9
	v_and_b32_e32 v9, 1, v17
	s_and_b32 s5, s6, s5
	v_cndmask_b32_e64 v10, v17, 1, s6
	v_cndmask_b32_e64 v1, v1, v7, s5
	;; [unrolled: 1-line block ×3, first 2 shown]
	v_cmp_eq_u32_e64 s5, 1, v9
	s_delay_alu instid0(VALU_DEP_1) | instskip(NEXT) | instid1(VALU_DEP_3)
	v_cndmask_b32_e64 v17, v20, v10, s5
	v_cndmask_b32_e64 v2, v8, v2, s5
	;; [unrolled: 1-line block ×3, first 2 shown]
	s_or_b32 exec_lo, exec_lo, s7
	s_and_saveexec_b32 s6, s4
	s_cbranch_execz .LBB535_60
.LBB535_236:
	v_and_b32_e32 v7, 1, v23
	v_cmp_lt_i64_e64 s4, v[13:14], v[1:2]
	s_delay_alu instid0(VALU_DEP_2) | instskip(SKIP_1) | instid1(VALU_DEP_2)
	v_cmp_eq_u32_e64 s5, 1, v7
	v_and_b32_e32 v7, 1, v17
	s_and_b32 s4, s5, s4
	v_cndmask_b32_e64 v8, v17, 1, s5
	v_cndmask_b32_e64 v1, v1, v13, s4
	;; [unrolled: 1-line block ×3, first 2 shown]
	v_cmp_eq_u32_e64 s4, 1, v7
	s_delay_alu instid0(VALU_DEP_1) | instskip(NEXT) | instid1(VALU_DEP_3)
	v_cndmask_b32_e64 v17, v23, v8, s4
	v_cndmask_b32_e64 v2, v14, v2, s4
	;; [unrolled: 1-line block ×3, first 2 shown]
	s_or_b32 exec_lo, exec_lo, s6
	s_and_saveexec_b32 s5, s3
	s_cbranch_execz .LBB535_61
.LBB535_237:
	v_and_b32_e32 v7, 1, v19
	v_cmp_lt_i64_e64 s3, v[5:6], v[1:2]
	s_delay_alu instid0(VALU_DEP_2) | instskip(SKIP_1) | instid1(VALU_DEP_2)
	v_cmp_eq_u32_e64 s4, 1, v7
	v_and_b32_e32 v7, 1, v17
	s_and_b32 s3, s4, s3
	v_cndmask_b32_e64 v8, v17, 1, s4
	v_cndmask_b32_e64 v1, v1, v5, s3
	;; [unrolled: 1-line block ×3, first 2 shown]
	v_cmp_eq_u32_e64 s3, 1, v7
	s_delay_alu instid0(VALU_DEP_1) | instskip(NEXT) | instid1(VALU_DEP_3)
	v_cndmask_b32_e64 v17, v19, v8, s3
	v_cndmask_b32_e64 v2, v6, v2, s3
	;; [unrolled: 1-line block ×3, first 2 shown]
	s_or_b32 exec_lo, exec_lo, s5
	s_and_saveexec_b32 s4, s2
	s_cbranch_execz .LBB535_62
.LBB535_238:
	v_and_b32_e32 v5, 1, v22
	v_cmp_lt_i64_e64 s2, v[11:12], v[1:2]
	s_delay_alu instid0(VALU_DEP_2) | instskip(SKIP_1) | instid1(VALU_DEP_2)
	v_cmp_eq_u32_e64 s3, 1, v5
	v_and_b32_e32 v5, 1, v17
	s_and_b32 s2, s3, s2
	v_cndmask_b32_e64 v6, v17, 1, s3
	v_cndmask_b32_e64 v1, v1, v11, s2
	;; [unrolled: 1-line block ×3, first 2 shown]
	v_cmp_eq_u32_e64 s2, 1, v5
	s_delay_alu instid0(VALU_DEP_1) | instskip(NEXT) | instid1(VALU_DEP_3)
	v_cndmask_b32_e64 v17, v22, v6, s2
	v_cndmask_b32_e64 v2, v12, v2, s2
	v_cndmask_b32_e64 v1, v11, v1, s2
	s_or_b32 exec_lo, exec_lo, s4
	s_and_saveexec_b32 s3, vcc_lo
	s_cbranch_execnz .LBB535_63
	s_branch .LBB535_64
.LBB535_239:
	v_lshlrev_b32_e32 v3, 3, v13
	s_clause 0x1
	global_load_b64 v[14:15], v3, s[6:7]
	global_load_b64 v[16:17], v3, s[8:9]
	v_add_co_u32 v3, s4, s5, v13
	s_delay_alu instid0(VALU_DEP_1) | instskip(SKIP_2) | instid1(VALU_DEP_1)
	v_add_co_ci_u32_e64 v4, null, s23, 0, s4
	s_waitcnt vmcnt(0)
	v_cmp_ne_u64_e64 s4, v[14:15], v[16:17]
	v_cndmask_b32_e64 v10, 0, 1, s4
	s_or_b32 exec_lo, exec_lo, s27
	s_and_saveexec_b32 s5, s3
	s_cbranch_execz .LBB535_100
.LBB535_240:
	v_and_b32_e32 v13, 1, v11
	v_cmp_lt_i64_e64 s3, v[5:6], v[1:2]
	s_delay_alu instid0(VALU_DEP_2) | instskip(SKIP_1) | instid1(VALU_DEP_2)
	v_cmp_eq_u32_e64 s4, 1, v13
	v_and_b32_e32 v13, 1, v9
	s_and_b32 s3, s4, s3
	v_cndmask_b32_e64 v9, v9, 1, s4
	v_cndmask_b32_e64 v1, v1, v5, s3
	v_cndmask_b32_e64 v2, v2, v6, s3
	v_cmp_eq_u32_e64 s3, 1, v13
	s_delay_alu instid0(VALU_DEP_1) | instskip(NEXT) | instid1(VALU_DEP_3)
	v_cndmask_b32_e64 v9, v11, v9, s3
	v_cndmask_b32_e64 v2, v6, v2, s3
	;; [unrolled: 1-line block ×3, first 2 shown]
	s_or_b32 exec_lo, exec_lo, s5
	s_and_saveexec_b32 s4, s2
	s_cbranch_execz .LBB535_101
.LBB535_241:
	v_and_b32_e32 v5, 1, v12
	v_cmp_lt_i64_e64 s2, v[7:8], v[1:2]
	s_delay_alu instid0(VALU_DEP_2) | instskip(SKIP_1) | instid1(VALU_DEP_2)
	v_cmp_eq_u32_e64 s3, 1, v5
	v_and_b32_e32 v5, 1, v9
	s_and_b32 s2, s3, s2
	v_cndmask_b32_e64 v6, v9, 1, s3
	v_cndmask_b32_e64 v1, v1, v7, s2
	;; [unrolled: 1-line block ×3, first 2 shown]
	v_cmp_eq_u32_e64 s2, 1, v5
	s_delay_alu instid0(VALU_DEP_1) | instskip(NEXT) | instid1(VALU_DEP_3)
	v_cndmask_b32_e64 v9, v12, v6, s2
	v_cndmask_b32_e64 v2, v8, v2, s2
	;; [unrolled: 1-line block ×3, first 2 shown]
	s_or_b32 exec_lo, exec_lo, s4
	s_and_saveexec_b32 s3, vcc_lo
	s_cbranch_execnz .LBB535_102
	s_branch .LBB535_103
	.section	.rodata,"a",@progbits
	.p2align	6, 0x0
	.amdhsa_kernel _ZN7rocprim17ROCPRIM_400000_NS6detail17trampoline_kernelINS0_14default_configENS1_22reduce_config_selectorIN6thrust23THRUST_200600_302600_NS5tupleIblNS6_9null_typeES8_S8_S8_S8_S8_S8_S8_EEEEZNS1_11reduce_implILb1ES3_NS6_12zip_iteratorINS7_INS6_11hip_rocprim26transform_input_iterator_tIbNSD_35transform_pair_of_input_iterators_tIbNS6_6detail15normal_iteratorINS6_10device_ptrIKxEEEESL_NS6_8equal_toIxEEEENSG_9not_fun_tINSD_8identityEEEEENSD_19counting_iterator_tIlEES8_S8_S8_S8_S8_S8_S8_S8_EEEEPS9_S9_NSD_9__find_if7functorIS9_EEEE10hipError_tPvRmT1_T2_T3_mT4_P12ihipStream_tbEUlT_E1_NS1_11comp_targetILNS1_3genE9ELNS1_11target_archE1100ELNS1_3gpuE3ELNS1_3repE0EEENS1_30default_config_static_selectorELNS0_4arch9wavefront6targetE0EEEvS14_
		.amdhsa_group_segment_fixed_size 640
		.amdhsa_private_segment_fixed_size 0
		.amdhsa_kernarg_size 88
		.amdhsa_user_sgpr_count 15
		.amdhsa_user_sgpr_dispatch_ptr 0
		.amdhsa_user_sgpr_queue_ptr 0
		.amdhsa_user_sgpr_kernarg_segment_ptr 1
		.amdhsa_user_sgpr_dispatch_id 0
		.amdhsa_user_sgpr_private_segment_size 0
		.amdhsa_wavefront_size32 1
		.amdhsa_uses_dynamic_stack 0
		.amdhsa_enable_private_segment 0
		.amdhsa_system_sgpr_workgroup_id_x 1
		.amdhsa_system_sgpr_workgroup_id_y 0
		.amdhsa_system_sgpr_workgroup_id_z 0
		.amdhsa_system_sgpr_workgroup_info 0
		.amdhsa_system_vgpr_workitem_id 0
		.amdhsa_next_free_vgpr 34
		.amdhsa_next_free_sgpr 32
		.amdhsa_reserve_vcc 1
		.amdhsa_float_round_mode_32 0
		.amdhsa_float_round_mode_16_64 0
		.amdhsa_float_denorm_mode_32 3
		.amdhsa_float_denorm_mode_16_64 3
		.amdhsa_dx10_clamp 1
		.amdhsa_ieee_mode 1
		.amdhsa_fp16_overflow 0
		.amdhsa_workgroup_processor_mode 1
		.amdhsa_memory_ordered 1
		.amdhsa_forward_progress 0
		.amdhsa_shared_vgpr_count 0
		.amdhsa_exception_fp_ieee_invalid_op 0
		.amdhsa_exception_fp_denorm_src 0
		.amdhsa_exception_fp_ieee_div_zero 0
		.amdhsa_exception_fp_ieee_overflow 0
		.amdhsa_exception_fp_ieee_underflow 0
		.amdhsa_exception_fp_ieee_inexact 0
		.amdhsa_exception_int_div_zero 0
	.end_amdhsa_kernel
	.section	.text._ZN7rocprim17ROCPRIM_400000_NS6detail17trampoline_kernelINS0_14default_configENS1_22reduce_config_selectorIN6thrust23THRUST_200600_302600_NS5tupleIblNS6_9null_typeES8_S8_S8_S8_S8_S8_S8_EEEEZNS1_11reduce_implILb1ES3_NS6_12zip_iteratorINS7_INS6_11hip_rocprim26transform_input_iterator_tIbNSD_35transform_pair_of_input_iterators_tIbNS6_6detail15normal_iteratorINS6_10device_ptrIKxEEEESL_NS6_8equal_toIxEEEENSG_9not_fun_tINSD_8identityEEEEENSD_19counting_iterator_tIlEES8_S8_S8_S8_S8_S8_S8_S8_EEEEPS9_S9_NSD_9__find_if7functorIS9_EEEE10hipError_tPvRmT1_T2_T3_mT4_P12ihipStream_tbEUlT_E1_NS1_11comp_targetILNS1_3genE9ELNS1_11target_archE1100ELNS1_3gpuE3ELNS1_3repE0EEENS1_30default_config_static_selectorELNS0_4arch9wavefront6targetE0EEEvS14_,"axG",@progbits,_ZN7rocprim17ROCPRIM_400000_NS6detail17trampoline_kernelINS0_14default_configENS1_22reduce_config_selectorIN6thrust23THRUST_200600_302600_NS5tupleIblNS6_9null_typeES8_S8_S8_S8_S8_S8_S8_EEEEZNS1_11reduce_implILb1ES3_NS6_12zip_iteratorINS7_INS6_11hip_rocprim26transform_input_iterator_tIbNSD_35transform_pair_of_input_iterators_tIbNS6_6detail15normal_iteratorINS6_10device_ptrIKxEEEESL_NS6_8equal_toIxEEEENSG_9not_fun_tINSD_8identityEEEEENSD_19counting_iterator_tIlEES8_S8_S8_S8_S8_S8_S8_S8_EEEEPS9_S9_NSD_9__find_if7functorIS9_EEEE10hipError_tPvRmT1_T2_T3_mT4_P12ihipStream_tbEUlT_E1_NS1_11comp_targetILNS1_3genE9ELNS1_11target_archE1100ELNS1_3gpuE3ELNS1_3repE0EEENS1_30default_config_static_selectorELNS0_4arch9wavefront6targetE0EEEvS14_,comdat
.Lfunc_end535:
	.size	_ZN7rocprim17ROCPRIM_400000_NS6detail17trampoline_kernelINS0_14default_configENS1_22reduce_config_selectorIN6thrust23THRUST_200600_302600_NS5tupleIblNS6_9null_typeES8_S8_S8_S8_S8_S8_S8_EEEEZNS1_11reduce_implILb1ES3_NS6_12zip_iteratorINS7_INS6_11hip_rocprim26transform_input_iterator_tIbNSD_35transform_pair_of_input_iterators_tIbNS6_6detail15normal_iteratorINS6_10device_ptrIKxEEEESL_NS6_8equal_toIxEEEENSG_9not_fun_tINSD_8identityEEEEENSD_19counting_iterator_tIlEES8_S8_S8_S8_S8_S8_S8_S8_EEEEPS9_S9_NSD_9__find_if7functorIS9_EEEE10hipError_tPvRmT1_T2_T3_mT4_P12ihipStream_tbEUlT_E1_NS1_11comp_targetILNS1_3genE9ELNS1_11target_archE1100ELNS1_3gpuE3ELNS1_3repE0EEENS1_30default_config_static_selectorELNS0_4arch9wavefront6targetE0EEEvS14_, .Lfunc_end535-_ZN7rocprim17ROCPRIM_400000_NS6detail17trampoline_kernelINS0_14default_configENS1_22reduce_config_selectorIN6thrust23THRUST_200600_302600_NS5tupleIblNS6_9null_typeES8_S8_S8_S8_S8_S8_S8_EEEEZNS1_11reduce_implILb1ES3_NS6_12zip_iteratorINS7_INS6_11hip_rocprim26transform_input_iterator_tIbNSD_35transform_pair_of_input_iterators_tIbNS6_6detail15normal_iteratorINS6_10device_ptrIKxEEEESL_NS6_8equal_toIxEEEENSG_9not_fun_tINSD_8identityEEEEENSD_19counting_iterator_tIlEES8_S8_S8_S8_S8_S8_S8_S8_EEEEPS9_S9_NSD_9__find_if7functorIS9_EEEE10hipError_tPvRmT1_T2_T3_mT4_P12ihipStream_tbEUlT_E1_NS1_11comp_targetILNS1_3genE9ELNS1_11target_archE1100ELNS1_3gpuE3ELNS1_3repE0EEENS1_30default_config_static_selectorELNS0_4arch9wavefront6targetE0EEEvS14_
                                        ; -- End function
	.section	.AMDGPU.csdata,"",@progbits
; Kernel info:
; codeLenInByte = 16136
; NumSgprs: 34
; NumVgprs: 34
; ScratchSize: 0
; MemoryBound: 0
; FloatMode: 240
; IeeeMode: 1
; LDSByteSize: 640 bytes/workgroup (compile time only)
; SGPRBlocks: 4
; VGPRBlocks: 4
; NumSGPRsForWavesPerEU: 34
; NumVGPRsForWavesPerEU: 34
; Occupancy: 16
; WaveLimiterHint : 0
; COMPUTE_PGM_RSRC2:SCRATCH_EN: 0
; COMPUTE_PGM_RSRC2:USER_SGPR: 15
; COMPUTE_PGM_RSRC2:TRAP_HANDLER: 0
; COMPUTE_PGM_RSRC2:TGID_X_EN: 1
; COMPUTE_PGM_RSRC2:TGID_Y_EN: 0
; COMPUTE_PGM_RSRC2:TGID_Z_EN: 0
; COMPUTE_PGM_RSRC2:TIDIG_COMP_CNT: 0
	.section	.text._ZN7rocprim17ROCPRIM_400000_NS6detail17trampoline_kernelINS0_14default_configENS1_22reduce_config_selectorIN6thrust23THRUST_200600_302600_NS5tupleIblNS6_9null_typeES8_S8_S8_S8_S8_S8_S8_EEEEZNS1_11reduce_implILb1ES3_NS6_12zip_iteratorINS7_INS6_11hip_rocprim26transform_input_iterator_tIbNSD_35transform_pair_of_input_iterators_tIbNS6_6detail15normal_iteratorINS6_10device_ptrIKxEEEESL_NS6_8equal_toIxEEEENSG_9not_fun_tINSD_8identityEEEEENSD_19counting_iterator_tIlEES8_S8_S8_S8_S8_S8_S8_S8_EEEEPS9_S9_NSD_9__find_if7functorIS9_EEEE10hipError_tPvRmT1_T2_T3_mT4_P12ihipStream_tbEUlT_E1_NS1_11comp_targetILNS1_3genE8ELNS1_11target_archE1030ELNS1_3gpuE2ELNS1_3repE0EEENS1_30default_config_static_selectorELNS0_4arch9wavefront6targetE0EEEvS14_,"axG",@progbits,_ZN7rocprim17ROCPRIM_400000_NS6detail17trampoline_kernelINS0_14default_configENS1_22reduce_config_selectorIN6thrust23THRUST_200600_302600_NS5tupleIblNS6_9null_typeES8_S8_S8_S8_S8_S8_S8_EEEEZNS1_11reduce_implILb1ES3_NS6_12zip_iteratorINS7_INS6_11hip_rocprim26transform_input_iterator_tIbNSD_35transform_pair_of_input_iterators_tIbNS6_6detail15normal_iteratorINS6_10device_ptrIKxEEEESL_NS6_8equal_toIxEEEENSG_9not_fun_tINSD_8identityEEEEENSD_19counting_iterator_tIlEES8_S8_S8_S8_S8_S8_S8_S8_EEEEPS9_S9_NSD_9__find_if7functorIS9_EEEE10hipError_tPvRmT1_T2_T3_mT4_P12ihipStream_tbEUlT_E1_NS1_11comp_targetILNS1_3genE8ELNS1_11target_archE1030ELNS1_3gpuE2ELNS1_3repE0EEENS1_30default_config_static_selectorELNS0_4arch9wavefront6targetE0EEEvS14_,comdat
	.protected	_ZN7rocprim17ROCPRIM_400000_NS6detail17trampoline_kernelINS0_14default_configENS1_22reduce_config_selectorIN6thrust23THRUST_200600_302600_NS5tupleIblNS6_9null_typeES8_S8_S8_S8_S8_S8_S8_EEEEZNS1_11reduce_implILb1ES3_NS6_12zip_iteratorINS7_INS6_11hip_rocprim26transform_input_iterator_tIbNSD_35transform_pair_of_input_iterators_tIbNS6_6detail15normal_iteratorINS6_10device_ptrIKxEEEESL_NS6_8equal_toIxEEEENSG_9not_fun_tINSD_8identityEEEEENSD_19counting_iterator_tIlEES8_S8_S8_S8_S8_S8_S8_S8_EEEEPS9_S9_NSD_9__find_if7functorIS9_EEEE10hipError_tPvRmT1_T2_T3_mT4_P12ihipStream_tbEUlT_E1_NS1_11comp_targetILNS1_3genE8ELNS1_11target_archE1030ELNS1_3gpuE2ELNS1_3repE0EEENS1_30default_config_static_selectorELNS0_4arch9wavefront6targetE0EEEvS14_ ; -- Begin function _ZN7rocprim17ROCPRIM_400000_NS6detail17trampoline_kernelINS0_14default_configENS1_22reduce_config_selectorIN6thrust23THRUST_200600_302600_NS5tupleIblNS6_9null_typeES8_S8_S8_S8_S8_S8_S8_EEEEZNS1_11reduce_implILb1ES3_NS6_12zip_iteratorINS7_INS6_11hip_rocprim26transform_input_iterator_tIbNSD_35transform_pair_of_input_iterators_tIbNS6_6detail15normal_iteratorINS6_10device_ptrIKxEEEESL_NS6_8equal_toIxEEEENSG_9not_fun_tINSD_8identityEEEEENSD_19counting_iterator_tIlEES8_S8_S8_S8_S8_S8_S8_S8_EEEEPS9_S9_NSD_9__find_if7functorIS9_EEEE10hipError_tPvRmT1_T2_T3_mT4_P12ihipStream_tbEUlT_E1_NS1_11comp_targetILNS1_3genE8ELNS1_11target_archE1030ELNS1_3gpuE2ELNS1_3repE0EEENS1_30default_config_static_selectorELNS0_4arch9wavefront6targetE0EEEvS14_
	.globl	_ZN7rocprim17ROCPRIM_400000_NS6detail17trampoline_kernelINS0_14default_configENS1_22reduce_config_selectorIN6thrust23THRUST_200600_302600_NS5tupleIblNS6_9null_typeES8_S8_S8_S8_S8_S8_S8_EEEEZNS1_11reduce_implILb1ES3_NS6_12zip_iteratorINS7_INS6_11hip_rocprim26transform_input_iterator_tIbNSD_35transform_pair_of_input_iterators_tIbNS6_6detail15normal_iteratorINS6_10device_ptrIKxEEEESL_NS6_8equal_toIxEEEENSG_9not_fun_tINSD_8identityEEEEENSD_19counting_iterator_tIlEES8_S8_S8_S8_S8_S8_S8_S8_EEEEPS9_S9_NSD_9__find_if7functorIS9_EEEE10hipError_tPvRmT1_T2_T3_mT4_P12ihipStream_tbEUlT_E1_NS1_11comp_targetILNS1_3genE8ELNS1_11target_archE1030ELNS1_3gpuE2ELNS1_3repE0EEENS1_30default_config_static_selectorELNS0_4arch9wavefront6targetE0EEEvS14_
	.p2align	8
	.type	_ZN7rocprim17ROCPRIM_400000_NS6detail17trampoline_kernelINS0_14default_configENS1_22reduce_config_selectorIN6thrust23THRUST_200600_302600_NS5tupleIblNS6_9null_typeES8_S8_S8_S8_S8_S8_S8_EEEEZNS1_11reduce_implILb1ES3_NS6_12zip_iteratorINS7_INS6_11hip_rocprim26transform_input_iterator_tIbNSD_35transform_pair_of_input_iterators_tIbNS6_6detail15normal_iteratorINS6_10device_ptrIKxEEEESL_NS6_8equal_toIxEEEENSG_9not_fun_tINSD_8identityEEEEENSD_19counting_iterator_tIlEES8_S8_S8_S8_S8_S8_S8_S8_EEEEPS9_S9_NSD_9__find_if7functorIS9_EEEE10hipError_tPvRmT1_T2_T3_mT4_P12ihipStream_tbEUlT_E1_NS1_11comp_targetILNS1_3genE8ELNS1_11target_archE1030ELNS1_3gpuE2ELNS1_3repE0EEENS1_30default_config_static_selectorELNS0_4arch9wavefront6targetE0EEEvS14_,@function
_ZN7rocprim17ROCPRIM_400000_NS6detail17trampoline_kernelINS0_14default_configENS1_22reduce_config_selectorIN6thrust23THRUST_200600_302600_NS5tupleIblNS6_9null_typeES8_S8_S8_S8_S8_S8_S8_EEEEZNS1_11reduce_implILb1ES3_NS6_12zip_iteratorINS7_INS6_11hip_rocprim26transform_input_iterator_tIbNSD_35transform_pair_of_input_iterators_tIbNS6_6detail15normal_iteratorINS6_10device_ptrIKxEEEESL_NS6_8equal_toIxEEEENSG_9not_fun_tINSD_8identityEEEEENSD_19counting_iterator_tIlEES8_S8_S8_S8_S8_S8_S8_S8_EEEEPS9_S9_NSD_9__find_if7functorIS9_EEEE10hipError_tPvRmT1_T2_T3_mT4_P12ihipStream_tbEUlT_E1_NS1_11comp_targetILNS1_3genE8ELNS1_11target_archE1030ELNS1_3gpuE2ELNS1_3repE0EEENS1_30default_config_static_selectorELNS0_4arch9wavefront6targetE0EEEvS14_: ; @_ZN7rocprim17ROCPRIM_400000_NS6detail17trampoline_kernelINS0_14default_configENS1_22reduce_config_selectorIN6thrust23THRUST_200600_302600_NS5tupleIblNS6_9null_typeES8_S8_S8_S8_S8_S8_S8_EEEEZNS1_11reduce_implILb1ES3_NS6_12zip_iteratorINS7_INS6_11hip_rocprim26transform_input_iterator_tIbNSD_35transform_pair_of_input_iterators_tIbNS6_6detail15normal_iteratorINS6_10device_ptrIKxEEEESL_NS6_8equal_toIxEEEENSG_9not_fun_tINSD_8identityEEEEENSD_19counting_iterator_tIlEES8_S8_S8_S8_S8_S8_S8_S8_EEEEPS9_S9_NSD_9__find_if7functorIS9_EEEE10hipError_tPvRmT1_T2_T3_mT4_P12ihipStream_tbEUlT_E1_NS1_11comp_targetILNS1_3genE8ELNS1_11target_archE1030ELNS1_3gpuE2ELNS1_3repE0EEENS1_30default_config_static_selectorELNS0_4arch9wavefront6targetE0EEEvS14_
; %bb.0:
	.section	.rodata,"a",@progbits
	.p2align	6, 0x0
	.amdhsa_kernel _ZN7rocprim17ROCPRIM_400000_NS6detail17trampoline_kernelINS0_14default_configENS1_22reduce_config_selectorIN6thrust23THRUST_200600_302600_NS5tupleIblNS6_9null_typeES8_S8_S8_S8_S8_S8_S8_EEEEZNS1_11reduce_implILb1ES3_NS6_12zip_iteratorINS7_INS6_11hip_rocprim26transform_input_iterator_tIbNSD_35transform_pair_of_input_iterators_tIbNS6_6detail15normal_iteratorINS6_10device_ptrIKxEEEESL_NS6_8equal_toIxEEEENSG_9not_fun_tINSD_8identityEEEEENSD_19counting_iterator_tIlEES8_S8_S8_S8_S8_S8_S8_S8_EEEEPS9_S9_NSD_9__find_if7functorIS9_EEEE10hipError_tPvRmT1_T2_T3_mT4_P12ihipStream_tbEUlT_E1_NS1_11comp_targetILNS1_3genE8ELNS1_11target_archE1030ELNS1_3gpuE2ELNS1_3repE0EEENS1_30default_config_static_selectorELNS0_4arch9wavefront6targetE0EEEvS14_
		.amdhsa_group_segment_fixed_size 0
		.amdhsa_private_segment_fixed_size 0
		.amdhsa_kernarg_size 88
		.amdhsa_user_sgpr_count 15
		.amdhsa_user_sgpr_dispatch_ptr 0
		.amdhsa_user_sgpr_queue_ptr 0
		.amdhsa_user_sgpr_kernarg_segment_ptr 1
		.amdhsa_user_sgpr_dispatch_id 0
		.amdhsa_user_sgpr_private_segment_size 0
		.amdhsa_wavefront_size32 1
		.amdhsa_uses_dynamic_stack 0
		.amdhsa_enable_private_segment 0
		.amdhsa_system_sgpr_workgroup_id_x 1
		.amdhsa_system_sgpr_workgroup_id_y 0
		.amdhsa_system_sgpr_workgroup_id_z 0
		.amdhsa_system_sgpr_workgroup_info 0
		.amdhsa_system_vgpr_workitem_id 0
		.amdhsa_next_free_vgpr 1
		.amdhsa_next_free_sgpr 1
		.amdhsa_reserve_vcc 0
		.amdhsa_float_round_mode_32 0
		.amdhsa_float_round_mode_16_64 0
		.amdhsa_float_denorm_mode_32 3
		.amdhsa_float_denorm_mode_16_64 3
		.amdhsa_dx10_clamp 1
		.amdhsa_ieee_mode 1
		.amdhsa_fp16_overflow 0
		.amdhsa_workgroup_processor_mode 1
		.amdhsa_memory_ordered 1
		.amdhsa_forward_progress 0
		.amdhsa_shared_vgpr_count 0
		.amdhsa_exception_fp_ieee_invalid_op 0
		.amdhsa_exception_fp_denorm_src 0
		.amdhsa_exception_fp_ieee_div_zero 0
		.amdhsa_exception_fp_ieee_overflow 0
		.amdhsa_exception_fp_ieee_underflow 0
		.amdhsa_exception_fp_ieee_inexact 0
		.amdhsa_exception_int_div_zero 0
	.end_amdhsa_kernel
	.section	.text._ZN7rocprim17ROCPRIM_400000_NS6detail17trampoline_kernelINS0_14default_configENS1_22reduce_config_selectorIN6thrust23THRUST_200600_302600_NS5tupleIblNS6_9null_typeES8_S8_S8_S8_S8_S8_S8_EEEEZNS1_11reduce_implILb1ES3_NS6_12zip_iteratorINS7_INS6_11hip_rocprim26transform_input_iterator_tIbNSD_35transform_pair_of_input_iterators_tIbNS6_6detail15normal_iteratorINS6_10device_ptrIKxEEEESL_NS6_8equal_toIxEEEENSG_9not_fun_tINSD_8identityEEEEENSD_19counting_iterator_tIlEES8_S8_S8_S8_S8_S8_S8_S8_EEEEPS9_S9_NSD_9__find_if7functorIS9_EEEE10hipError_tPvRmT1_T2_T3_mT4_P12ihipStream_tbEUlT_E1_NS1_11comp_targetILNS1_3genE8ELNS1_11target_archE1030ELNS1_3gpuE2ELNS1_3repE0EEENS1_30default_config_static_selectorELNS0_4arch9wavefront6targetE0EEEvS14_,"axG",@progbits,_ZN7rocprim17ROCPRIM_400000_NS6detail17trampoline_kernelINS0_14default_configENS1_22reduce_config_selectorIN6thrust23THRUST_200600_302600_NS5tupleIblNS6_9null_typeES8_S8_S8_S8_S8_S8_S8_EEEEZNS1_11reduce_implILb1ES3_NS6_12zip_iteratorINS7_INS6_11hip_rocprim26transform_input_iterator_tIbNSD_35transform_pair_of_input_iterators_tIbNS6_6detail15normal_iteratorINS6_10device_ptrIKxEEEESL_NS6_8equal_toIxEEEENSG_9not_fun_tINSD_8identityEEEEENSD_19counting_iterator_tIlEES8_S8_S8_S8_S8_S8_S8_S8_EEEEPS9_S9_NSD_9__find_if7functorIS9_EEEE10hipError_tPvRmT1_T2_T3_mT4_P12ihipStream_tbEUlT_E1_NS1_11comp_targetILNS1_3genE8ELNS1_11target_archE1030ELNS1_3gpuE2ELNS1_3repE0EEENS1_30default_config_static_selectorELNS0_4arch9wavefront6targetE0EEEvS14_,comdat
.Lfunc_end536:
	.size	_ZN7rocprim17ROCPRIM_400000_NS6detail17trampoline_kernelINS0_14default_configENS1_22reduce_config_selectorIN6thrust23THRUST_200600_302600_NS5tupleIblNS6_9null_typeES8_S8_S8_S8_S8_S8_S8_EEEEZNS1_11reduce_implILb1ES3_NS6_12zip_iteratorINS7_INS6_11hip_rocprim26transform_input_iterator_tIbNSD_35transform_pair_of_input_iterators_tIbNS6_6detail15normal_iteratorINS6_10device_ptrIKxEEEESL_NS6_8equal_toIxEEEENSG_9not_fun_tINSD_8identityEEEEENSD_19counting_iterator_tIlEES8_S8_S8_S8_S8_S8_S8_S8_EEEEPS9_S9_NSD_9__find_if7functorIS9_EEEE10hipError_tPvRmT1_T2_T3_mT4_P12ihipStream_tbEUlT_E1_NS1_11comp_targetILNS1_3genE8ELNS1_11target_archE1030ELNS1_3gpuE2ELNS1_3repE0EEENS1_30default_config_static_selectorELNS0_4arch9wavefront6targetE0EEEvS14_, .Lfunc_end536-_ZN7rocprim17ROCPRIM_400000_NS6detail17trampoline_kernelINS0_14default_configENS1_22reduce_config_selectorIN6thrust23THRUST_200600_302600_NS5tupleIblNS6_9null_typeES8_S8_S8_S8_S8_S8_S8_EEEEZNS1_11reduce_implILb1ES3_NS6_12zip_iteratorINS7_INS6_11hip_rocprim26transform_input_iterator_tIbNSD_35transform_pair_of_input_iterators_tIbNS6_6detail15normal_iteratorINS6_10device_ptrIKxEEEESL_NS6_8equal_toIxEEEENSG_9not_fun_tINSD_8identityEEEEENSD_19counting_iterator_tIlEES8_S8_S8_S8_S8_S8_S8_S8_EEEEPS9_S9_NSD_9__find_if7functorIS9_EEEE10hipError_tPvRmT1_T2_T3_mT4_P12ihipStream_tbEUlT_E1_NS1_11comp_targetILNS1_3genE8ELNS1_11target_archE1030ELNS1_3gpuE2ELNS1_3repE0EEENS1_30default_config_static_selectorELNS0_4arch9wavefront6targetE0EEEvS14_
                                        ; -- End function
	.section	.AMDGPU.csdata,"",@progbits
; Kernel info:
; codeLenInByte = 0
; NumSgprs: 0
; NumVgprs: 0
; ScratchSize: 0
; MemoryBound: 0
; FloatMode: 240
; IeeeMode: 1
; LDSByteSize: 0 bytes/workgroup (compile time only)
; SGPRBlocks: 0
; VGPRBlocks: 0
; NumSGPRsForWavesPerEU: 1
; NumVGPRsForWavesPerEU: 1
; Occupancy: 16
; WaveLimiterHint : 0
; COMPUTE_PGM_RSRC2:SCRATCH_EN: 0
; COMPUTE_PGM_RSRC2:USER_SGPR: 15
; COMPUTE_PGM_RSRC2:TRAP_HANDLER: 0
; COMPUTE_PGM_RSRC2:TGID_X_EN: 1
; COMPUTE_PGM_RSRC2:TGID_Y_EN: 0
; COMPUTE_PGM_RSRC2:TGID_Z_EN: 0
; COMPUTE_PGM_RSRC2:TIDIG_COMP_CNT: 0
	.section	.text._ZN7rocprim17ROCPRIM_400000_NS6detail17trampoline_kernelINS0_14default_configENS1_22reduce_config_selectorIN6thrust23THRUST_200600_302600_NS5tupleIblNS6_9null_typeES8_S8_S8_S8_S8_S8_S8_EEEEZNS1_11reduce_implILb1ES3_NS6_12zip_iteratorINS7_INS6_11hip_rocprim26transform_input_iterator_tIbNSD_35transform_pair_of_input_iterators_tIbNS6_6detail15normal_iteratorINS6_10device_ptrIKiEEEESL_NS6_8equal_toIiEEEENSG_9not_fun_tINSD_8identityEEEEENSD_19counting_iterator_tIlEES8_S8_S8_S8_S8_S8_S8_S8_EEEEPS9_S9_NSD_9__find_if7functorIS9_EEEE10hipError_tPvRmT1_T2_T3_mT4_P12ihipStream_tbEUlT_E0_NS1_11comp_targetILNS1_3genE0ELNS1_11target_archE4294967295ELNS1_3gpuE0ELNS1_3repE0EEENS1_30default_config_static_selectorELNS0_4arch9wavefront6targetE0EEEvS14_,"axG",@progbits,_ZN7rocprim17ROCPRIM_400000_NS6detail17trampoline_kernelINS0_14default_configENS1_22reduce_config_selectorIN6thrust23THRUST_200600_302600_NS5tupleIblNS6_9null_typeES8_S8_S8_S8_S8_S8_S8_EEEEZNS1_11reduce_implILb1ES3_NS6_12zip_iteratorINS7_INS6_11hip_rocprim26transform_input_iterator_tIbNSD_35transform_pair_of_input_iterators_tIbNS6_6detail15normal_iteratorINS6_10device_ptrIKiEEEESL_NS6_8equal_toIiEEEENSG_9not_fun_tINSD_8identityEEEEENSD_19counting_iterator_tIlEES8_S8_S8_S8_S8_S8_S8_S8_EEEEPS9_S9_NSD_9__find_if7functorIS9_EEEE10hipError_tPvRmT1_T2_T3_mT4_P12ihipStream_tbEUlT_E0_NS1_11comp_targetILNS1_3genE0ELNS1_11target_archE4294967295ELNS1_3gpuE0ELNS1_3repE0EEENS1_30default_config_static_selectorELNS0_4arch9wavefront6targetE0EEEvS14_,comdat
	.protected	_ZN7rocprim17ROCPRIM_400000_NS6detail17trampoline_kernelINS0_14default_configENS1_22reduce_config_selectorIN6thrust23THRUST_200600_302600_NS5tupleIblNS6_9null_typeES8_S8_S8_S8_S8_S8_S8_EEEEZNS1_11reduce_implILb1ES3_NS6_12zip_iteratorINS7_INS6_11hip_rocprim26transform_input_iterator_tIbNSD_35transform_pair_of_input_iterators_tIbNS6_6detail15normal_iteratorINS6_10device_ptrIKiEEEESL_NS6_8equal_toIiEEEENSG_9not_fun_tINSD_8identityEEEEENSD_19counting_iterator_tIlEES8_S8_S8_S8_S8_S8_S8_S8_EEEEPS9_S9_NSD_9__find_if7functorIS9_EEEE10hipError_tPvRmT1_T2_T3_mT4_P12ihipStream_tbEUlT_E0_NS1_11comp_targetILNS1_3genE0ELNS1_11target_archE4294967295ELNS1_3gpuE0ELNS1_3repE0EEENS1_30default_config_static_selectorELNS0_4arch9wavefront6targetE0EEEvS14_ ; -- Begin function _ZN7rocprim17ROCPRIM_400000_NS6detail17trampoline_kernelINS0_14default_configENS1_22reduce_config_selectorIN6thrust23THRUST_200600_302600_NS5tupleIblNS6_9null_typeES8_S8_S8_S8_S8_S8_S8_EEEEZNS1_11reduce_implILb1ES3_NS6_12zip_iteratorINS7_INS6_11hip_rocprim26transform_input_iterator_tIbNSD_35transform_pair_of_input_iterators_tIbNS6_6detail15normal_iteratorINS6_10device_ptrIKiEEEESL_NS6_8equal_toIiEEEENSG_9not_fun_tINSD_8identityEEEEENSD_19counting_iterator_tIlEES8_S8_S8_S8_S8_S8_S8_S8_EEEEPS9_S9_NSD_9__find_if7functorIS9_EEEE10hipError_tPvRmT1_T2_T3_mT4_P12ihipStream_tbEUlT_E0_NS1_11comp_targetILNS1_3genE0ELNS1_11target_archE4294967295ELNS1_3gpuE0ELNS1_3repE0EEENS1_30default_config_static_selectorELNS0_4arch9wavefront6targetE0EEEvS14_
	.globl	_ZN7rocprim17ROCPRIM_400000_NS6detail17trampoline_kernelINS0_14default_configENS1_22reduce_config_selectorIN6thrust23THRUST_200600_302600_NS5tupleIblNS6_9null_typeES8_S8_S8_S8_S8_S8_S8_EEEEZNS1_11reduce_implILb1ES3_NS6_12zip_iteratorINS7_INS6_11hip_rocprim26transform_input_iterator_tIbNSD_35transform_pair_of_input_iterators_tIbNS6_6detail15normal_iteratorINS6_10device_ptrIKiEEEESL_NS6_8equal_toIiEEEENSG_9not_fun_tINSD_8identityEEEEENSD_19counting_iterator_tIlEES8_S8_S8_S8_S8_S8_S8_S8_EEEEPS9_S9_NSD_9__find_if7functorIS9_EEEE10hipError_tPvRmT1_T2_T3_mT4_P12ihipStream_tbEUlT_E0_NS1_11comp_targetILNS1_3genE0ELNS1_11target_archE4294967295ELNS1_3gpuE0ELNS1_3repE0EEENS1_30default_config_static_selectorELNS0_4arch9wavefront6targetE0EEEvS14_
	.p2align	8
	.type	_ZN7rocprim17ROCPRIM_400000_NS6detail17trampoline_kernelINS0_14default_configENS1_22reduce_config_selectorIN6thrust23THRUST_200600_302600_NS5tupleIblNS6_9null_typeES8_S8_S8_S8_S8_S8_S8_EEEEZNS1_11reduce_implILb1ES3_NS6_12zip_iteratorINS7_INS6_11hip_rocprim26transform_input_iterator_tIbNSD_35transform_pair_of_input_iterators_tIbNS6_6detail15normal_iteratorINS6_10device_ptrIKiEEEESL_NS6_8equal_toIiEEEENSG_9not_fun_tINSD_8identityEEEEENSD_19counting_iterator_tIlEES8_S8_S8_S8_S8_S8_S8_S8_EEEEPS9_S9_NSD_9__find_if7functorIS9_EEEE10hipError_tPvRmT1_T2_T3_mT4_P12ihipStream_tbEUlT_E0_NS1_11comp_targetILNS1_3genE0ELNS1_11target_archE4294967295ELNS1_3gpuE0ELNS1_3repE0EEENS1_30default_config_static_selectorELNS0_4arch9wavefront6targetE0EEEvS14_,@function
_ZN7rocprim17ROCPRIM_400000_NS6detail17trampoline_kernelINS0_14default_configENS1_22reduce_config_selectorIN6thrust23THRUST_200600_302600_NS5tupleIblNS6_9null_typeES8_S8_S8_S8_S8_S8_S8_EEEEZNS1_11reduce_implILb1ES3_NS6_12zip_iteratorINS7_INS6_11hip_rocprim26transform_input_iterator_tIbNSD_35transform_pair_of_input_iterators_tIbNS6_6detail15normal_iteratorINS6_10device_ptrIKiEEEESL_NS6_8equal_toIiEEEENSG_9not_fun_tINSD_8identityEEEEENSD_19counting_iterator_tIlEES8_S8_S8_S8_S8_S8_S8_S8_EEEEPS9_S9_NSD_9__find_if7functorIS9_EEEE10hipError_tPvRmT1_T2_T3_mT4_P12ihipStream_tbEUlT_E0_NS1_11comp_targetILNS1_3genE0ELNS1_11target_archE4294967295ELNS1_3gpuE0ELNS1_3repE0EEENS1_30default_config_static_selectorELNS0_4arch9wavefront6targetE0EEEvS14_: ; @_ZN7rocprim17ROCPRIM_400000_NS6detail17trampoline_kernelINS0_14default_configENS1_22reduce_config_selectorIN6thrust23THRUST_200600_302600_NS5tupleIblNS6_9null_typeES8_S8_S8_S8_S8_S8_S8_EEEEZNS1_11reduce_implILb1ES3_NS6_12zip_iteratorINS7_INS6_11hip_rocprim26transform_input_iterator_tIbNSD_35transform_pair_of_input_iterators_tIbNS6_6detail15normal_iteratorINS6_10device_ptrIKiEEEESL_NS6_8equal_toIiEEEENSG_9not_fun_tINSD_8identityEEEEENSD_19counting_iterator_tIlEES8_S8_S8_S8_S8_S8_S8_S8_EEEEPS9_S9_NSD_9__find_if7functorIS9_EEEE10hipError_tPvRmT1_T2_T3_mT4_P12ihipStream_tbEUlT_E0_NS1_11comp_targetILNS1_3genE0ELNS1_11target_archE4294967295ELNS1_3gpuE0ELNS1_3repE0EEENS1_30default_config_static_selectorELNS0_4arch9wavefront6targetE0EEEvS14_
; %bb.0:
	.section	.rodata,"a",@progbits
	.p2align	6, 0x0
	.amdhsa_kernel _ZN7rocprim17ROCPRIM_400000_NS6detail17trampoline_kernelINS0_14default_configENS1_22reduce_config_selectorIN6thrust23THRUST_200600_302600_NS5tupleIblNS6_9null_typeES8_S8_S8_S8_S8_S8_S8_EEEEZNS1_11reduce_implILb1ES3_NS6_12zip_iteratorINS7_INS6_11hip_rocprim26transform_input_iterator_tIbNSD_35transform_pair_of_input_iterators_tIbNS6_6detail15normal_iteratorINS6_10device_ptrIKiEEEESL_NS6_8equal_toIiEEEENSG_9not_fun_tINSD_8identityEEEEENSD_19counting_iterator_tIlEES8_S8_S8_S8_S8_S8_S8_S8_EEEEPS9_S9_NSD_9__find_if7functorIS9_EEEE10hipError_tPvRmT1_T2_T3_mT4_P12ihipStream_tbEUlT_E0_NS1_11comp_targetILNS1_3genE0ELNS1_11target_archE4294967295ELNS1_3gpuE0ELNS1_3repE0EEENS1_30default_config_static_selectorELNS0_4arch9wavefront6targetE0EEEvS14_
		.amdhsa_group_segment_fixed_size 0
		.amdhsa_private_segment_fixed_size 0
		.amdhsa_kernarg_size 104
		.amdhsa_user_sgpr_count 15
		.amdhsa_user_sgpr_dispatch_ptr 0
		.amdhsa_user_sgpr_queue_ptr 0
		.amdhsa_user_sgpr_kernarg_segment_ptr 1
		.amdhsa_user_sgpr_dispatch_id 0
		.amdhsa_user_sgpr_private_segment_size 0
		.amdhsa_wavefront_size32 1
		.amdhsa_uses_dynamic_stack 0
		.amdhsa_enable_private_segment 0
		.amdhsa_system_sgpr_workgroup_id_x 1
		.amdhsa_system_sgpr_workgroup_id_y 0
		.amdhsa_system_sgpr_workgroup_id_z 0
		.amdhsa_system_sgpr_workgroup_info 0
		.amdhsa_system_vgpr_workitem_id 0
		.amdhsa_next_free_vgpr 1
		.amdhsa_next_free_sgpr 1
		.amdhsa_reserve_vcc 0
		.amdhsa_float_round_mode_32 0
		.amdhsa_float_round_mode_16_64 0
		.amdhsa_float_denorm_mode_32 3
		.amdhsa_float_denorm_mode_16_64 3
		.amdhsa_dx10_clamp 1
		.amdhsa_ieee_mode 1
		.amdhsa_fp16_overflow 0
		.amdhsa_workgroup_processor_mode 1
		.amdhsa_memory_ordered 1
		.amdhsa_forward_progress 0
		.amdhsa_shared_vgpr_count 0
		.amdhsa_exception_fp_ieee_invalid_op 0
		.amdhsa_exception_fp_denorm_src 0
		.amdhsa_exception_fp_ieee_div_zero 0
		.amdhsa_exception_fp_ieee_overflow 0
		.amdhsa_exception_fp_ieee_underflow 0
		.amdhsa_exception_fp_ieee_inexact 0
		.amdhsa_exception_int_div_zero 0
	.end_amdhsa_kernel
	.section	.text._ZN7rocprim17ROCPRIM_400000_NS6detail17trampoline_kernelINS0_14default_configENS1_22reduce_config_selectorIN6thrust23THRUST_200600_302600_NS5tupleIblNS6_9null_typeES8_S8_S8_S8_S8_S8_S8_EEEEZNS1_11reduce_implILb1ES3_NS6_12zip_iteratorINS7_INS6_11hip_rocprim26transform_input_iterator_tIbNSD_35transform_pair_of_input_iterators_tIbNS6_6detail15normal_iteratorINS6_10device_ptrIKiEEEESL_NS6_8equal_toIiEEEENSG_9not_fun_tINSD_8identityEEEEENSD_19counting_iterator_tIlEES8_S8_S8_S8_S8_S8_S8_S8_EEEEPS9_S9_NSD_9__find_if7functorIS9_EEEE10hipError_tPvRmT1_T2_T3_mT4_P12ihipStream_tbEUlT_E0_NS1_11comp_targetILNS1_3genE0ELNS1_11target_archE4294967295ELNS1_3gpuE0ELNS1_3repE0EEENS1_30default_config_static_selectorELNS0_4arch9wavefront6targetE0EEEvS14_,"axG",@progbits,_ZN7rocprim17ROCPRIM_400000_NS6detail17trampoline_kernelINS0_14default_configENS1_22reduce_config_selectorIN6thrust23THRUST_200600_302600_NS5tupleIblNS6_9null_typeES8_S8_S8_S8_S8_S8_S8_EEEEZNS1_11reduce_implILb1ES3_NS6_12zip_iteratorINS7_INS6_11hip_rocprim26transform_input_iterator_tIbNSD_35transform_pair_of_input_iterators_tIbNS6_6detail15normal_iteratorINS6_10device_ptrIKiEEEESL_NS6_8equal_toIiEEEENSG_9not_fun_tINSD_8identityEEEEENSD_19counting_iterator_tIlEES8_S8_S8_S8_S8_S8_S8_S8_EEEEPS9_S9_NSD_9__find_if7functorIS9_EEEE10hipError_tPvRmT1_T2_T3_mT4_P12ihipStream_tbEUlT_E0_NS1_11comp_targetILNS1_3genE0ELNS1_11target_archE4294967295ELNS1_3gpuE0ELNS1_3repE0EEENS1_30default_config_static_selectorELNS0_4arch9wavefront6targetE0EEEvS14_,comdat
.Lfunc_end537:
	.size	_ZN7rocprim17ROCPRIM_400000_NS6detail17trampoline_kernelINS0_14default_configENS1_22reduce_config_selectorIN6thrust23THRUST_200600_302600_NS5tupleIblNS6_9null_typeES8_S8_S8_S8_S8_S8_S8_EEEEZNS1_11reduce_implILb1ES3_NS6_12zip_iteratorINS7_INS6_11hip_rocprim26transform_input_iterator_tIbNSD_35transform_pair_of_input_iterators_tIbNS6_6detail15normal_iteratorINS6_10device_ptrIKiEEEESL_NS6_8equal_toIiEEEENSG_9not_fun_tINSD_8identityEEEEENSD_19counting_iterator_tIlEES8_S8_S8_S8_S8_S8_S8_S8_EEEEPS9_S9_NSD_9__find_if7functorIS9_EEEE10hipError_tPvRmT1_T2_T3_mT4_P12ihipStream_tbEUlT_E0_NS1_11comp_targetILNS1_3genE0ELNS1_11target_archE4294967295ELNS1_3gpuE0ELNS1_3repE0EEENS1_30default_config_static_selectorELNS0_4arch9wavefront6targetE0EEEvS14_, .Lfunc_end537-_ZN7rocprim17ROCPRIM_400000_NS6detail17trampoline_kernelINS0_14default_configENS1_22reduce_config_selectorIN6thrust23THRUST_200600_302600_NS5tupleIblNS6_9null_typeES8_S8_S8_S8_S8_S8_S8_EEEEZNS1_11reduce_implILb1ES3_NS6_12zip_iteratorINS7_INS6_11hip_rocprim26transform_input_iterator_tIbNSD_35transform_pair_of_input_iterators_tIbNS6_6detail15normal_iteratorINS6_10device_ptrIKiEEEESL_NS6_8equal_toIiEEEENSG_9not_fun_tINSD_8identityEEEEENSD_19counting_iterator_tIlEES8_S8_S8_S8_S8_S8_S8_S8_EEEEPS9_S9_NSD_9__find_if7functorIS9_EEEE10hipError_tPvRmT1_T2_T3_mT4_P12ihipStream_tbEUlT_E0_NS1_11comp_targetILNS1_3genE0ELNS1_11target_archE4294967295ELNS1_3gpuE0ELNS1_3repE0EEENS1_30default_config_static_selectorELNS0_4arch9wavefront6targetE0EEEvS14_
                                        ; -- End function
	.section	.AMDGPU.csdata,"",@progbits
; Kernel info:
; codeLenInByte = 0
; NumSgprs: 0
; NumVgprs: 0
; ScratchSize: 0
; MemoryBound: 0
; FloatMode: 240
; IeeeMode: 1
; LDSByteSize: 0 bytes/workgroup (compile time only)
; SGPRBlocks: 0
; VGPRBlocks: 0
; NumSGPRsForWavesPerEU: 1
; NumVGPRsForWavesPerEU: 1
; Occupancy: 16
; WaveLimiterHint : 0
; COMPUTE_PGM_RSRC2:SCRATCH_EN: 0
; COMPUTE_PGM_RSRC2:USER_SGPR: 15
; COMPUTE_PGM_RSRC2:TRAP_HANDLER: 0
; COMPUTE_PGM_RSRC2:TGID_X_EN: 1
; COMPUTE_PGM_RSRC2:TGID_Y_EN: 0
; COMPUTE_PGM_RSRC2:TGID_Z_EN: 0
; COMPUTE_PGM_RSRC2:TIDIG_COMP_CNT: 0
	.section	.text._ZN7rocprim17ROCPRIM_400000_NS6detail17trampoline_kernelINS0_14default_configENS1_22reduce_config_selectorIN6thrust23THRUST_200600_302600_NS5tupleIblNS6_9null_typeES8_S8_S8_S8_S8_S8_S8_EEEEZNS1_11reduce_implILb1ES3_NS6_12zip_iteratorINS7_INS6_11hip_rocprim26transform_input_iterator_tIbNSD_35transform_pair_of_input_iterators_tIbNS6_6detail15normal_iteratorINS6_10device_ptrIKiEEEESL_NS6_8equal_toIiEEEENSG_9not_fun_tINSD_8identityEEEEENSD_19counting_iterator_tIlEES8_S8_S8_S8_S8_S8_S8_S8_EEEEPS9_S9_NSD_9__find_if7functorIS9_EEEE10hipError_tPvRmT1_T2_T3_mT4_P12ihipStream_tbEUlT_E0_NS1_11comp_targetILNS1_3genE5ELNS1_11target_archE942ELNS1_3gpuE9ELNS1_3repE0EEENS1_30default_config_static_selectorELNS0_4arch9wavefront6targetE0EEEvS14_,"axG",@progbits,_ZN7rocprim17ROCPRIM_400000_NS6detail17trampoline_kernelINS0_14default_configENS1_22reduce_config_selectorIN6thrust23THRUST_200600_302600_NS5tupleIblNS6_9null_typeES8_S8_S8_S8_S8_S8_S8_EEEEZNS1_11reduce_implILb1ES3_NS6_12zip_iteratorINS7_INS6_11hip_rocprim26transform_input_iterator_tIbNSD_35transform_pair_of_input_iterators_tIbNS6_6detail15normal_iteratorINS6_10device_ptrIKiEEEESL_NS6_8equal_toIiEEEENSG_9not_fun_tINSD_8identityEEEEENSD_19counting_iterator_tIlEES8_S8_S8_S8_S8_S8_S8_S8_EEEEPS9_S9_NSD_9__find_if7functorIS9_EEEE10hipError_tPvRmT1_T2_T3_mT4_P12ihipStream_tbEUlT_E0_NS1_11comp_targetILNS1_3genE5ELNS1_11target_archE942ELNS1_3gpuE9ELNS1_3repE0EEENS1_30default_config_static_selectorELNS0_4arch9wavefront6targetE0EEEvS14_,comdat
	.protected	_ZN7rocprim17ROCPRIM_400000_NS6detail17trampoline_kernelINS0_14default_configENS1_22reduce_config_selectorIN6thrust23THRUST_200600_302600_NS5tupleIblNS6_9null_typeES8_S8_S8_S8_S8_S8_S8_EEEEZNS1_11reduce_implILb1ES3_NS6_12zip_iteratorINS7_INS6_11hip_rocprim26transform_input_iterator_tIbNSD_35transform_pair_of_input_iterators_tIbNS6_6detail15normal_iteratorINS6_10device_ptrIKiEEEESL_NS6_8equal_toIiEEEENSG_9not_fun_tINSD_8identityEEEEENSD_19counting_iterator_tIlEES8_S8_S8_S8_S8_S8_S8_S8_EEEEPS9_S9_NSD_9__find_if7functorIS9_EEEE10hipError_tPvRmT1_T2_T3_mT4_P12ihipStream_tbEUlT_E0_NS1_11comp_targetILNS1_3genE5ELNS1_11target_archE942ELNS1_3gpuE9ELNS1_3repE0EEENS1_30default_config_static_selectorELNS0_4arch9wavefront6targetE0EEEvS14_ ; -- Begin function _ZN7rocprim17ROCPRIM_400000_NS6detail17trampoline_kernelINS0_14default_configENS1_22reduce_config_selectorIN6thrust23THRUST_200600_302600_NS5tupleIblNS6_9null_typeES8_S8_S8_S8_S8_S8_S8_EEEEZNS1_11reduce_implILb1ES3_NS6_12zip_iteratorINS7_INS6_11hip_rocprim26transform_input_iterator_tIbNSD_35transform_pair_of_input_iterators_tIbNS6_6detail15normal_iteratorINS6_10device_ptrIKiEEEESL_NS6_8equal_toIiEEEENSG_9not_fun_tINSD_8identityEEEEENSD_19counting_iterator_tIlEES8_S8_S8_S8_S8_S8_S8_S8_EEEEPS9_S9_NSD_9__find_if7functorIS9_EEEE10hipError_tPvRmT1_T2_T3_mT4_P12ihipStream_tbEUlT_E0_NS1_11comp_targetILNS1_3genE5ELNS1_11target_archE942ELNS1_3gpuE9ELNS1_3repE0EEENS1_30default_config_static_selectorELNS0_4arch9wavefront6targetE0EEEvS14_
	.globl	_ZN7rocprim17ROCPRIM_400000_NS6detail17trampoline_kernelINS0_14default_configENS1_22reduce_config_selectorIN6thrust23THRUST_200600_302600_NS5tupleIblNS6_9null_typeES8_S8_S8_S8_S8_S8_S8_EEEEZNS1_11reduce_implILb1ES3_NS6_12zip_iteratorINS7_INS6_11hip_rocprim26transform_input_iterator_tIbNSD_35transform_pair_of_input_iterators_tIbNS6_6detail15normal_iteratorINS6_10device_ptrIKiEEEESL_NS6_8equal_toIiEEEENSG_9not_fun_tINSD_8identityEEEEENSD_19counting_iterator_tIlEES8_S8_S8_S8_S8_S8_S8_S8_EEEEPS9_S9_NSD_9__find_if7functorIS9_EEEE10hipError_tPvRmT1_T2_T3_mT4_P12ihipStream_tbEUlT_E0_NS1_11comp_targetILNS1_3genE5ELNS1_11target_archE942ELNS1_3gpuE9ELNS1_3repE0EEENS1_30default_config_static_selectorELNS0_4arch9wavefront6targetE0EEEvS14_
	.p2align	8
	.type	_ZN7rocprim17ROCPRIM_400000_NS6detail17trampoline_kernelINS0_14default_configENS1_22reduce_config_selectorIN6thrust23THRUST_200600_302600_NS5tupleIblNS6_9null_typeES8_S8_S8_S8_S8_S8_S8_EEEEZNS1_11reduce_implILb1ES3_NS6_12zip_iteratorINS7_INS6_11hip_rocprim26transform_input_iterator_tIbNSD_35transform_pair_of_input_iterators_tIbNS6_6detail15normal_iteratorINS6_10device_ptrIKiEEEESL_NS6_8equal_toIiEEEENSG_9not_fun_tINSD_8identityEEEEENSD_19counting_iterator_tIlEES8_S8_S8_S8_S8_S8_S8_S8_EEEEPS9_S9_NSD_9__find_if7functorIS9_EEEE10hipError_tPvRmT1_T2_T3_mT4_P12ihipStream_tbEUlT_E0_NS1_11comp_targetILNS1_3genE5ELNS1_11target_archE942ELNS1_3gpuE9ELNS1_3repE0EEENS1_30default_config_static_selectorELNS0_4arch9wavefront6targetE0EEEvS14_,@function
_ZN7rocprim17ROCPRIM_400000_NS6detail17trampoline_kernelINS0_14default_configENS1_22reduce_config_selectorIN6thrust23THRUST_200600_302600_NS5tupleIblNS6_9null_typeES8_S8_S8_S8_S8_S8_S8_EEEEZNS1_11reduce_implILb1ES3_NS6_12zip_iteratorINS7_INS6_11hip_rocprim26transform_input_iterator_tIbNSD_35transform_pair_of_input_iterators_tIbNS6_6detail15normal_iteratorINS6_10device_ptrIKiEEEESL_NS6_8equal_toIiEEEENSG_9not_fun_tINSD_8identityEEEEENSD_19counting_iterator_tIlEES8_S8_S8_S8_S8_S8_S8_S8_EEEEPS9_S9_NSD_9__find_if7functorIS9_EEEE10hipError_tPvRmT1_T2_T3_mT4_P12ihipStream_tbEUlT_E0_NS1_11comp_targetILNS1_3genE5ELNS1_11target_archE942ELNS1_3gpuE9ELNS1_3repE0EEENS1_30default_config_static_selectorELNS0_4arch9wavefront6targetE0EEEvS14_: ; @_ZN7rocprim17ROCPRIM_400000_NS6detail17trampoline_kernelINS0_14default_configENS1_22reduce_config_selectorIN6thrust23THRUST_200600_302600_NS5tupleIblNS6_9null_typeES8_S8_S8_S8_S8_S8_S8_EEEEZNS1_11reduce_implILb1ES3_NS6_12zip_iteratorINS7_INS6_11hip_rocprim26transform_input_iterator_tIbNSD_35transform_pair_of_input_iterators_tIbNS6_6detail15normal_iteratorINS6_10device_ptrIKiEEEESL_NS6_8equal_toIiEEEENSG_9not_fun_tINSD_8identityEEEEENSD_19counting_iterator_tIlEES8_S8_S8_S8_S8_S8_S8_S8_EEEEPS9_S9_NSD_9__find_if7functorIS9_EEEE10hipError_tPvRmT1_T2_T3_mT4_P12ihipStream_tbEUlT_E0_NS1_11comp_targetILNS1_3genE5ELNS1_11target_archE942ELNS1_3gpuE9ELNS1_3repE0EEENS1_30default_config_static_selectorELNS0_4arch9wavefront6targetE0EEEvS14_
; %bb.0:
	.section	.rodata,"a",@progbits
	.p2align	6, 0x0
	.amdhsa_kernel _ZN7rocprim17ROCPRIM_400000_NS6detail17trampoline_kernelINS0_14default_configENS1_22reduce_config_selectorIN6thrust23THRUST_200600_302600_NS5tupleIblNS6_9null_typeES8_S8_S8_S8_S8_S8_S8_EEEEZNS1_11reduce_implILb1ES3_NS6_12zip_iteratorINS7_INS6_11hip_rocprim26transform_input_iterator_tIbNSD_35transform_pair_of_input_iterators_tIbNS6_6detail15normal_iteratorINS6_10device_ptrIKiEEEESL_NS6_8equal_toIiEEEENSG_9not_fun_tINSD_8identityEEEEENSD_19counting_iterator_tIlEES8_S8_S8_S8_S8_S8_S8_S8_EEEEPS9_S9_NSD_9__find_if7functorIS9_EEEE10hipError_tPvRmT1_T2_T3_mT4_P12ihipStream_tbEUlT_E0_NS1_11comp_targetILNS1_3genE5ELNS1_11target_archE942ELNS1_3gpuE9ELNS1_3repE0EEENS1_30default_config_static_selectorELNS0_4arch9wavefront6targetE0EEEvS14_
		.amdhsa_group_segment_fixed_size 0
		.amdhsa_private_segment_fixed_size 0
		.amdhsa_kernarg_size 104
		.amdhsa_user_sgpr_count 15
		.amdhsa_user_sgpr_dispatch_ptr 0
		.amdhsa_user_sgpr_queue_ptr 0
		.amdhsa_user_sgpr_kernarg_segment_ptr 1
		.amdhsa_user_sgpr_dispatch_id 0
		.amdhsa_user_sgpr_private_segment_size 0
		.amdhsa_wavefront_size32 1
		.amdhsa_uses_dynamic_stack 0
		.amdhsa_enable_private_segment 0
		.amdhsa_system_sgpr_workgroup_id_x 1
		.amdhsa_system_sgpr_workgroup_id_y 0
		.amdhsa_system_sgpr_workgroup_id_z 0
		.amdhsa_system_sgpr_workgroup_info 0
		.amdhsa_system_vgpr_workitem_id 0
		.amdhsa_next_free_vgpr 1
		.amdhsa_next_free_sgpr 1
		.amdhsa_reserve_vcc 0
		.amdhsa_float_round_mode_32 0
		.amdhsa_float_round_mode_16_64 0
		.amdhsa_float_denorm_mode_32 3
		.amdhsa_float_denorm_mode_16_64 3
		.amdhsa_dx10_clamp 1
		.amdhsa_ieee_mode 1
		.amdhsa_fp16_overflow 0
		.amdhsa_workgroup_processor_mode 1
		.amdhsa_memory_ordered 1
		.amdhsa_forward_progress 0
		.amdhsa_shared_vgpr_count 0
		.amdhsa_exception_fp_ieee_invalid_op 0
		.amdhsa_exception_fp_denorm_src 0
		.amdhsa_exception_fp_ieee_div_zero 0
		.amdhsa_exception_fp_ieee_overflow 0
		.amdhsa_exception_fp_ieee_underflow 0
		.amdhsa_exception_fp_ieee_inexact 0
		.amdhsa_exception_int_div_zero 0
	.end_amdhsa_kernel
	.section	.text._ZN7rocprim17ROCPRIM_400000_NS6detail17trampoline_kernelINS0_14default_configENS1_22reduce_config_selectorIN6thrust23THRUST_200600_302600_NS5tupleIblNS6_9null_typeES8_S8_S8_S8_S8_S8_S8_EEEEZNS1_11reduce_implILb1ES3_NS6_12zip_iteratorINS7_INS6_11hip_rocprim26transform_input_iterator_tIbNSD_35transform_pair_of_input_iterators_tIbNS6_6detail15normal_iteratorINS6_10device_ptrIKiEEEESL_NS6_8equal_toIiEEEENSG_9not_fun_tINSD_8identityEEEEENSD_19counting_iterator_tIlEES8_S8_S8_S8_S8_S8_S8_S8_EEEEPS9_S9_NSD_9__find_if7functorIS9_EEEE10hipError_tPvRmT1_T2_T3_mT4_P12ihipStream_tbEUlT_E0_NS1_11comp_targetILNS1_3genE5ELNS1_11target_archE942ELNS1_3gpuE9ELNS1_3repE0EEENS1_30default_config_static_selectorELNS0_4arch9wavefront6targetE0EEEvS14_,"axG",@progbits,_ZN7rocprim17ROCPRIM_400000_NS6detail17trampoline_kernelINS0_14default_configENS1_22reduce_config_selectorIN6thrust23THRUST_200600_302600_NS5tupleIblNS6_9null_typeES8_S8_S8_S8_S8_S8_S8_EEEEZNS1_11reduce_implILb1ES3_NS6_12zip_iteratorINS7_INS6_11hip_rocprim26transform_input_iterator_tIbNSD_35transform_pair_of_input_iterators_tIbNS6_6detail15normal_iteratorINS6_10device_ptrIKiEEEESL_NS6_8equal_toIiEEEENSG_9not_fun_tINSD_8identityEEEEENSD_19counting_iterator_tIlEES8_S8_S8_S8_S8_S8_S8_S8_EEEEPS9_S9_NSD_9__find_if7functorIS9_EEEE10hipError_tPvRmT1_T2_T3_mT4_P12ihipStream_tbEUlT_E0_NS1_11comp_targetILNS1_3genE5ELNS1_11target_archE942ELNS1_3gpuE9ELNS1_3repE0EEENS1_30default_config_static_selectorELNS0_4arch9wavefront6targetE0EEEvS14_,comdat
.Lfunc_end538:
	.size	_ZN7rocprim17ROCPRIM_400000_NS6detail17trampoline_kernelINS0_14default_configENS1_22reduce_config_selectorIN6thrust23THRUST_200600_302600_NS5tupleIblNS6_9null_typeES8_S8_S8_S8_S8_S8_S8_EEEEZNS1_11reduce_implILb1ES3_NS6_12zip_iteratorINS7_INS6_11hip_rocprim26transform_input_iterator_tIbNSD_35transform_pair_of_input_iterators_tIbNS6_6detail15normal_iteratorINS6_10device_ptrIKiEEEESL_NS6_8equal_toIiEEEENSG_9not_fun_tINSD_8identityEEEEENSD_19counting_iterator_tIlEES8_S8_S8_S8_S8_S8_S8_S8_EEEEPS9_S9_NSD_9__find_if7functorIS9_EEEE10hipError_tPvRmT1_T2_T3_mT4_P12ihipStream_tbEUlT_E0_NS1_11comp_targetILNS1_3genE5ELNS1_11target_archE942ELNS1_3gpuE9ELNS1_3repE0EEENS1_30default_config_static_selectorELNS0_4arch9wavefront6targetE0EEEvS14_, .Lfunc_end538-_ZN7rocprim17ROCPRIM_400000_NS6detail17trampoline_kernelINS0_14default_configENS1_22reduce_config_selectorIN6thrust23THRUST_200600_302600_NS5tupleIblNS6_9null_typeES8_S8_S8_S8_S8_S8_S8_EEEEZNS1_11reduce_implILb1ES3_NS6_12zip_iteratorINS7_INS6_11hip_rocprim26transform_input_iterator_tIbNSD_35transform_pair_of_input_iterators_tIbNS6_6detail15normal_iteratorINS6_10device_ptrIKiEEEESL_NS6_8equal_toIiEEEENSG_9not_fun_tINSD_8identityEEEEENSD_19counting_iterator_tIlEES8_S8_S8_S8_S8_S8_S8_S8_EEEEPS9_S9_NSD_9__find_if7functorIS9_EEEE10hipError_tPvRmT1_T2_T3_mT4_P12ihipStream_tbEUlT_E0_NS1_11comp_targetILNS1_3genE5ELNS1_11target_archE942ELNS1_3gpuE9ELNS1_3repE0EEENS1_30default_config_static_selectorELNS0_4arch9wavefront6targetE0EEEvS14_
                                        ; -- End function
	.section	.AMDGPU.csdata,"",@progbits
; Kernel info:
; codeLenInByte = 0
; NumSgprs: 0
; NumVgprs: 0
; ScratchSize: 0
; MemoryBound: 0
; FloatMode: 240
; IeeeMode: 1
; LDSByteSize: 0 bytes/workgroup (compile time only)
; SGPRBlocks: 0
; VGPRBlocks: 0
; NumSGPRsForWavesPerEU: 1
; NumVGPRsForWavesPerEU: 1
; Occupancy: 16
; WaveLimiterHint : 0
; COMPUTE_PGM_RSRC2:SCRATCH_EN: 0
; COMPUTE_PGM_RSRC2:USER_SGPR: 15
; COMPUTE_PGM_RSRC2:TRAP_HANDLER: 0
; COMPUTE_PGM_RSRC2:TGID_X_EN: 1
; COMPUTE_PGM_RSRC2:TGID_Y_EN: 0
; COMPUTE_PGM_RSRC2:TGID_Z_EN: 0
; COMPUTE_PGM_RSRC2:TIDIG_COMP_CNT: 0
	.section	.text._ZN7rocprim17ROCPRIM_400000_NS6detail17trampoline_kernelINS0_14default_configENS1_22reduce_config_selectorIN6thrust23THRUST_200600_302600_NS5tupleIblNS6_9null_typeES8_S8_S8_S8_S8_S8_S8_EEEEZNS1_11reduce_implILb1ES3_NS6_12zip_iteratorINS7_INS6_11hip_rocprim26transform_input_iterator_tIbNSD_35transform_pair_of_input_iterators_tIbNS6_6detail15normal_iteratorINS6_10device_ptrIKiEEEESL_NS6_8equal_toIiEEEENSG_9not_fun_tINSD_8identityEEEEENSD_19counting_iterator_tIlEES8_S8_S8_S8_S8_S8_S8_S8_EEEEPS9_S9_NSD_9__find_if7functorIS9_EEEE10hipError_tPvRmT1_T2_T3_mT4_P12ihipStream_tbEUlT_E0_NS1_11comp_targetILNS1_3genE4ELNS1_11target_archE910ELNS1_3gpuE8ELNS1_3repE0EEENS1_30default_config_static_selectorELNS0_4arch9wavefront6targetE0EEEvS14_,"axG",@progbits,_ZN7rocprim17ROCPRIM_400000_NS6detail17trampoline_kernelINS0_14default_configENS1_22reduce_config_selectorIN6thrust23THRUST_200600_302600_NS5tupleIblNS6_9null_typeES8_S8_S8_S8_S8_S8_S8_EEEEZNS1_11reduce_implILb1ES3_NS6_12zip_iteratorINS7_INS6_11hip_rocprim26transform_input_iterator_tIbNSD_35transform_pair_of_input_iterators_tIbNS6_6detail15normal_iteratorINS6_10device_ptrIKiEEEESL_NS6_8equal_toIiEEEENSG_9not_fun_tINSD_8identityEEEEENSD_19counting_iterator_tIlEES8_S8_S8_S8_S8_S8_S8_S8_EEEEPS9_S9_NSD_9__find_if7functorIS9_EEEE10hipError_tPvRmT1_T2_T3_mT4_P12ihipStream_tbEUlT_E0_NS1_11comp_targetILNS1_3genE4ELNS1_11target_archE910ELNS1_3gpuE8ELNS1_3repE0EEENS1_30default_config_static_selectorELNS0_4arch9wavefront6targetE0EEEvS14_,comdat
	.protected	_ZN7rocprim17ROCPRIM_400000_NS6detail17trampoline_kernelINS0_14default_configENS1_22reduce_config_selectorIN6thrust23THRUST_200600_302600_NS5tupleIblNS6_9null_typeES8_S8_S8_S8_S8_S8_S8_EEEEZNS1_11reduce_implILb1ES3_NS6_12zip_iteratorINS7_INS6_11hip_rocprim26transform_input_iterator_tIbNSD_35transform_pair_of_input_iterators_tIbNS6_6detail15normal_iteratorINS6_10device_ptrIKiEEEESL_NS6_8equal_toIiEEEENSG_9not_fun_tINSD_8identityEEEEENSD_19counting_iterator_tIlEES8_S8_S8_S8_S8_S8_S8_S8_EEEEPS9_S9_NSD_9__find_if7functorIS9_EEEE10hipError_tPvRmT1_T2_T3_mT4_P12ihipStream_tbEUlT_E0_NS1_11comp_targetILNS1_3genE4ELNS1_11target_archE910ELNS1_3gpuE8ELNS1_3repE0EEENS1_30default_config_static_selectorELNS0_4arch9wavefront6targetE0EEEvS14_ ; -- Begin function _ZN7rocprim17ROCPRIM_400000_NS6detail17trampoline_kernelINS0_14default_configENS1_22reduce_config_selectorIN6thrust23THRUST_200600_302600_NS5tupleIblNS6_9null_typeES8_S8_S8_S8_S8_S8_S8_EEEEZNS1_11reduce_implILb1ES3_NS6_12zip_iteratorINS7_INS6_11hip_rocprim26transform_input_iterator_tIbNSD_35transform_pair_of_input_iterators_tIbNS6_6detail15normal_iteratorINS6_10device_ptrIKiEEEESL_NS6_8equal_toIiEEEENSG_9not_fun_tINSD_8identityEEEEENSD_19counting_iterator_tIlEES8_S8_S8_S8_S8_S8_S8_S8_EEEEPS9_S9_NSD_9__find_if7functorIS9_EEEE10hipError_tPvRmT1_T2_T3_mT4_P12ihipStream_tbEUlT_E0_NS1_11comp_targetILNS1_3genE4ELNS1_11target_archE910ELNS1_3gpuE8ELNS1_3repE0EEENS1_30default_config_static_selectorELNS0_4arch9wavefront6targetE0EEEvS14_
	.globl	_ZN7rocprim17ROCPRIM_400000_NS6detail17trampoline_kernelINS0_14default_configENS1_22reduce_config_selectorIN6thrust23THRUST_200600_302600_NS5tupleIblNS6_9null_typeES8_S8_S8_S8_S8_S8_S8_EEEEZNS1_11reduce_implILb1ES3_NS6_12zip_iteratorINS7_INS6_11hip_rocprim26transform_input_iterator_tIbNSD_35transform_pair_of_input_iterators_tIbNS6_6detail15normal_iteratorINS6_10device_ptrIKiEEEESL_NS6_8equal_toIiEEEENSG_9not_fun_tINSD_8identityEEEEENSD_19counting_iterator_tIlEES8_S8_S8_S8_S8_S8_S8_S8_EEEEPS9_S9_NSD_9__find_if7functorIS9_EEEE10hipError_tPvRmT1_T2_T3_mT4_P12ihipStream_tbEUlT_E0_NS1_11comp_targetILNS1_3genE4ELNS1_11target_archE910ELNS1_3gpuE8ELNS1_3repE0EEENS1_30default_config_static_selectorELNS0_4arch9wavefront6targetE0EEEvS14_
	.p2align	8
	.type	_ZN7rocprim17ROCPRIM_400000_NS6detail17trampoline_kernelINS0_14default_configENS1_22reduce_config_selectorIN6thrust23THRUST_200600_302600_NS5tupleIblNS6_9null_typeES8_S8_S8_S8_S8_S8_S8_EEEEZNS1_11reduce_implILb1ES3_NS6_12zip_iteratorINS7_INS6_11hip_rocprim26transform_input_iterator_tIbNSD_35transform_pair_of_input_iterators_tIbNS6_6detail15normal_iteratorINS6_10device_ptrIKiEEEESL_NS6_8equal_toIiEEEENSG_9not_fun_tINSD_8identityEEEEENSD_19counting_iterator_tIlEES8_S8_S8_S8_S8_S8_S8_S8_EEEEPS9_S9_NSD_9__find_if7functorIS9_EEEE10hipError_tPvRmT1_T2_T3_mT4_P12ihipStream_tbEUlT_E0_NS1_11comp_targetILNS1_3genE4ELNS1_11target_archE910ELNS1_3gpuE8ELNS1_3repE0EEENS1_30default_config_static_selectorELNS0_4arch9wavefront6targetE0EEEvS14_,@function
_ZN7rocprim17ROCPRIM_400000_NS6detail17trampoline_kernelINS0_14default_configENS1_22reduce_config_selectorIN6thrust23THRUST_200600_302600_NS5tupleIblNS6_9null_typeES8_S8_S8_S8_S8_S8_S8_EEEEZNS1_11reduce_implILb1ES3_NS6_12zip_iteratorINS7_INS6_11hip_rocprim26transform_input_iterator_tIbNSD_35transform_pair_of_input_iterators_tIbNS6_6detail15normal_iteratorINS6_10device_ptrIKiEEEESL_NS6_8equal_toIiEEEENSG_9not_fun_tINSD_8identityEEEEENSD_19counting_iterator_tIlEES8_S8_S8_S8_S8_S8_S8_S8_EEEEPS9_S9_NSD_9__find_if7functorIS9_EEEE10hipError_tPvRmT1_T2_T3_mT4_P12ihipStream_tbEUlT_E0_NS1_11comp_targetILNS1_3genE4ELNS1_11target_archE910ELNS1_3gpuE8ELNS1_3repE0EEENS1_30default_config_static_selectorELNS0_4arch9wavefront6targetE0EEEvS14_: ; @_ZN7rocprim17ROCPRIM_400000_NS6detail17trampoline_kernelINS0_14default_configENS1_22reduce_config_selectorIN6thrust23THRUST_200600_302600_NS5tupleIblNS6_9null_typeES8_S8_S8_S8_S8_S8_S8_EEEEZNS1_11reduce_implILb1ES3_NS6_12zip_iteratorINS7_INS6_11hip_rocprim26transform_input_iterator_tIbNSD_35transform_pair_of_input_iterators_tIbNS6_6detail15normal_iteratorINS6_10device_ptrIKiEEEESL_NS6_8equal_toIiEEEENSG_9not_fun_tINSD_8identityEEEEENSD_19counting_iterator_tIlEES8_S8_S8_S8_S8_S8_S8_S8_EEEEPS9_S9_NSD_9__find_if7functorIS9_EEEE10hipError_tPvRmT1_T2_T3_mT4_P12ihipStream_tbEUlT_E0_NS1_11comp_targetILNS1_3genE4ELNS1_11target_archE910ELNS1_3gpuE8ELNS1_3repE0EEENS1_30default_config_static_selectorELNS0_4arch9wavefront6targetE0EEEvS14_
; %bb.0:
	.section	.rodata,"a",@progbits
	.p2align	6, 0x0
	.amdhsa_kernel _ZN7rocprim17ROCPRIM_400000_NS6detail17trampoline_kernelINS0_14default_configENS1_22reduce_config_selectorIN6thrust23THRUST_200600_302600_NS5tupleIblNS6_9null_typeES8_S8_S8_S8_S8_S8_S8_EEEEZNS1_11reduce_implILb1ES3_NS6_12zip_iteratorINS7_INS6_11hip_rocprim26transform_input_iterator_tIbNSD_35transform_pair_of_input_iterators_tIbNS6_6detail15normal_iteratorINS6_10device_ptrIKiEEEESL_NS6_8equal_toIiEEEENSG_9not_fun_tINSD_8identityEEEEENSD_19counting_iterator_tIlEES8_S8_S8_S8_S8_S8_S8_S8_EEEEPS9_S9_NSD_9__find_if7functorIS9_EEEE10hipError_tPvRmT1_T2_T3_mT4_P12ihipStream_tbEUlT_E0_NS1_11comp_targetILNS1_3genE4ELNS1_11target_archE910ELNS1_3gpuE8ELNS1_3repE0EEENS1_30default_config_static_selectorELNS0_4arch9wavefront6targetE0EEEvS14_
		.amdhsa_group_segment_fixed_size 0
		.amdhsa_private_segment_fixed_size 0
		.amdhsa_kernarg_size 104
		.amdhsa_user_sgpr_count 15
		.amdhsa_user_sgpr_dispatch_ptr 0
		.amdhsa_user_sgpr_queue_ptr 0
		.amdhsa_user_sgpr_kernarg_segment_ptr 1
		.amdhsa_user_sgpr_dispatch_id 0
		.amdhsa_user_sgpr_private_segment_size 0
		.amdhsa_wavefront_size32 1
		.amdhsa_uses_dynamic_stack 0
		.amdhsa_enable_private_segment 0
		.amdhsa_system_sgpr_workgroup_id_x 1
		.amdhsa_system_sgpr_workgroup_id_y 0
		.amdhsa_system_sgpr_workgroup_id_z 0
		.amdhsa_system_sgpr_workgroup_info 0
		.amdhsa_system_vgpr_workitem_id 0
		.amdhsa_next_free_vgpr 1
		.amdhsa_next_free_sgpr 1
		.amdhsa_reserve_vcc 0
		.amdhsa_float_round_mode_32 0
		.amdhsa_float_round_mode_16_64 0
		.amdhsa_float_denorm_mode_32 3
		.amdhsa_float_denorm_mode_16_64 3
		.amdhsa_dx10_clamp 1
		.amdhsa_ieee_mode 1
		.amdhsa_fp16_overflow 0
		.amdhsa_workgroup_processor_mode 1
		.amdhsa_memory_ordered 1
		.amdhsa_forward_progress 0
		.amdhsa_shared_vgpr_count 0
		.amdhsa_exception_fp_ieee_invalid_op 0
		.amdhsa_exception_fp_denorm_src 0
		.amdhsa_exception_fp_ieee_div_zero 0
		.amdhsa_exception_fp_ieee_overflow 0
		.amdhsa_exception_fp_ieee_underflow 0
		.amdhsa_exception_fp_ieee_inexact 0
		.amdhsa_exception_int_div_zero 0
	.end_amdhsa_kernel
	.section	.text._ZN7rocprim17ROCPRIM_400000_NS6detail17trampoline_kernelINS0_14default_configENS1_22reduce_config_selectorIN6thrust23THRUST_200600_302600_NS5tupleIblNS6_9null_typeES8_S8_S8_S8_S8_S8_S8_EEEEZNS1_11reduce_implILb1ES3_NS6_12zip_iteratorINS7_INS6_11hip_rocprim26transform_input_iterator_tIbNSD_35transform_pair_of_input_iterators_tIbNS6_6detail15normal_iteratorINS6_10device_ptrIKiEEEESL_NS6_8equal_toIiEEEENSG_9not_fun_tINSD_8identityEEEEENSD_19counting_iterator_tIlEES8_S8_S8_S8_S8_S8_S8_S8_EEEEPS9_S9_NSD_9__find_if7functorIS9_EEEE10hipError_tPvRmT1_T2_T3_mT4_P12ihipStream_tbEUlT_E0_NS1_11comp_targetILNS1_3genE4ELNS1_11target_archE910ELNS1_3gpuE8ELNS1_3repE0EEENS1_30default_config_static_selectorELNS0_4arch9wavefront6targetE0EEEvS14_,"axG",@progbits,_ZN7rocprim17ROCPRIM_400000_NS6detail17trampoline_kernelINS0_14default_configENS1_22reduce_config_selectorIN6thrust23THRUST_200600_302600_NS5tupleIblNS6_9null_typeES8_S8_S8_S8_S8_S8_S8_EEEEZNS1_11reduce_implILb1ES3_NS6_12zip_iteratorINS7_INS6_11hip_rocprim26transform_input_iterator_tIbNSD_35transform_pair_of_input_iterators_tIbNS6_6detail15normal_iteratorINS6_10device_ptrIKiEEEESL_NS6_8equal_toIiEEEENSG_9not_fun_tINSD_8identityEEEEENSD_19counting_iterator_tIlEES8_S8_S8_S8_S8_S8_S8_S8_EEEEPS9_S9_NSD_9__find_if7functorIS9_EEEE10hipError_tPvRmT1_T2_T3_mT4_P12ihipStream_tbEUlT_E0_NS1_11comp_targetILNS1_3genE4ELNS1_11target_archE910ELNS1_3gpuE8ELNS1_3repE0EEENS1_30default_config_static_selectorELNS0_4arch9wavefront6targetE0EEEvS14_,comdat
.Lfunc_end539:
	.size	_ZN7rocprim17ROCPRIM_400000_NS6detail17trampoline_kernelINS0_14default_configENS1_22reduce_config_selectorIN6thrust23THRUST_200600_302600_NS5tupleIblNS6_9null_typeES8_S8_S8_S8_S8_S8_S8_EEEEZNS1_11reduce_implILb1ES3_NS6_12zip_iteratorINS7_INS6_11hip_rocprim26transform_input_iterator_tIbNSD_35transform_pair_of_input_iterators_tIbNS6_6detail15normal_iteratorINS6_10device_ptrIKiEEEESL_NS6_8equal_toIiEEEENSG_9not_fun_tINSD_8identityEEEEENSD_19counting_iterator_tIlEES8_S8_S8_S8_S8_S8_S8_S8_EEEEPS9_S9_NSD_9__find_if7functorIS9_EEEE10hipError_tPvRmT1_T2_T3_mT4_P12ihipStream_tbEUlT_E0_NS1_11comp_targetILNS1_3genE4ELNS1_11target_archE910ELNS1_3gpuE8ELNS1_3repE0EEENS1_30default_config_static_selectorELNS0_4arch9wavefront6targetE0EEEvS14_, .Lfunc_end539-_ZN7rocprim17ROCPRIM_400000_NS6detail17trampoline_kernelINS0_14default_configENS1_22reduce_config_selectorIN6thrust23THRUST_200600_302600_NS5tupleIblNS6_9null_typeES8_S8_S8_S8_S8_S8_S8_EEEEZNS1_11reduce_implILb1ES3_NS6_12zip_iteratorINS7_INS6_11hip_rocprim26transform_input_iterator_tIbNSD_35transform_pair_of_input_iterators_tIbNS6_6detail15normal_iteratorINS6_10device_ptrIKiEEEESL_NS6_8equal_toIiEEEENSG_9not_fun_tINSD_8identityEEEEENSD_19counting_iterator_tIlEES8_S8_S8_S8_S8_S8_S8_S8_EEEEPS9_S9_NSD_9__find_if7functorIS9_EEEE10hipError_tPvRmT1_T2_T3_mT4_P12ihipStream_tbEUlT_E0_NS1_11comp_targetILNS1_3genE4ELNS1_11target_archE910ELNS1_3gpuE8ELNS1_3repE0EEENS1_30default_config_static_selectorELNS0_4arch9wavefront6targetE0EEEvS14_
                                        ; -- End function
	.section	.AMDGPU.csdata,"",@progbits
; Kernel info:
; codeLenInByte = 0
; NumSgprs: 0
; NumVgprs: 0
; ScratchSize: 0
; MemoryBound: 0
; FloatMode: 240
; IeeeMode: 1
; LDSByteSize: 0 bytes/workgroup (compile time only)
; SGPRBlocks: 0
; VGPRBlocks: 0
; NumSGPRsForWavesPerEU: 1
; NumVGPRsForWavesPerEU: 1
; Occupancy: 16
; WaveLimiterHint : 0
; COMPUTE_PGM_RSRC2:SCRATCH_EN: 0
; COMPUTE_PGM_RSRC2:USER_SGPR: 15
; COMPUTE_PGM_RSRC2:TRAP_HANDLER: 0
; COMPUTE_PGM_RSRC2:TGID_X_EN: 1
; COMPUTE_PGM_RSRC2:TGID_Y_EN: 0
; COMPUTE_PGM_RSRC2:TGID_Z_EN: 0
; COMPUTE_PGM_RSRC2:TIDIG_COMP_CNT: 0
	.section	.text._ZN7rocprim17ROCPRIM_400000_NS6detail17trampoline_kernelINS0_14default_configENS1_22reduce_config_selectorIN6thrust23THRUST_200600_302600_NS5tupleIblNS6_9null_typeES8_S8_S8_S8_S8_S8_S8_EEEEZNS1_11reduce_implILb1ES3_NS6_12zip_iteratorINS7_INS6_11hip_rocprim26transform_input_iterator_tIbNSD_35transform_pair_of_input_iterators_tIbNS6_6detail15normal_iteratorINS6_10device_ptrIKiEEEESL_NS6_8equal_toIiEEEENSG_9not_fun_tINSD_8identityEEEEENSD_19counting_iterator_tIlEES8_S8_S8_S8_S8_S8_S8_S8_EEEEPS9_S9_NSD_9__find_if7functorIS9_EEEE10hipError_tPvRmT1_T2_T3_mT4_P12ihipStream_tbEUlT_E0_NS1_11comp_targetILNS1_3genE3ELNS1_11target_archE908ELNS1_3gpuE7ELNS1_3repE0EEENS1_30default_config_static_selectorELNS0_4arch9wavefront6targetE0EEEvS14_,"axG",@progbits,_ZN7rocprim17ROCPRIM_400000_NS6detail17trampoline_kernelINS0_14default_configENS1_22reduce_config_selectorIN6thrust23THRUST_200600_302600_NS5tupleIblNS6_9null_typeES8_S8_S8_S8_S8_S8_S8_EEEEZNS1_11reduce_implILb1ES3_NS6_12zip_iteratorINS7_INS6_11hip_rocprim26transform_input_iterator_tIbNSD_35transform_pair_of_input_iterators_tIbNS6_6detail15normal_iteratorINS6_10device_ptrIKiEEEESL_NS6_8equal_toIiEEEENSG_9not_fun_tINSD_8identityEEEEENSD_19counting_iterator_tIlEES8_S8_S8_S8_S8_S8_S8_S8_EEEEPS9_S9_NSD_9__find_if7functorIS9_EEEE10hipError_tPvRmT1_T2_T3_mT4_P12ihipStream_tbEUlT_E0_NS1_11comp_targetILNS1_3genE3ELNS1_11target_archE908ELNS1_3gpuE7ELNS1_3repE0EEENS1_30default_config_static_selectorELNS0_4arch9wavefront6targetE0EEEvS14_,comdat
	.protected	_ZN7rocprim17ROCPRIM_400000_NS6detail17trampoline_kernelINS0_14default_configENS1_22reduce_config_selectorIN6thrust23THRUST_200600_302600_NS5tupleIblNS6_9null_typeES8_S8_S8_S8_S8_S8_S8_EEEEZNS1_11reduce_implILb1ES3_NS6_12zip_iteratorINS7_INS6_11hip_rocprim26transform_input_iterator_tIbNSD_35transform_pair_of_input_iterators_tIbNS6_6detail15normal_iteratorINS6_10device_ptrIKiEEEESL_NS6_8equal_toIiEEEENSG_9not_fun_tINSD_8identityEEEEENSD_19counting_iterator_tIlEES8_S8_S8_S8_S8_S8_S8_S8_EEEEPS9_S9_NSD_9__find_if7functorIS9_EEEE10hipError_tPvRmT1_T2_T3_mT4_P12ihipStream_tbEUlT_E0_NS1_11comp_targetILNS1_3genE3ELNS1_11target_archE908ELNS1_3gpuE7ELNS1_3repE0EEENS1_30default_config_static_selectorELNS0_4arch9wavefront6targetE0EEEvS14_ ; -- Begin function _ZN7rocprim17ROCPRIM_400000_NS6detail17trampoline_kernelINS0_14default_configENS1_22reduce_config_selectorIN6thrust23THRUST_200600_302600_NS5tupleIblNS6_9null_typeES8_S8_S8_S8_S8_S8_S8_EEEEZNS1_11reduce_implILb1ES3_NS6_12zip_iteratorINS7_INS6_11hip_rocprim26transform_input_iterator_tIbNSD_35transform_pair_of_input_iterators_tIbNS6_6detail15normal_iteratorINS6_10device_ptrIKiEEEESL_NS6_8equal_toIiEEEENSG_9not_fun_tINSD_8identityEEEEENSD_19counting_iterator_tIlEES8_S8_S8_S8_S8_S8_S8_S8_EEEEPS9_S9_NSD_9__find_if7functorIS9_EEEE10hipError_tPvRmT1_T2_T3_mT4_P12ihipStream_tbEUlT_E0_NS1_11comp_targetILNS1_3genE3ELNS1_11target_archE908ELNS1_3gpuE7ELNS1_3repE0EEENS1_30default_config_static_selectorELNS0_4arch9wavefront6targetE0EEEvS14_
	.globl	_ZN7rocprim17ROCPRIM_400000_NS6detail17trampoline_kernelINS0_14default_configENS1_22reduce_config_selectorIN6thrust23THRUST_200600_302600_NS5tupleIblNS6_9null_typeES8_S8_S8_S8_S8_S8_S8_EEEEZNS1_11reduce_implILb1ES3_NS6_12zip_iteratorINS7_INS6_11hip_rocprim26transform_input_iterator_tIbNSD_35transform_pair_of_input_iterators_tIbNS6_6detail15normal_iteratorINS6_10device_ptrIKiEEEESL_NS6_8equal_toIiEEEENSG_9not_fun_tINSD_8identityEEEEENSD_19counting_iterator_tIlEES8_S8_S8_S8_S8_S8_S8_S8_EEEEPS9_S9_NSD_9__find_if7functorIS9_EEEE10hipError_tPvRmT1_T2_T3_mT4_P12ihipStream_tbEUlT_E0_NS1_11comp_targetILNS1_3genE3ELNS1_11target_archE908ELNS1_3gpuE7ELNS1_3repE0EEENS1_30default_config_static_selectorELNS0_4arch9wavefront6targetE0EEEvS14_
	.p2align	8
	.type	_ZN7rocprim17ROCPRIM_400000_NS6detail17trampoline_kernelINS0_14default_configENS1_22reduce_config_selectorIN6thrust23THRUST_200600_302600_NS5tupleIblNS6_9null_typeES8_S8_S8_S8_S8_S8_S8_EEEEZNS1_11reduce_implILb1ES3_NS6_12zip_iteratorINS7_INS6_11hip_rocprim26transform_input_iterator_tIbNSD_35transform_pair_of_input_iterators_tIbNS6_6detail15normal_iteratorINS6_10device_ptrIKiEEEESL_NS6_8equal_toIiEEEENSG_9not_fun_tINSD_8identityEEEEENSD_19counting_iterator_tIlEES8_S8_S8_S8_S8_S8_S8_S8_EEEEPS9_S9_NSD_9__find_if7functorIS9_EEEE10hipError_tPvRmT1_T2_T3_mT4_P12ihipStream_tbEUlT_E0_NS1_11comp_targetILNS1_3genE3ELNS1_11target_archE908ELNS1_3gpuE7ELNS1_3repE0EEENS1_30default_config_static_selectorELNS0_4arch9wavefront6targetE0EEEvS14_,@function
_ZN7rocprim17ROCPRIM_400000_NS6detail17trampoline_kernelINS0_14default_configENS1_22reduce_config_selectorIN6thrust23THRUST_200600_302600_NS5tupleIblNS6_9null_typeES8_S8_S8_S8_S8_S8_S8_EEEEZNS1_11reduce_implILb1ES3_NS6_12zip_iteratorINS7_INS6_11hip_rocprim26transform_input_iterator_tIbNSD_35transform_pair_of_input_iterators_tIbNS6_6detail15normal_iteratorINS6_10device_ptrIKiEEEESL_NS6_8equal_toIiEEEENSG_9not_fun_tINSD_8identityEEEEENSD_19counting_iterator_tIlEES8_S8_S8_S8_S8_S8_S8_S8_EEEEPS9_S9_NSD_9__find_if7functorIS9_EEEE10hipError_tPvRmT1_T2_T3_mT4_P12ihipStream_tbEUlT_E0_NS1_11comp_targetILNS1_3genE3ELNS1_11target_archE908ELNS1_3gpuE7ELNS1_3repE0EEENS1_30default_config_static_selectorELNS0_4arch9wavefront6targetE0EEEvS14_: ; @_ZN7rocprim17ROCPRIM_400000_NS6detail17trampoline_kernelINS0_14default_configENS1_22reduce_config_selectorIN6thrust23THRUST_200600_302600_NS5tupleIblNS6_9null_typeES8_S8_S8_S8_S8_S8_S8_EEEEZNS1_11reduce_implILb1ES3_NS6_12zip_iteratorINS7_INS6_11hip_rocprim26transform_input_iterator_tIbNSD_35transform_pair_of_input_iterators_tIbNS6_6detail15normal_iteratorINS6_10device_ptrIKiEEEESL_NS6_8equal_toIiEEEENSG_9not_fun_tINSD_8identityEEEEENSD_19counting_iterator_tIlEES8_S8_S8_S8_S8_S8_S8_S8_EEEEPS9_S9_NSD_9__find_if7functorIS9_EEEE10hipError_tPvRmT1_T2_T3_mT4_P12ihipStream_tbEUlT_E0_NS1_11comp_targetILNS1_3genE3ELNS1_11target_archE908ELNS1_3gpuE7ELNS1_3repE0EEENS1_30default_config_static_selectorELNS0_4arch9wavefront6targetE0EEEvS14_
; %bb.0:
	.section	.rodata,"a",@progbits
	.p2align	6, 0x0
	.amdhsa_kernel _ZN7rocprim17ROCPRIM_400000_NS6detail17trampoline_kernelINS0_14default_configENS1_22reduce_config_selectorIN6thrust23THRUST_200600_302600_NS5tupleIblNS6_9null_typeES8_S8_S8_S8_S8_S8_S8_EEEEZNS1_11reduce_implILb1ES3_NS6_12zip_iteratorINS7_INS6_11hip_rocprim26transform_input_iterator_tIbNSD_35transform_pair_of_input_iterators_tIbNS6_6detail15normal_iteratorINS6_10device_ptrIKiEEEESL_NS6_8equal_toIiEEEENSG_9not_fun_tINSD_8identityEEEEENSD_19counting_iterator_tIlEES8_S8_S8_S8_S8_S8_S8_S8_EEEEPS9_S9_NSD_9__find_if7functorIS9_EEEE10hipError_tPvRmT1_T2_T3_mT4_P12ihipStream_tbEUlT_E0_NS1_11comp_targetILNS1_3genE3ELNS1_11target_archE908ELNS1_3gpuE7ELNS1_3repE0EEENS1_30default_config_static_selectorELNS0_4arch9wavefront6targetE0EEEvS14_
		.amdhsa_group_segment_fixed_size 0
		.amdhsa_private_segment_fixed_size 0
		.amdhsa_kernarg_size 104
		.amdhsa_user_sgpr_count 15
		.amdhsa_user_sgpr_dispatch_ptr 0
		.amdhsa_user_sgpr_queue_ptr 0
		.amdhsa_user_sgpr_kernarg_segment_ptr 1
		.amdhsa_user_sgpr_dispatch_id 0
		.amdhsa_user_sgpr_private_segment_size 0
		.amdhsa_wavefront_size32 1
		.amdhsa_uses_dynamic_stack 0
		.amdhsa_enable_private_segment 0
		.amdhsa_system_sgpr_workgroup_id_x 1
		.amdhsa_system_sgpr_workgroup_id_y 0
		.amdhsa_system_sgpr_workgroup_id_z 0
		.amdhsa_system_sgpr_workgroup_info 0
		.amdhsa_system_vgpr_workitem_id 0
		.amdhsa_next_free_vgpr 1
		.amdhsa_next_free_sgpr 1
		.amdhsa_reserve_vcc 0
		.amdhsa_float_round_mode_32 0
		.amdhsa_float_round_mode_16_64 0
		.amdhsa_float_denorm_mode_32 3
		.amdhsa_float_denorm_mode_16_64 3
		.amdhsa_dx10_clamp 1
		.amdhsa_ieee_mode 1
		.amdhsa_fp16_overflow 0
		.amdhsa_workgroup_processor_mode 1
		.amdhsa_memory_ordered 1
		.amdhsa_forward_progress 0
		.amdhsa_shared_vgpr_count 0
		.amdhsa_exception_fp_ieee_invalid_op 0
		.amdhsa_exception_fp_denorm_src 0
		.amdhsa_exception_fp_ieee_div_zero 0
		.amdhsa_exception_fp_ieee_overflow 0
		.amdhsa_exception_fp_ieee_underflow 0
		.amdhsa_exception_fp_ieee_inexact 0
		.amdhsa_exception_int_div_zero 0
	.end_amdhsa_kernel
	.section	.text._ZN7rocprim17ROCPRIM_400000_NS6detail17trampoline_kernelINS0_14default_configENS1_22reduce_config_selectorIN6thrust23THRUST_200600_302600_NS5tupleIblNS6_9null_typeES8_S8_S8_S8_S8_S8_S8_EEEEZNS1_11reduce_implILb1ES3_NS6_12zip_iteratorINS7_INS6_11hip_rocprim26transform_input_iterator_tIbNSD_35transform_pair_of_input_iterators_tIbNS6_6detail15normal_iteratorINS6_10device_ptrIKiEEEESL_NS6_8equal_toIiEEEENSG_9not_fun_tINSD_8identityEEEEENSD_19counting_iterator_tIlEES8_S8_S8_S8_S8_S8_S8_S8_EEEEPS9_S9_NSD_9__find_if7functorIS9_EEEE10hipError_tPvRmT1_T2_T3_mT4_P12ihipStream_tbEUlT_E0_NS1_11comp_targetILNS1_3genE3ELNS1_11target_archE908ELNS1_3gpuE7ELNS1_3repE0EEENS1_30default_config_static_selectorELNS0_4arch9wavefront6targetE0EEEvS14_,"axG",@progbits,_ZN7rocprim17ROCPRIM_400000_NS6detail17trampoline_kernelINS0_14default_configENS1_22reduce_config_selectorIN6thrust23THRUST_200600_302600_NS5tupleIblNS6_9null_typeES8_S8_S8_S8_S8_S8_S8_EEEEZNS1_11reduce_implILb1ES3_NS6_12zip_iteratorINS7_INS6_11hip_rocprim26transform_input_iterator_tIbNSD_35transform_pair_of_input_iterators_tIbNS6_6detail15normal_iteratorINS6_10device_ptrIKiEEEESL_NS6_8equal_toIiEEEENSG_9not_fun_tINSD_8identityEEEEENSD_19counting_iterator_tIlEES8_S8_S8_S8_S8_S8_S8_S8_EEEEPS9_S9_NSD_9__find_if7functorIS9_EEEE10hipError_tPvRmT1_T2_T3_mT4_P12ihipStream_tbEUlT_E0_NS1_11comp_targetILNS1_3genE3ELNS1_11target_archE908ELNS1_3gpuE7ELNS1_3repE0EEENS1_30default_config_static_selectorELNS0_4arch9wavefront6targetE0EEEvS14_,comdat
.Lfunc_end540:
	.size	_ZN7rocprim17ROCPRIM_400000_NS6detail17trampoline_kernelINS0_14default_configENS1_22reduce_config_selectorIN6thrust23THRUST_200600_302600_NS5tupleIblNS6_9null_typeES8_S8_S8_S8_S8_S8_S8_EEEEZNS1_11reduce_implILb1ES3_NS6_12zip_iteratorINS7_INS6_11hip_rocprim26transform_input_iterator_tIbNSD_35transform_pair_of_input_iterators_tIbNS6_6detail15normal_iteratorINS6_10device_ptrIKiEEEESL_NS6_8equal_toIiEEEENSG_9not_fun_tINSD_8identityEEEEENSD_19counting_iterator_tIlEES8_S8_S8_S8_S8_S8_S8_S8_EEEEPS9_S9_NSD_9__find_if7functorIS9_EEEE10hipError_tPvRmT1_T2_T3_mT4_P12ihipStream_tbEUlT_E0_NS1_11comp_targetILNS1_3genE3ELNS1_11target_archE908ELNS1_3gpuE7ELNS1_3repE0EEENS1_30default_config_static_selectorELNS0_4arch9wavefront6targetE0EEEvS14_, .Lfunc_end540-_ZN7rocprim17ROCPRIM_400000_NS6detail17trampoline_kernelINS0_14default_configENS1_22reduce_config_selectorIN6thrust23THRUST_200600_302600_NS5tupleIblNS6_9null_typeES8_S8_S8_S8_S8_S8_S8_EEEEZNS1_11reduce_implILb1ES3_NS6_12zip_iteratorINS7_INS6_11hip_rocprim26transform_input_iterator_tIbNSD_35transform_pair_of_input_iterators_tIbNS6_6detail15normal_iteratorINS6_10device_ptrIKiEEEESL_NS6_8equal_toIiEEEENSG_9not_fun_tINSD_8identityEEEEENSD_19counting_iterator_tIlEES8_S8_S8_S8_S8_S8_S8_S8_EEEEPS9_S9_NSD_9__find_if7functorIS9_EEEE10hipError_tPvRmT1_T2_T3_mT4_P12ihipStream_tbEUlT_E0_NS1_11comp_targetILNS1_3genE3ELNS1_11target_archE908ELNS1_3gpuE7ELNS1_3repE0EEENS1_30default_config_static_selectorELNS0_4arch9wavefront6targetE0EEEvS14_
                                        ; -- End function
	.section	.AMDGPU.csdata,"",@progbits
; Kernel info:
; codeLenInByte = 0
; NumSgprs: 0
; NumVgprs: 0
; ScratchSize: 0
; MemoryBound: 0
; FloatMode: 240
; IeeeMode: 1
; LDSByteSize: 0 bytes/workgroup (compile time only)
; SGPRBlocks: 0
; VGPRBlocks: 0
; NumSGPRsForWavesPerEU: 1
; NumVGPRsForWavesPerEU: 1
; Occupancy: 16
; WaveLimiterHint : 0
; COMPUTE_PGM_RSRC2:SCRATCH_EN: 0
; COMPUTE_PGM_RSRC2:USER_SGPR: 15
; COMPUTE_PGM_RSRC2:TRAP_HANDLER: 0
; COMPUTE_PGM_RSRC2:TGID_X_EN: 1
; COMPUTE_PGM_RSRC2:TGID_Y_EN: 0
; COMPUTE_PGM_RSRC2:TGID_Z_EN: 0
; COMPUTE_PGM_RSRC2:TIDIG_COMP_CNT: 0
	.section	.text._ZN7rocprim17ROCPRIM_400000_NS6detail17trampoline_kernelINS0_14default_configENS1_22reduce_config_selectorIN6thrust23THRUST_200600_302600_NS5tupleIblNS6_9null_typeES8_S8_S8_S8_S8_S8_S8_EEEEZNS1_11reduce_implILb1ES3_NS6_12zip_iteratorINS7_INS6_11hip_rocprim26transform_input_iterator_tIbNSD_35transform_pair_of_input_iterators_tIbNS6_6detail15normal_iteratorINS6_10device_ptrIKiEEEESL_NS6_8equal_toIiEEEENSG_9not_fun_tINSD_8identityEEEEENSD_19counting_iterator_tIlEES8_S8_S8_S8_S8_S8_S8_S8_EEEEPS9_S9_NSD_9__find_if7functorIS9_EEEE10hipError_tPvRmT1_T2_T3_mT4_P12ihipStream_tbEUlT_E0_NS1_11comp_targetILNS1_3genE2ELNS1_11target_archE906ELNS1_3gpuE6ELNS1_3repE0EEENS1_30default_config_static_selectorELNS0_4arch9wavefront6targetE0EEEvS14_,"axG",@progbits,_ZN7rocprim17ROCPRIM_400000_NS6detail17trampoline_kernelINS0_14default_configENS1_22reduce_config_selectorIN6thrust23THRUST_200600_302600_NS5tupleIblNS6_9null_typeES8_S8_S8_S8_S8_S8_S8_EEEEZNS1_11reduce_implILb1ES3_NS6_12zip_iteratorINS7_INS6_11hip_rocprim26transform_input_iterator_tIbNSD_35transform_pair_of_input_iterators_tIbNS6_6detail15normal_iteratorINS6_10device_ptrIKiEEEESL_NS6_8equal_toIiEEEENSG_9not_fun_tINSD_8identityEEEEENSD_19counting_iterator_tIlEES8_S8_S8_S8_S8_S8_S8_S8_EEEEPS9_S9_NSD_9__find_if7functorIS9_EEEE10hipError_tPvRmT1_T2_T3_mT4_P12ihipStream_tbEUlT_E0_NS1_11comp_targetILNS1_3genE2ELNS1_11target_archE906ELNS1_3gpuE6ELNS1_3repE0EEENS1_30default_config_static_selectorELNS0_4arch9wavefront6targetE0EEEvS14_,comdat
	.protected	_ZN7rocprim17ROCPRIM_400000_NS6detail17trampoline_kernelINS0_14default_configENS1_22reduce_config_selectorIN6thrust23THRUST_200600_302600_NS5tupleIblNS6_9null_typeES8_S8_S8_S8_S8_S8_S8_EEEEZNS1_11reduce_implILb1ES3_NS6_12zip_iteratorINS7_INS6_11hip_rocprim26transform_input_iterator_tIbNSD_35transform_pair_of_input_iterators_tIbNS6_6detail15normal_iteratorINS6_10device_ptrIKiEEEESL_NS6_8equal_toIiEEEENSG_9not_fun_tINSD_8identityEEEEENSD_19counting_iterator_tIlEES8_S8_S8_S8_S8_S8_S8_S8_EEEEPS9_S9_NSD_9__find_if7functorIS9_EEEE10hipError_tPvRmT1_T2_T3_mT4_P12ihipStream_tbEUlT_E0_NS1_11comp_targetILNS1_3genE2ELNS1_11target_archE906ELNS1_3gpuE6ELNS1_3repE0EEENS1_30default_config_static_selectorELNS0_4arch9wavefront6targetE0EEEvS14_ ; -- Begin function _ZN7rocprim17ROCPRIM_400000_NS6detail17trampoline_kernelINS0_14default_configENS1_22reduce_config_selectorIN6thrust23THRUST_200600_302600_NS5tupleIblNS6_9null_typeES8_S8_S8_S8_S8_S8_S8_EEEEZNS1_11reduce_implILb1ES3_NS6_12zip_iteratorINS7_INS6_11hip_rocprim26transform_input_iterator_tIbNSD_35transform_pair_of_input_iterators_tIbNS6_6detail15normal_iteratorINS6_10device_ptrIKiEEEESL_NS6_8equal_toIiEEEENSG_9not_fun_tINSD_8identityEEEEENSD_19counting_iterator_tIlEES8_S8_S8_S8_S8_S8_S8_S8_EEEEPS9_S9_NSD_9__find_if7functorIS9_EEEE10hipError_tPvRmT1_T2_T3_mT4_P12ihipStream_tbEUlT_E0_NS1_11comp_targetILNS1_3genE2ELNS1_11target_archE906ELNS1_3gpuE6ELNS1_3repE0EEENS1_30default_config_static_selectorELNS0_4arch9wavefront6targetE0EEEvS14_
	.globl	_ZN7rocprim17ROCPRIM_400000_NS6detail17trampoline_kernelINS0_14default_configENS1_22reduce_config_selectorIN6thrust23THRUST_200600_302600_NS5tupleIblNS6_9null_typeES8_S8_S8_S8_S8_S8_S8_EEEEZNS1_11reduce_implILb1ES3_NS6_12zip_iteratorINS7_INS6_11hip_rocprim26transform_input_iterator_tIbNSD_35transform_pair_of_input_iterators_tIbNS6_6detail15normal_iteratorINS6_10device_ptrIKiEEEESL_NS6_8equal_toIiEEEENSG_9not_fun_tINSD_8identityEEEEENSD_19counting_iterator_tIlEES8_S8_S8_S8_S8_S8_S8_S8_EEEEPS9_S9_NSD_9__find_if7functorIS9_EEEE10hipError_tPvRmT1_T2_T3_mT4_P12ihipStream_tbEUlT_E0_NS1_11comp_targetILNS1_3genE2ELNS1_11target_archE906ELNS1_3gpuE6ELNS1_3repE0EEENS1_30default_config_static_selectorELNS0_4arch9wavefront6targetE0EEEvS14_
	.p2align	8
	.type	_ZN7rocprim17ROCPRIM_400000_NS6detail17trampoline_kernelINS0_14default_configENS1_22reduce_config_selectorIN6thrust23THRUST_200600_302600_NS5tupleIblNS6_9null_typeES8_S8_S8_S8_S8_S8_S8_EEEEZNS1_11reduce_implILb1ES3_NS6_12zip_iteratorINS7_INS6_11hip_rocprim26transform_input_iterator_tIbNSD_35transform_pair_of_input_iterators_tIbNS6_6detail15normal_iteratorINS6_10device_ptrIKiEEEESL_NS6_8equal_toIiEEEENSG_9not_fun_tINSD_8identityEEEEENSD_19counting_iterator_tIlEES8_S8_S8_S8_S8_S8_S8_S8_EEEEPS9_S9_NSD_9__find_if7functorIS9_EEEE10hipError_tPvRmT1_T2_T3_mT4_P12ihipStream_tbEUlT_E0_NS1_11comp_targetILNS1_3genE2ELNS1_11target_archE906ELNS1_3gpuE6ELNS1_3repE0EEENS1_30default_config_static_selectorELNS0_4arch9wavefront6targetE0EEEvS14_,@function
_ZN7rocprim17ROCPRIM_400000_NS6detail17trampoline_kernelINS0_14default_configENS1_22reduce_config_selectorIN6thrust23THRUST_200600_302600_NS5tupleIblNS6_9null_typeES8_S8_S8_S8_S8_S8_S8_EEEEZNS1_11reduce_implILb1ES3_NS6_12zip_iteratorINS7_INS6_11hip_rocprim26transform_input_iterator_tIbNSD_35transform_pair_of_input_iterators_tIbNS6_6detail15normal_iteratorINS6_10device_ptrIKiEEEESL_NS6_8equal_toIiEEEENSG_9not_fun_tINSD_8identityEEEEENSD_19counting_iterator_tIlEES8_S8_S8_S8_S8_S8_S8_S8_EEEEPS9_S9_NSD_9__find_if7functorIS9_EEEE10hipError_tPvRmT1_T2_T3_mT4_P12ihipStream_tbEUlT_E0_NS1_11comp_targetILNS1_3genE2ELNS1_11target_archE906ELNS1_3gpuE6ELNS1_3repE0EEENS1_30default_config_static_selectorELNS0_4arch9wavefront6targetE0EEEvS14_: ; @_ZN7rocprim17ROCPRIM_400000_NS6detail17trampoline_kernelINS0_14default_configENS1_22reduce_config_selectorIN6thrust23THRUST_200600_302600_NS5tupleIblNS6_9null_typeES8_S8_S8_S8_S8_S8_S8_EEEEZNS1_11reduce_implILb1ES3_NS6_12zip_iteratorINS7_INS6_11hip_rocprim26transform_input_iterator_tIbNSD_35transform_pair_of_input_iterators_tIbNS6_6detail15normal_iteratorINS6_10device_ptrIKiEEEESL_NS6_8equal_toIiEEEENSG_9not_fun_tINSD_8identityEEEEENSD_19counting_iterator_tIlEES8_S8_S8_S8_S8_S8_S8_S8_EEEEPS9_S9_NSD_9__find_if7functorIS9_EEEE10hipError_tPvRmT1_T2_T3_mT4_P12ihipStream_tbEUlT_E0_NS1_11comp_targetILNS1_3genE2ELNS1_11target_archE906ELNS1_3gpuE6ELNS1_3repE0EEENS1_30default_config_static_selectorELNS0_4arch9wavefront6targetE0EEEvS14_
; %bb.0:
	.section	.rodata,"a",@progbits
	.p2align	6, 0x0
	.amdhsa_kernel _ZN7rocprim17ROCPRIM_400000_NS6detail17trampoline_kernelINS0_14default_configENS1_22reduce_config_selectorIN6thrust23THRUST_200600_302600_NS5tupleIblNS6_9null_typeES8_S8_S8_S8_S8_S8_S8_EEEEZNS1_11reduce_implILb1ES3_NS6_12zip_iteratorINS7_INS6_11hip_rocprim26transform_input_iterator_tIbNSD_35transform_pair_of_input_iterators_tIbNS6_6detail15normal_iteratorINS6_10device_ptrIKiEEEESL_NS6_8equal_toIiEEEENSG_9not_fun_tINSD_8identityEEEEENSD_19counting_iterator_tIlEES8_S8_S8_S8_S8_S8_S8_S8_EEEEPS9_S9_NSD_9__find_if7functorIS9_EEEE10hipError_tPvRmT1_T2_T3_mT4_P12ihipStream_tbEUlT_E0_NS1_11comp_targetILNS1_3genE2ELNS1_11target_archE906ELNS1_3gpuE6ELNS1_3repE0EEENS1_30default_config_static_selectorELNS0_4arch9wavefront6targetE0EEEvS14_
		.amdhsa_group_segment_fixed_size 0
		.amdhsa_private_segment_fixed_size 0
		.amdhsa_kernarg_size 104
		.amdhsa_user_sgpr_count 15
		.amdhsa_user_sgpr_dispatch_ptr 0
		.amdhsa_user_sgpr_queue_ptr 0
		.amdhsa_user_sgpr_kernarg_segment_ptr 1
		.amdhsa_user_sgpr_dispatch_id 0
		.amdhsa_user_sgpr_private_segment_size 0
		.amdhsa_wavefront_size32 1
		.amdhsa_uses_dynamic_stack 0
		.amdhsa_enable_private_segment 0
		.amdhsa_system_sgpr_workgroup_id_x 1
		.amdhsa_system_sgpr_workgroup_id_y 0
		.amdhsa_system_sgpr_workgroup_id_z 0
		.amdhsa_system_sgpr_workgroup_info 0
		.amdhsa_system_vgpr_workitem_id 0
		.amdhsa_next_free_vgpr 1
		.amdhsa_next_free_sgpr 1
		.amdhsa_reserve_vcc 0
		.amdhsa_float_round_mode_32 0
		.amdhsa_float_round_mode_16_64 0
		.amdhsa_float_denorm_mode_32 3
		.amdhsa_float_denorm_mode_16_64 3
		.amdhsa_dx10_clamp 1
		.amdhsa_ieee_mode 1
		.amdhsa_fp16_overflow 0
		.amdhsa_workgroup_processor_mode 1
		.amdhsa_memory_ordered 1
		.amdhsa_forward_progress 0
		.amdhsa_shared_vgpr_count 0
		.amdhsa_exception_fp_ieee_invalid_op 0
		.amdhsa_exception_fp_denorm_src 0
		.amdhsa_exception_fp_ieee_div_zero 0
		.amdhsa_exception_fp_ieee_overflow 0
		.amdhsa_exception_fp_ieee_underflow 0
		.amdhsa_exception_fp_ieee_inexact 0
		.amdhsa_exception_int_div_zero 0
	.end_amdhsa_kernel
	.section	.text._ZN7rocprim17ROCPRIM_400000_NS6detail17trampoline_kernelINS0_14default_configENS1_22reduce_config_selectorIN6thrust23THRUST_200600_302600_NS5tupleIblNS6_9null_typeES8_S8_S8_S8_S8_S8_S8_EEEEZNS1_11reduce_implILb1ES3_NS6_12zip_iteratorINS7_INS6_11hip_rocprim26transform_input_iterator_tIbNSD_35transform_pair_of_input_iterators_tIbNS6_6detail15normal_iteratorINS6_10device_ptrIKiEEEESL_NS6_8equal_toIiEEEENSG_9not_fun_tINSD_8identityEEEEENSD_19counting_iterator_tIlEES8_S8_S8_S8_S8_S8_S8_S8_EEEEPS9_S9_NSD_9__find_if7functorIS9_EEEE10hipError_tPvRmT1_T2_T3_mT4_P12ihipStream_tbEUlT_E0_NS1_11comp_targetILNS1_3genE2ELNS1_11target_archE906ELNS1_3gpuE6ELNS1_3repE0EEENS1_30default_config_static_selectorELNS0_4arch9wavefront6targetE0EEEvS14_,"axG",@progbits,_ZN7rocprim17ROCPRIM_400000_NS6detail17trampoline_kernelINS0_14default_configENS1_22reduce_config_selectorIN6thrust23THRUST_200600_302600_NS5tupleIblNS6_9null_typeES8_S8_S8_S8_S8_S8_S8_EEEEZNS1_11reduce_implILb1ES3_NS6_12zip_iteratorINS7_INS6_11hip_rocprim26transform_input_iterator_tIbNSD_35transform_pair_of_input_iterators_tIbNS6_6detail15normal_iteratorINS6_10device_ptrIKiEEEESL_NS6_8equal_toIiEEEENSG_9not_fun_tINSD_8identityEEEEENSD_19counting_iterator_tIlEES8_S8_S8_S8_S8_S8_S8_S8_EEEEPS9_S9_NSD_9__find_if7functorIS9_EEEE10hipError_tPvRmT1_T2_T3_mT4_P12ihipStream_tbEUlT_E0_NS1_11comp_targetILNS1_3genE2ELNS1_11target_archE906ELNS1_3gpuE6ELNS1_3repE0EEENS1_30default_config_static_selectorELNS0_4arch9wavefront6targetE0EEEvS14_,comdat
.Lfunc_end541:
	.size	_ZN7rocprim17ROCPRIM_400000_NS6detail17trampoline_kernelINS0_14default_configENS1_22reduce_config_selectorIN6thrust23THRUST_200600_302600_NS5tupleIblNS6_9null_typeES8_S8_S8_S8_S8_S8_S8_EEEEZNS1_11reduce_implILb1ES3_NS6_12zip_iteratorINS7_INS6_11hip_rocprim26transform_input_iterator_tIbNSD_35transform_pair_of_input_iterators_tIbNS6_6detail15normal_iteratorINS6_10device_ptrIKiEEEESL_NS6_8equal_toIiEEEENSG_9not_fun_tINSD_8identityEEEEENSD_19counting_iterator_tIlEES8_S8_S8_S8_S8_S8_S8_S8_EEEEPS9_S9_NSD_9__find_if7functorIS9_EEEE10hipError_tPvRmT1_T2_T3_mT4_P12ihipStream_tbEUlT_E0_NS1_11comp_targetILNS1_3genE2ELNS1_11target_archE906ELNS1_3gpuE6ELNS1_3repE0EEENS1_30default_config_static_selectorELNS0_4arch9wavefront6targetE0EEEvS14_, .Lfunc_end541-_ZN7rocprim17ROCPRIM_400000_NS6detail17trampoline_kernelINS0_14default_configENS1_22reduce_config_selectorIN6thrust23THRUST_200600_302600_NS5tupleIblNS6_9null_typeES8_S8_S8_S8_S8_S8_S8_EEEEZNS1_11reduce_implILb1ES3_NS6_12zip_iteratorINS7_INS6_11hip_rocprim26transform_input_iterator_tIbNSD_35transform_pair_of_input_iterators_tIbNS6_6detail15normal_iteratorINS6_10device_ptrIKiEEEESL_NS6_8equal_toIiEEEENSG_9not_fun_tINSD_8identityEEEEENSD_19counting_iterator_tIlEES8_S8_S8_S8_S8_S8_S8_S8_EEEEPS9_S9_NSD_9__find_if7functorIS9_EEEE10hipError_tPvRmT1_T2_T3_mT4_P12ihipStream_tbEUlT_E0_NS1_11comp_targetILNS1_3genE2ELNS1_11target_archE906ELNS1_3gpuE6ELNS1_3repE0EEENS1_30default_config_static_selectorELNS0_4arch9wavefront6targetE0EEEvS14_
                                        ; -- End function
	.section	.AMDGPU.csdata,"",@progbits
; Kernel info:
; codeLenInByte = 0
; NumSgprs: 0
; NumVgprs: 0
; ScratchSize: 0
; MemoryBound: 0
; FloatMode: 240
; IeeeMode: 1
; LDSByteSize: 0 bytes/workgroup (compile time only)
; SGPRBlocks: 0
; VGPRBlocks: 0
; NumSGPRsForWavesPerEU: 1
; NumVGPRsForWavesPerEU: 1
; Occupancy: 16
; WaveLimiterHint : 0
; COMPUTE_PGM_RSRC2:SCRATCH_EN: 0
; COMPUTE_PGM_RSRC2:USER_SGPR: 15
; COMPUTE_PGM_RSRC2:TRAP_HANDLER: 0
; COMPUTE_PGM_RSRC2:TGID_X_EN: 1
; COMPUTE_PGM_RSRC2:TGID_Y_EN: 0
; COMPUTE_PGM_RSRC2:TGID_Z_EN: 0
; COMPUTE_PGM_RSRC2:TIDIG_COMP_CNT: 0
	.section	.text._ZN7rocprim17ROCPRIM_400000_NS6detail17trampoline_kernelINS0_14default_configENS1_22reduce_config_selectorIN6thrust23THRUST_200600_302600_NS5tupleIblNS6_9null_typeES8_S8_S8_S8_S8_S8_S8_EEEEZNS1_11reduce_implILb1ES3_NS6_12zip_iteratorINS7_INS6_11hip_rocprim26transform_input_iterator_tIbNSD_35transform_pair_of_input_iterators_tIbNS6_6detail15normal_iteratorINS6_10device_ptrIKiEEEESL_NS6_8equal_toIiEEEENSG_9not_fun_tINSD_8identityEEEEENSD_19counting_iterator_tIlEES8_S8_S8_S8_S8_S8_S8_S8_EEEEPS9_S9_NSD_9__find_if7functorIS9_EEEE10hipError_tPvRmT1_T2_T3_mT4_P12ihipStream_tbEUlT_E0_NS1_11comp_targetILNS1_3genE10ELNS1_11target_archE1201ELNS1_3gpuE5ELNS1_3repE0EEENS1_30default_config_static_selectorELNS0_4arch9wavefront6targetE0EEEvS14_,"axG",@progbits,_ZN7rocprim17ROCPRIM_400000_NS6detail17trampoline_kernelINS0_14default_configENS1_22reduce_config_selectorIN6thrust23THRUST_200600_302600_NS5tupleIblNS6_9null_typeES8_S8_S8_S8_S8_S8_S8_EEEEZNS1_11reduce_implILb1ES3_NS6_12zip_iteratorINS7_INS6_11hip_rocprim26transform_input_iterator_tIbNSD_35transform_pair_of_input_iterators_tIbNS6_6detail15normal_iteratorINS6_10device_ptrIKiEEEESL_NS6_8equal_toIiEEEENSG_9not_fun_tINSD_8identityEEEEENSD_19counting_iterator_tIlEES8_S8_S8_S8_S8_S8_S8_S8_EEEEPS9_S9_NSD_9__find_if7functorIS9_EEEE10hipError_tPvRmT1_T2_T3_mT4_P12ihipStream_tbEUlT_E0_NS1_11comp_targetILNS1_3genE10ELNS1_11target_archE1201ELNS1_3gpuE5ELNS1_3repE0EEENS1_30default_config_static_selectorELNS0_4arch9wavefront6targetE0EEEvS14_,comdat
	.protected	_ZN7rocprim17ROCPRIM_400000_NS6detail17trampoline_kernelINS0_14default_configENS1_22reduce_config_selectorIN6thrust23THRUST_200600_302600_NS5tupleIblNS6_9null_typeES8_S8_S8_S8_S8_S8_S8_EEEEZNS1_11reduce_implILb1ES3_NS6_12zip_iteratorINS7_INS6_11hip_rocprim26transform_input_iterator_tIbNSD_35transform_pair_of_input_iterators_tIbNS6_6detail15normal_iteratorINS6_10device_ptrIKiEEEESL_NS6_8equal_toIiEEEENSG_9not_fun_tINSD_8identityEEEEENSD_19counting_iterator_tIlEES8_S8_S8_S8_S8_S8_S8_S8_EEEEPS9_S9_NSD_9__find_if7functorIS9_EEEE10hipError_tPvRmT1_T2_T3_mT4_P12ihipStream_tbEUlT_E0_NS1_11comp_targetILNS1_3genE10ELNS1_11target_archE1201ELNS1_3gpuE5ELNS1_3repE0EEENS1_30default_config_static_selectorELNS0_4arch9wavefront6targetE0EEEvS14_ ; -- Begin function _ZN7rocprim17ROCPRIM_400000_NS6detail17trampoline_kernelINS0_14default_configENS1_22reduce_config_selectorIN6thrust23THRUST_200600_302600_NS5tupleIblNS6_9null_typeES8_S8_S8_S8_S8_S8_S8_EEEEZNS1_11reduce_implILb1ES3_NS6_12zip_iteratorINS7_INS6_11hip_rocprim26transform_input_iterator_tIbNSD_35transform_pair_of_input_iterators_tIbNS6_6detail15normal_iteratorINS6_10device_ptrIKiEEEESL_NS6_8equal_toIiEEEENSG_9not_fun_tINSD_8identityEEEEENSD_19counting_iterator_tIlEES8_S8_S8_S8_S8_S8_S8_S8_EEEEPS9_S9_NSD_9__find_if7functorIS9_EEEE10hipError_tPvRmT1_T2_T3_mT4_P12ihipStream_tbEUlT_E0_NS1_11comp_targetILNS1_3genE10ELNS1_11target_archE1201ELNS1_3gpuE5ELNS1_3repE0EEENS1_30default_config_static_selectorELNS0_4arch9wavefront6targetE0EEEvS14_
	.globl	_ZN7rocprim17ROCPRIM_400000_NS6detail17trampoline_kernelINS0_14default_configENS1_22reduce_config_selectorIN6thrust23THRUST_200600_302600_NS5tupleIblNS6_9null_typeES8_S8_S8_S8_S8_S8_S8_EEEEZNS1_11reduce_implILb1ES3_NS6_12zip_iteratorINS7_INS6_11hip_rocprim26transform_input_iterator_tIbNSD_35transform_pair_of_input_iterators_tIbNS6_6detail15normal_iteratorINS6_10device_ptrIKiEEEESL_NS6_8equal_toIiEEEENSG_9not_fun_tINSD_8identityEEEEENSD_19counting_iterator_tIlEES8_S8_S8_S8_S8_S8_S8_S8_EEEEPS9_S9_NSD_9__find_if7functorIS9_EEEE10hipError_tPvRmT1_T2_T3_mT4_P12ihipStream_tbEUlT_E0_NS1_11comp_targetILNS1_3genE10ELNS1_11target_archE1201ELNS1_3gpuE5ELNS1_3repE0EEENS1_30default_config_static_selectorELNS0_4arch9wavefront6targetE0EEEvS14_
	.p2align	8
	.type	_ZN7rocprim17ROCPRIM_400000_NS6detail17trampoline_kernelINS0_14default_configENS1_22reduce_config_selectorIN6thrust23THRUST_200600_302600_NS5tupleIblNS6_9null_typeES8_S8_S8_S8_S8_S8_S8_EEEEZNS1_11reduce_implILb1ES3_NS6_12zip_iteratorINS7_INS6_11hip_rocprim26transform_input_iterator_tIbNSD_35transform_pair_of_input_iterators_tIbNS6_6detail15normal_iteratorINS6_10device_ptrIKiEEEESL_NS6_8equal_toIiEEEENSG_9not_fun_tINSD_8identityEEEEENSD_19counting_iterator_tIlEES8_S8_S8_S8_S8_S8_S8_S8_EEEEPS9_S9_NSD_9__find_if7functorIS9_EEEE10hipError_tPvRmT1_T2_T3_mT4_P12ihipStream_tbEUlT_E0_NS1_11comp_targetILNS1_3genE10ELNS1_11target_archE1201ELNS1_3gpuE5ELNS1_3repE0EEENS1_30default_config_static_selectorELNS0_4arch9wavefront6targetE0EEEvS14_,@function
_ZN7rocprim17ROCPRIM_400000_NS6detail17trampoline_kernelINS0_14default_configENS1_22reduce_config_selectorIN6thrust23THRUST_200600_302600_NS5tupleIblNS6_9null_typeES8_S8_S8_S8_S8_S8_S8_EEEEZNS1_11reduce_implILb1ES3_NS6_12zip_iteratorINS7_INS6_11hip_rocprim26transform_input_iterator_tIbNSD_35transform_pair_of_input_iterators_tIbNS6_6detail15normal_iteratorINS6_10device_ptrIKiEEEESL_NS6_8equal_toIiEEEENSG_9not_fun_tINSD_8identityEEEEENSD_19counting_iterator_tIlEES8_S8_S8_S8_S8_S8_S8_S8_EEEEPS9_S9_NSD_9__find_if7functorIS9_EEEE10hipError_tPvRmT1_T2_T3_mT4_P12ihipStream_tbEUlT_E0_NS1_11comp_targetILNS1_3genE10ELNS1_11target_archE1201ELNS1_3gpuE5ELNS1_3repE0EEENS1_30default_config_static_selectorELNS0_4arch9wavefront6targetE0EEEvS14_: ; @_ZN7rocprim17ROCPRIM_400000_NS6detail17trampoline_kernelINS0_14default_configENS1_22reduce_config_selectorIN6thrust23THRUST_200600_302600_NS5tupleIblNS6_9null_typeES8_S8_S8_S8_S8_S8_S8_EEEEZNS1_11reduce_implILb1ES3_NS6_12zip_iteratorINS7_INS6_11hip_rocprim26transform_input_iterator_tIbNSD_35transform_pair_of_input_iterators_tIbNS6_6detail15normal_iteratorINS6_10device_ptrIKiEEEESL_NS6_8equal_toIiEEEENSG_9not_fun_tINSD_8identityEEEEENSD_19counting_iterator_tIlEES8_S8_S8_S8_S8_S8_S8_S8_EEEEPS9_S9_NSD_9__find_if7functorIS9_EEEE10hipError_tPvRmT1_T2_T3_mT4_P12ihipStream_tbEUlT_E0_NS1_11comp_targetILNS1_3genE10ELNS1_11target_archE1201ELNS1_3gpuE5ELNS1_3repE0EEENS1_30default_config_static_selectorELNS0_4arch9wavefront6targetE0EEEvS14_
; %bb.0:
	.section	.rodata,"a",@progbits
	.p2align	6, 0x0
	.amdhsa_kernel _ZN7rocprim17ROCPRIM_400000_NS6detail17trampoline_kernelINS0_14default_configENS1_22reduce_config_selectorIN6thrust23THRUST_200600_302600_NS5tupleIblNS6_9null_typeES8_S8_S8_S8_S8_S8_S8_EEEEZNS1_11reduce_implILb1ES3_NS6_12zip_iteratorINS7_INS6_11hip_rocprim26transform_input_iterator_tIbNSD_35transform_pair_of_input_iterators_tIbNS6_6detail15normal_iteratorINS6_10device_ptrIKiEEEESL_NS6_8equal_toIiEEEENSG_9not_fun_tINSD_8identityEEEEENSD_19counting_iterator_tIlEES8_S8_S8_S8_S8_S8_S8_S8_EEEEPS9_S9_NSD_9__find_if7functorIS9_EEEE10hipError_tPvRmT1_T2_T3_mT4_P12ihipStream_tbEUlT_E0_NS1_11comp_targetILNS1_3genE10ELNS1_11target_archE1201ELNS1_3gpuE5ELNS1_3repE0EEENS1_30default_config_static_selectorELNS0_4arch9wavefront6targetE0EEEvS14_
		.amdhsa_group_segment_fixed_size 0
		.amdhsa_private_segment_fixed_size 0
		.amdhsa_kernarg_size 104
		.amdhsa_user_sgpr_count 15
		.amdhsa_user_sgpr_dispatch_ptr 0
		.amdhsa_user_sgpr_queue_ptr 0
		.amdhsa_user_sgpr_kernarg_segment_ptr 1
		.amdhsa_user_sgpr_dispatch_id 0
		.amdhsa_user_sgpr_private_segment_size 0
		.amdhsa_wavefront_size32 1
		.amdhsa_uses_dynamic_stack 0
		.amdhsa_enable_private_segment 0
		.amdhsa_system_sgpr_workgroup_id_x 1
		.amdhsa_system_sgpr_workgroup_id_y 0
		.amdhsa_system_sgpr_workgroup_id_z 0
		.amdhsa_system_sgpr_workgroup_info 0
		.amdhsa_system_vgpr_workitem_id 0
		.amdhsa_next_free_vgpr 1
		.amdhsa_next_free_sgpr 1
		.amdhsa_reserve_vcc 0
		.amdhsa_float_round_mode_32 0
		.amdhsa_float_round_mode_16_64 0
		.amdhsa_float_denorm_mode_32 3
		.amdhsa_float_denorm_mode_16_64 3
		.amdhsa_dx10_clamp 1
		.amdhsa_ieee_mode 1
		.amdhsa_fp16_overflow 0
		.amdhsa_workgroup_processor_mode 1
		.amdhsa_memory_ordered 1
		.amdhsa_forward_progress 0
		.amdhsa_shared_vgpr_count 0
		.amdhsa_exception_fp_ieee_invalid_op 0
		.amdhsa_exception_fp_denorm_src 0
		.amdhsa_exception_fp_ieee_div_zero 0
		.amdhsa_exception_fp_ieee_overflow 0
		.amdhsa_exception_fp_ieee_underflow 0
		.amdhsa_exception_fp_ieee_inexact 0
		.amdhsa_exception_int_div_zero 0
	.end_amdhsa_kernel
	.section	.text._ZN7rocprim17ROCPRIM_400000_NS6detail17trampoline_kernelINS0_14default_configENS1_22reduce_config_selectorIN6thrust23THRUST_200600_302600_NS5tupleIblNS6_9null_typeES8_S8_S8_S8_S8_S8_S8_EEEEZNS1_11reduce_implILb1ES3_NS6_12zip_iteratorINS7_INS6_11hip_rocprim26transform_input_iterator_tIbNSD_35transform_pair_of_input_iterators_tIbNS6_6detail15normal_iteratorINS6_10device_ptrIKiEEEESL_NS6_8equal_toIiEEEENSG_9not_fun_tINSD_8identityEEEEENSD_19counting_iterator_tIlEES8_S8_S8_S8_S8_S8_S8_S8_EEEEPS9_S9_NSD_9__find_if7functorIS9_EEEE10hipError_tPvRmT1_T2_T3_mT4_P12ihipStream_tbEUlT_E0_NS1_11comp_targetILNS1_3genE10ELNS1_11target_archE1201ELNS1_3gpuE5ELNS1_3repE0EEENS1_30default_config_static_selectorELNS0_4arch9wavefront6targetE0EEEvS14_,"axG",@progbits,_ZN7rocprim17ROCPRIM_400000_NS6detail17trampoline_kernelINS0_14default_configENS1_22reduce_config_selectorIN6thrust23THRUST_200600_302600_NS5tupleIblNS6_9null_typeES8_S8_S8_S8_S8_S8_S8_EEEEZNS1_11reduce_implILb1ES3_NS6_12zip_iteratorINS7_INS6_11hip_rocprim26transform_input_iterator_tIbNSD_35transform_pair_of_input_iterators_tIbNS6_6detail15normal_iteratorINS6_10device_ptrIKiEEEESL_NS6_8equal_toIiEEEENSG_9not_fun_tINSD_8identityEEEEENSD_19counting_iterator_tIlEES8_S8_S8_S8_S8_S8_S8_S8_EEEEPS9_S9_NSD_9__find_if7functorIS9_EEEE10hipError_tPvRmT1_T2_T3_mT4_P12ihipStream_tbEUlT_E0_NS1_11comp_targetILNS1_3genE10ELNS1_11target_archE1201ELNS1_3gpuE5ELNS1_3repE0EEENS1_30default_config_static_selectorELNS0_4arch9wavefront6targetE0EEEvS14_,comdat
.Lfunc_end542:
	.size	_ZN7rocprim17ROCPRIM_400000_NS6detail17trampoline_kernelINS0_14default_configENS1_22reduce_config_selectorIN6thrust23THRUST_200600_302600_NS5tupleIblNS6_9null_typeES8_S8_S8_S8_S8_S8_S8_EEEEZNS1_11reduce_implILb1ES3_NS6_12zip_iteratorINS7_INS6_11hip_rocprim26transform_input_iterator_tIbNSD_35transform_pair_of_input_iterators_tIbNS6_6detail15normal_iteratorINS6_10device_ptrIKiEEEESL_NS6_8equal_toIiEEEENSG_9not_fun_tINSD_8identityEEEEENSD_19counting_iterator_tIlEES8_S8_S8_S8_S8_S8_S8_S8_EEEEPS9_S9_NSD_9__find_if7functorIS9_EEEE10hipError_tPvRmT1_T2_T3_mT4_P12ihipStream_tbEUlT_E0_NS1_11comp_targetILNS1_3genE10ELNS1_11target_archE1201ELNS1_3gpuE5ELNS1_3repE0EEENS1_30default_config_static_selectorELNS0_4arch9wavefront6targetE0EEEvS14_, .Lfunc_end542-_ZN7rocprim17ROCPRIM_400000_NS6detail17trampoline_kernelINS0_14default_configENS1_22reduce_config_selectorIN6thrust23THRUST_200600_302600_NS5tupleIblNS6_9null_typeES8_S8_S8_S8_S8_S8_S8_EEEEZNS1_11reduce_implILb1ES3_NS6_12zip_iteratorINS7_INS6_11hip_rocprim26transform_input_iterator_tIbNSD_35transform_pair_of_input_iterators_tIbNS6_6detail15normal_iteratorINS6_10device_ptrIKiEEEESL_NS6_8equal_toIiEEEENSG_9not_fun_tINSD_8identityEEEEENSD_19counting_iterator_tIlEES8_S8_S8_S8_S8_S8_S8_S8_EEEEPS9_S9_NSD_9__find_if7functorIS9_EEEE10hipError_tPvRmT1_T2_T3_mT4_P12ihipStream_tbEUlT_E0_NS1_11comp_targetILNS1_3genE10ELNS1_11target_archE1201ELNS1_3gpuE5ELNS1_3repE0EEENS1_30default_config_static_selectorELNS0_4arch9wavefront6targetE0EEEvS14_
                                        ; -- End function
	.section	.AMDGPU.csdata,"",@progbits
; Kernel info:
; codeLenInByte = 0
; NumSgprs: 0
; NumVgprs: 0
; ScratchSize: 0
; MemoryBound: 0
; FloatMode: 240
; IeeeMode: 1
; LDSByteSize: 0 bytes/workgroup (compile time only)
; SGPRBlocks: 0
; VGPRBlocks: 0
; NumSGPRsForWavesPerEU: 1
; NumVGPRsForWavesPerEU: 1
; Occupancy: 16
; WaveLimiterHint : 0
; COMPUTE_PGM_RSRC2:SCRATCH_EN: 0
; COMPUTE_PGM_RSRC2:USER_SGPR: 15
; COMPUTE_PGM_RSRC2:TRAP_HANDLER: 0
; COMPUTE_PGM_RSRC2:TGID_X_EN: 1
; COMPUTE_PGM_RSRC2:TGID_Y_EN: 0
; COMPUTE_PGM_RSRC2:TGID_Z_EN: 0
; COMPUTE_PGM_RSRC2:TIDIG_COMP_CNT: 0
	.section	.text._ZN7rocprim17ROCPRIM_400000_NS6detail17trampoline_kernelINS0_14default_configENS1_22reduce_config_selectorIN6thrust23THRUST_200600_302600_NS5tupleIblNS6_9null_typeES8_S8_S8_S8_S8_S8_S8_EEEEZNS1_11reduce_implILb1ES3_NS6_12zip_iteratorINS7_INS6_11hip_rocprim26transform_input_iterator_tIbNSD_35transform_pair_of_input_iterators_tIbNS6_6detail15normal_iteratorINS6_10device_ptrIKiEEEESL_NS6_8equal_toIiEEEENSG_9not_fun_tINSD_8identityEEEEENSD_19counting_iterator_tIlEES8_S8_S8_S8_S8_S8_S8_S8_EEEEPS9_S9_NSD_9__find_if7functorIS9_EEEE10hipError_tPvRmT1_T2_T3_mT4_P12ihipStream_tbEUlT_E0_NS1_11comp_targetILNS1_3genE10ELNS1_11target_archE1200ELNS1_3gpuE4ELNS1_3repE0EEENS1_30default_config_static_selectorELNS0_4arch9wavefront6targetE0EEEvS14_,"axG",@progbits,_ZN7rocprim17ROCPRIM_400000_NS6detail17trampoline_kernelINS0_14default_configENS1_22reduce_config_selectorIN6thrust23THRUST_200600_302600_NS5tupleIblNS6_9null_typeES8_S8_S8_S8_S8_S8_S8_EEEEZNS1_11reduce_implILb1ES3_NS6_12zip_iteratorINS7_INS6_11hip_rocprim26transform_input_iterator_tIbNSD_35transform_pair_of_input_iterators_tIbNS6_6detail15normal_iteratorINS6_10device_ptrIKiEEEESL_NS6_8equal_toIiEEEENSG_9not_fun_tINSD_8identityEEEEENSD_19counting_iterator_tIlEES8_S8_S8_S8_S8_S8_S8_S8_EEEEPS9_S9_NSD_9__find_if7functorIS9_EEEE10hipError_tPvRmT1_T2_T3_mT4_P12ihipStream_tbEUlT_E0_NS1_11comp_targetILNS1_3genE10ELNS1_11target_archE1200ELNS1_3gpuE4ELNS1_3repE0EEENS1_30default_config_static_selectorELNS0_4arch9wavefront6targetE0EEEvS14_,comdat
	.protected	_ZN7rocprim17ROCPRIM_400000_NS6detail17trampoline_kernelINS0_14default_configENS1_22reduce_config_selectorIN6thrust23THRUST_200600_302600_NS5tupleIblNS6_9null_typeES8_S8_S8_S8_S8_S8_S8_EEEEZNS1_11reduce_implILb1ES3_NS6_12zip_iteratorINS7_INS6_11hip_rocprim26transform_input_iterator_tIbNSD_35transform_pair_of_input_iterators_tIbNS6_6detail15normal_iteratorINS6_10device_ptrIKiEEEESL_NS6_8equal_toIiEEEENSG_9not_fun_tINSD_8identityEEEEENSD_19counting_iterator_tIlEES8_S8_S8_S8_S8_S8_S8_S8_EEEEPS9_S9_NSD_9__find_if7functorIS9_EEEE10hipError_tPvRmT1_T2_T3_mT4_P12ihipStream_tbEUlT_E0_NS1_11comp_targetILNS1_3genE10ELNS1_11target_archE1200ELNS1_3gpuE4ELNS1_3repE0EEENS1_30default_config_static_selectorELNS0_4arch9wavefront6targetE0EEEvS14_ ; -- Begin function _ZN7rocprim17ROCPRIM_400000_NS6detail17trampoline_kernelINS0_14default_configENS1_22reduce_config_selectorIN6thrust23THRUST_200600_302600_NS5tupleIblNS6_9null_typeES8_S8_S8_S8_S8_S8_S8_EEEEZNS1_11reduce_implILb1ES3_NS6_12zip_iteratorINS7_INS6_11hip_rocprim26transform_input_iterator_tIbNSD_35transform_pair_of_input_iterators_tIbNS6_6detail15normal_iteratorINS6_10device_ptrIKiEEEESL_NS6_8equal_toIiEEEENSG_9not_fun_tINSD_8identityEEEEENSD_19counting_iterator_tIlEES8_S8_S8_S8_S8_S8_S8_S8_EEEEPS9_S9_NSD_9__find_if7functorIS9_EEEE10hipError_tPvRmT1_T2_T3_mT4_P12ihipStream_tbEUlT_E0_NS1_11comp_targetILNS1_3genE10ELNS1_11target_archE1200ELNS1_3gpuE4ELNS1_3repE0EEENS1_30default_config_static_selectorELNS0_4arch9wavefront6targetE0EEEvS14_
	.globl	_ZN7rocprim17ROCPRIM_400000_NS6detail17trampoline_kernelINS0_14default_configENS1_22reduce_config_selectorIN6thrust23THRUST_200600_302600_NS5tupleIblNS6_9null_typeES8_S8_S8_S8_S8_S8_S8_EEEEZNS1_11reduce_implILb1ES3_NS6_12zip_iteratorINS7_INS6_11hip_rocprim26transform_input_iterator_tIbNSD_35transform_pair_of_input_iterators_tIbNS6_6detail15normal_iteratorINS6_10device_ptrIKiEEEESL_NS6_8equal_toIiEEEENSG_9not_fun_tINSD_8identityEEEEENSD_19counting_iterator_tIlEES8_S8_S8_S8_S8_S8_S8_S8_EEEEPS9_S9_NSD_9__find_if7functorIS9_EEEE10hipError_tPvRmT1_T2_T3_mT4_P12ihipStream_tbEUlT_E0_NS1_11comp_targetILNS1_3genE10ELNS1_11target_archE1200ELNS1_3gpuE4ELNS1_3repE0EEENS1_30default_config_static_selectorELNS0_4arch9wavefront6targetE0EEEvS14_
	.p2align	8
	.type	_ZN7rocprim17ROCPRIM_400000_NS6detail17trampoline_kernelINS0_14default_configENS1_22reduce_config_selectorIN6thrust23THRUST_200600_302600_NS5tupleIblNS6_9null_typeES8_S8_S8_S8_S8_S8_S8_EEEEZNS1_11reduce_implILb1ES3_NS6_12zip_iteratorINS7_INS6_11hip_rocprim26transform_input_iterator_tIbNSD_35transform_pair_of_input_iterators_tIbNS6_6detail15normal_iteratorINS6_10device_ptrIKiEEEESL_NS6_8equal_toIiEEEENSG_9not_fun_tINSD_8identityEEEEENSD_19counting_iterator_tIlEES8_S8_S8_S8_S8_S8_S8_S8_EEEEPS9_S9_NSD_9__find_if7functorIS9_EEEE10hipError_tPvRmT1_T2_T3_mT4_P12ihipStream_tbEUlT_E0_NS1_11comp_targetILNS1_3genE10ELNS1_11target_archE1200ELNS1_3gpuE4ELNS1_3repE0EEENS1_30default_config_static_selectorELNS0_4arch9wavefront6targetE0EEEvS14_,@function
_ZN7rocprim17ROCPRIM_400000_NS6detail17trampoline_kernelINS0_14default_configENS1_22reduce_config_selectorIN6thrust23THRUST_200600_302600_NS5tupleIblNS6_9null_typeES8_S8_S8_S8_S8_S8_S8_EEEEZNS1_11reduce_implILb1ES3_NS6_12zip_iteratorINS7_INS6_11hip_rocprim26transform_input_iterator_tIbNSD_35transform_pair_of_input_iterators_tIbNS6_6detail15normal_iteratorINS6_10device_ptrIKiEEEESL_NS6_8equal_toIiEEEENSG_9not_fun_tINSD_8identityEEEEENSD_19counting_iterator_tIlEES8_S8_S8_S8_S8_S8_S8_S8_EEEEPS9_S9_NSD_9__find_if7functorIS9_EEEE10hipError_tPvRmT1_T2_T3_mT4_P12ihipStream_tbEUlT_E0_NS1_11comp_targetILNS1_3genE10ELNS1_11target_archE1200ELNS1_3gpuE4ELNS1_3repE0EEENS1_30default_config_static_selectorELNS0_4arch9wavefront6targetE0EEEvS14_: ; @_ZN7rocprim17ROCPRIM_400000_NS6detail17trampoline_kernelINS0_14default_configENS1_22reduce_config_selectorIN6thrust23THRUST_200600_302600_NS5tupleIblNS6_9null_typeES8_S8_S8_S8_S8_S8_S8_EEEEZNS1_11reduce_implILb1ES3_NS6_12zip_iteratorINS7_INS6_11hip_rocprim26transform_input_iterator_tIbNSD_35transform_pair_of_input_iterators_tIbNS6_6detail15normal_iteratorINS6_10device_ptrIKiEEEESL_NS6_8equal_toIiEEEENSG_9not_fun_tINSD_8identityEEEEENSD_19counting_iterator_tIlEES8_S8_S8_S8_S8_S8_S8_S8_EEEEPS9_S9_NSD_9__find_if7functorIS9_EEEE10hipError_tPvRmT1_T2_T3_mT4_P12ihipStream_tbEUlT_E0_NS1_11comp_targetILNS1_3genE10ELNS1_11target_archE1200ELNS1_3gpuE4ELNS1_3repE0EEENS1_30default_config_static_selectorELNS0_4arch9wavefront6targetE0EEEvS14_
; %bb.0:
	.section	.rodata,"a",@progbits
	.p2align	6, 0x0
	.amdhsa_kernel _ZN7rocprim17ROCPRIM_400000_NS6detail17trampoline_kernelINS0_14default_configENS1_22reduce_config_selectorIN6thrust23THRUST_200600_302600_NS5tupleIblNS6_9null_typeES8_S8_S8_S8_S8_S8_S8_EEEEZNS1_11reduce_implILb1ES3_NS6_12zip_iteratorINS7_INS6_11hip_rocprim26transform_input_iterator_tIbNSD_35transform_pair_of_input_iterators_tIbNS6_6detail15normal_iteratorINS6_10device_ptrIKiEEEESL_NS6_8equal_toIiEEEENSG_9not_fun_tINSD_8identityEEEEENSD_19counting_iterator_tIlEES8_S8_S8_S8_S8_S8_S8_S8_EEEEPS9_S9_NSD_9__find_if7functorIS9_EEEE10hipError_tPvRmT1_T2_T3_mT4_P12ihipStream_tbEUlT_E0_NS1_11comp_targetILNS1_3genE10ELNS1_11target_archE1200ELNS1_3gpuE4ELNS1_3repE0EEENS1_30default_config_static_selectorELNS0_4arch9wavefront6targetE0EEEvS14_
		.amdhsa_group_segment_fixed_size 0
		.amdhsa_private_segment_fixed_size 0
		.amdhsa_kernarg_size 104
		.amdhsa_user_sgpr_count 15
		.amdhsa_user_sgpr_dispatch_ptr 0
		.amdhsa_user_sgpr_queue_ptr 0
		.amdhsa_user_sgpr_kernarg_segment_ptr 1
		.amdhsa_user_sgpr_dispatch_id 0
		.amdhsa_user_sgpr_private_segment_size 0
		.amdhsa_wavefront_size32 1
		.amdhsa_uses_dynamic_stack 0
		.amdhsa_enable_private_segment 0
		.amdhsa_system_sgpr_workgroup_id_x 1
		.amdhsa_system_sgpr_workgroup_id_y 0
		.amdhsa_system_sgpr_workgroup_id_z 0
		.amdhsa_system_sgpr_workgroup_info 0
		.amdhsa_system_vgpr_workitem_id 0
		.amdhsa_next_free_vgpr 1
		.amdhsa_next_free_sgpr 1
		.amdhsa_reserve_vcc 0
		.amdhsa_float_round_mode_32 0
		.amdhsa_float_round_mode_16_64 0
		.amdhsa_float_denorm_mode_32 3
		.amdhsa_float_denorm_mode_16_64 3
		.amdhsa_dx10_clamp 1
		.amdhsa_ieee_mode 1
		.amdhsa_fp16_overflow 0
		.amdhsa_workgroup_processor_mode 1
		.amdhsa_memory_ordered 1
		.amdhsa_forward_progress 0
		.amdhsa_shared_vgpr_count 0
		.amdhsa_exception_fp_ieee_invalid_op 0
		.amdhsa_exception_fp_denorm_src 0
		.amdhsa_exception_fp_ieee_div_zero 0
		.amdhsa_exception_fp_ieee_overflow 0
		.amdhsa_exception_fp_ieee_underflow 0
		.amdhsa_exception_fp_ieee_inexact 0
		.amdhsa_exception_int_div_zero 0
	.end_amdhsa_kernel
	.section	.text._ZN7rocprim17ROCPRIM_400000_NS6detail17trampoline_kernelINS0_14default_configENS1_22reduce_config_selectorIN6thrust23THRUST_200600_302600_NS5tupleIblNS6_9null_typeES8_S8_S8_S8_S8_S8_S8_EEEEZNS1_11reduce_implILb1ES3_NS6_12zip_iteratorINS7_INS6_11hip_rocprim26transform_input_iterator_tIbNSD_35transform_pair_of_input_iterators_tIbNS6_6detail15normal_iteratorINS6_10device_ptrIKiEEEESL_NS6_8equal_toIiEEEENSG_9not_fun_tINSD_8identityEEEEENSD_19counting_iterator_tIlEES8_S8_S8_S8_S8_S8_S8_S8_EEEEPS9_S9_NSD_9__find_if7functorIS9_EEEE10hipError_tPvRmT1_T2_T3_mT4_P12ihipStream_tbEUlT_E0_NS1_11comp_targetILNS1_3genE10ELNS1_11target_archE1200ELNS1_3gpuE4ELNS1_3repE0EEENS1_30default_config_static_selectorELNS0_4arch9wavefront6targetE0EEEvS14_,"axG",@progbits,_ZN7rocprim17ROCPRIM_400000_NS6detail17trampoline_kernelINS0_14default_configENS1_22reduce_config_selectorIN6thrust23THRUST_200600_302600_NS5tupleIblNS6_9null_typeES8_S8_S8_S8_S8_S8_S8_EEEEZNS1_11reduce_implILb1ES3_NS6_12zip_iteratorINS7_INS6_11hip_rocprim26transform_input_iterator_tIbNSD_35transform_pair_of_input_iterators_tIbNS6_6detail15normal_iteratorINS6_10device_ptrIKiEEEESL_NS6_8equal_toIiEEEENSG_9not_fun_tINSD_8identityEEEEENSD_19counting_iterator_tIlEES8_S8_S8_S8_S8_S8_S8_S8_EEEEPS9_S9_NSD_9__find_if7functorIS9_EEEE10hipError_tPvRmT1_T2_T3_mT4_P12ihipStream_tbEUlT_E0_NS1_11comp_targetILNS1_3genE10ELNS1_11target_archE1200ELNS1_3gpuE4ELNS1_3repE0EEENS1_30default_config_static_selectorELNS0_4arch9wavefront6targetE0EEEvS14_,comdat
.Lfunc_end543:
	.size	_ZN7rocprim17ROCPRIM_400000_NS6detail17trampoline_kernelINS0_14default_configENS1_22reduce_config_selectorIN6thrust23THRUST_200600_302600_NS5tupleIblNS6_9null_typeES8_S8_S8_S8_S8_S8_S8_EEEEZNS1_11reduce_implILb1ES3_NS6_12zip_iteratorINS7_INS6_11hip_rocprim26transform_input_iterator_tIbNSD_35transform_pair_of_input_iterators_tIbNS6_6detail15normal_iteratorINS6_10device_ptrIKiEEEESL_NS6_8equal_toIiEEEENSG_9not_fun_tINSD_8identityEEEEENSD_19counting_iterator_tIlEES8_S8_S8_S8_S8_S8_S8_S8_EEEEPS9_S9_NSD_9__find_if7functorIS9_EEEE10hipError_tPvRmT1_T2_T3_mT4_P12ihipStream_tbEUlT_E0_NS1_11comp_targetILNS1_3genE10ELNS1_11target_archE1200ELNS1_3gpuE4ELNS1_3repE0EEENS1_30default_config_static_selectorELNS0_4arch9wavefront6targetE0EEEvS14_, .Lfunc_end543-_ZN7rocprim17ROCPRIM_400000_NS6detail17trampoline_kernelINS0_14default_configENS1_22reduce_config_selectorIN6thrust23THRUST_200600_302600_NS5tupleIblNS6_9null_typeES8_S8_S8_S8_S8_S8_S8_EEEEZNS1_11reduce_implILb1ES3_NS6_12zip_iteratorINS7_INS6_11hip_rocprim26transform_input_iterator_tIbNSD_35transform_pair_of_input_iterators_tIbNS6_6detail15normal_iteratorINS6_10device_ptrIKiEEEESL_NS6_8equal_toIiEEEENSG_9not_fun_tINSD_8identityEEEEENSD_19counting_iterator_tIlEES8_S8_S8_S8_S8_S8_S8_S8_EEEEPS9_S9_NSD_9__find_if7functorIS9_EEEE10hipError_tPvRmT1_T2_T3_mT4_P12ihipStream_tbEUlT_E0_NS1_11comp_targetILNS1_3genE10ELNS1_11target_archE1200ELNS1_3gpuE4ELNS1_3repE0EEENS1_30default_config_static_selectorELNS0_4arch9wavefront6targetE0EEEvS14_
                                        ; -- End function
	.section	.AMDGPU.csdata,"",@progbits
; Kernel info:
; codeLenInByte = 0
; NumSgprs: 0
; NumVgprs: 0
; ScratchSize: 0
; MemoryBound: 0
; FloatMode: 240
; IeeeMode: 1
; LDSByteSize: 0 bytes/workgroup (compile time only)
; SGPRBlocks: 0
; VGPRBlocks: 0
; NumSGPRsForWavesPerEU: 1
; NumVGPRsForWavesPerEU: 1
; Occupancy: 16
; WaveLimiterHint : 0
; COMPUTE_PGM_RSRC2:SCRATCH_EN: 0
; COMPUTE_PGM_RSRC2:USER_SGPR: 15
; COMPUTE_PGM_RSRC2:TRAP_HANDLER: 0
; COMPUTE_PGM_RSRC2:TGID_X_EN: 1
; COMPUTE_PGM_RSRC2:TGID_Y_EN: 0
; COMPUTE_PGM_RSRC2:TGID_Z_EN: 0
; COMPUTE_PGM_RSRC2:TIDIG_COMP_CNT: 0
	.section	.text._ZN7rocprim17ROCPRIM_400000_NS6detail17trampoline_kernelINS0_14default_configENS1_22reduce_config_selectorIN6thrust23THRUST_200600_302600_NS5tupleIblNS6_9null_typeES8_S8_S8_S8_S8_S8_S8_EEEEZNS1_11reduce_implILb1ES3_NS6_12zip_iteratorINS7_INS6_11hip_rocprim26transform_input_iterator_tIbNSD_35transform_pair_of_input_iterators_tIbNS6_6detail15normal_iteratorINS6_10device_ptrIKiEEEESL_NS6_8equal_toIiEEEENSG_9not_fun_tINSD_8identityEEEEENSD_19counting_iterator_tIlEES8_S8_S8_S8_S8_S8_S8_S8_EEEEPS9_S9_NSD_9__find_if7functorIS9_EEEE10hipError_tPvRmT1_T2_T3_mT4_P12ihipStream_tbEUlT_E0_NS1_11comp_targetILNS1_3genE9ELNS1_11target_archE1100ELNS1_3gpuE3ELNS1_3repE0EEENS1_30default_config_static_selectorELNS0_4arch9wavefront6targetE0EEEvS14_,"axG",@progbits,_ZN7rocprim17ROCPRIM_400000_NS6detail17trampoline_kernelINS0_14default_configENS1_22reduce_config_selectorIN6thrust23THRUST_200600_302600_NS5tupleIblNS6_9null_typeES8_S8_S8_S8_S8_S8_S8_EEEEZNS1_11reduce_implILb1ES3_NS6_12zip_iteratorINS7_INS6_11hip_rocprim26transform_input_iterator_tIbNSD_35transform_pair_of_input_iterators_tIbNS6_6detail15normal_iteratorINS6_10device_ptrIKiEEEESL_NS6_8equal_toIiEEEENSG_9not_fun_tINSD_8identityEEEEENSD_19counting_iterator_tIlEES8_S8_S8_S8_S8_S8_S8_S8_EEEEPS9_S9_NSD_9__find_if7functorIS9_EEEE10hipError_tPvRmT1_T2_T3_mT4_P12ihipStream_tbEUlT_E0_NS1_11comp_targetILNS1_3genE9ELNS1_11target_archE1100ELNS1_3gpuE3ELNS1_3repE0EEENS1_30default_config_static_selectorELNS0_4arch9wavefront6targetE0EEEvS14_,comdat
	.protected	_ZN7rocprim17ROCPRIM_400000_NS6detail17trampoline_kernelINS0_14default_configENS1_22reduce_config_selectorIN6thrust23THRUST_200600_302600_NS5tupleIblNS6_9null_typeES8_S8_S8_S8_S8_S8_S8_EEEEZNS1_11reduce_implILb1ES3_NS6_12zip_iteratorINS7_INS6_11hip_rocprim26transform_input_iterator_tIbNSD_35transform_pair_of_input_iterators_tIbNS6_6detail15normal_iteratorINS6_10device_ptrIKiEEEESL_NS6_8equal_toIiEEEENSG_9not_fun_tINSD_8identityEEEEENSD_19counting_iterator_tIlEES8_S8_S8_S8_S8_S8_S8_S8_EEEEPS9_S9_NSD_9__find_if7functorIS9_EEEE10hipError_tPvRmT1_T2_T3_mT4_P12ihipStream_tbEUlT_E0_NS1_11comp_targetILNS1_3genE9ELNS1_11target_archE1100ELNS1_3gpuE3ELNS1_3repE0EEENS1_30default_config_static_selectorELNS0_4arch9wavefront6targetE0EEEvS14_ ; -- Begin function _ZN7rocprim17ROCPRIM_400000_NS6detail17trampoline_kernelINS0_14default_configENS1_22reduce_config_selectorIN6thrust23THRUST_200600_302600_NS5tupleIblNS6_9null_typeES8_S8_S8_S8_S8_S8_S8_EEEEZNS1_11reduce_implILb1ES3_NS6_12zip_iteratorINS7_INS6_11hip_rocprim26transform_input_iterator_tIbNSD_35transform_pair_of_input_iterators_tIbNS6_6detail15normal_iteratorINS6_10device_ptrIKiEEEESL_NS6_8equal_toIiEEEENSG_9not_fun_tINSD_8identityEEEEENSD_19counting_iterator_tIlEES8_S8_S8_S8_S8_S8_S8_S8_EEEEPS9_S9_NSD_9__find_if7functorIS9_EEEE10hipError_tPvRmT1_T2_T3_mT4_P12ihipStream_tbEUlT_E0_NS1_11comp_targetILNS1_3genE9ELNS1_11target_archE1100ELNS1_3gpuE3ELNS1_3repE0EEENS1_30default_config_static_selectorELNS0_4arch9wavefront6targetE0EEEvS14_
	.globl	_ZN7rocprim17ROCPRIM_400000_NS6detail17trampoline_kernelINS0_14default_configENS1_22reduce_config_selectorIN6thrust23THRUST_200600_302600_NS5tupleIblNS6_9null_typeES8_S8_S8_S8_S8_S8_S8_EEEEZNS1_11reduce_implILb1ES3_NS6_12zip_iteratorINS7_INS6_11hip_rocprim26transform_input_iterator_tIbNSD_35transform_pair_of_input_iterators_tIbNS6_6detail15normal_iteratorINS6_10device_ptrIKiEEEESL_NS6_8equal_toIiEEEENSG_9not_fun_tINSD_8identityEEEEENSD_19counting_iterator_tIlEES8_S8_S8_S8_S8_S8_S8_S8_EEEEPS9_S9_NSD_9__find_if7functorIS9_EEEE10hipError_tPvRmT1_T2_T3_mT4_P12ihipStream_tbEUlT_E0_NS1_11comp_targetILNS1_3genE9ELNS1_11target_archE1100ELNS1_3gpuE3ELNS1_3repE0EEENS1_30default_config_static_selectorELNS0_4arch9wavefront6targetE0EEEvS14_
	.p2align	8
	.type	_ZN7rocprim17ROCPRIM_400000_NS6detail17trampoline_kernelINS0_14default_configENS1_22reduce_config_selectorIN6thrust23THRUST_200600_302600_NS5tupleIblNS6_9null_typeES8_S8_S8_S8_S8_S8_S8_EEEEZNS1_11reduce_implILb1ES3_NS6_12zip_iteratorINS7_INS6_11hip_rocprim26transform_input_iterator_tIbNSD_35transform_pair_of_input_iterators_tIbNS6_6detail15normal_iteratorINS6_10device_ptrIKiEEEESL_NS6_8equal_toIiEEEENSG_9not_fun_tINSD_8identityEEEEENSD_19counting_iterator_tIlEES8_S8_S8_S8_S8_S8_S8_S8_EEEEPS9_S9_NSD_9__find_if7functorIS9_EEEE10hipError_tPvRmT1_T2_T3_mT4_P12ihipStream_tbEUlT_E0_NS1_11comp_targetILNS1_3genE9ELNS1_11target_archE1100ELNS1_3gpuE3ELNS1_3repE0EEENS1_30default_config_static_selectorELNS0_4arch9wavefront6targetE0EEEvS14_,@function
_ZN7rocprim17ROCPRIM_400000_NS6detail17trampoline_kernelINS0_14default_configENS1_22reduce_config_selectorIN6thrust23THRUST_200600_302600_NS5tupleIblNS6_9null_typeES8_S8_S8_S8_S8_S8_S8_EEEEZNS1_11reduce_implILb1ES3_NS6_12zip_iteratorINS7_INS6_11hip_rocprim26transform_input_iterator_tIbNSD_35transform_pair_of_input_iterators_tIbNS6_6detail15normal_iteratorINS6_10device_ptrIKiEEEESL_NS6_8equal_toIiEEEENSG_9not_fun_tINSD_8identityEEEEENSD_19counting_iterator_tIlEES8_S8_S8_S8_S8_S8_S8_S8_EEEEPS9_S9_NSD_9__find_if7functorIS9_EEEE10hipError_tPvRmT1_T2_T3_mT4_P12ihipStream_tbEUlT_E0_NS1_11comp_targetILNS1_3genE9ELNS1_11target_archE1100ELNS1_3gpuE3ELNS1_3repE0EEENS1_30default_config_static_selectorELNS0_4arch9wavefront6targetE0EEEvS14_: ; @_ZN7rocprim17ROCPRIM_400000_NS6detail17trampoline_kernelINS0_14default_configENS1_22reduce_config_selectorIN6thrust23THRUST_200600_302600_NS5tupleIblNS6_9null_typeES8_S8_S8_S8_S8_S8_S8_EEEEZNS1_11reduce_implILb1ES3_NS6_12zip_iteratorINS7_INS6_11hip_rocprim26transform_input_iterator_tIbNSD_35transform_pair_of_input_iterators_tIbNS6_6detail15normal_iteratorINS6_10device_ptrIKiEEEESL_NS6_8equal_toIiEEEENSG_9not_fun_tINSD_8identityEEEEENSD_19counting_iterator_tIlEES8_S8_S8_S8_S8_S8_S8_S8_EEEEPS9_S9_NSD_9__find_if7functorIS9_EEEE10hipError_tPvRmT1_T2_T3_mT4_P12ihipStream_tbEUlT_E0_NS1_11comp_targetILNS1_3genE9ELNS1_11target_archE1100ELNS1_3gpuE3ELNS1_3repE0EEENS1_30default_config_static_selectorELNS0_4arch9wavefront6targetE0EEEvS14_
; %bb.0:
	s_clause 0x1
	s_load_b256 s[4:11], s[0:1], 0x20
	s_load_b128 s[24:27], s[0:1], 0x0
	s_mov_b32 s16, s15
	s_load_b128 s[12:15], s[0:1], 0x40
	s_mov_b32 s23, 0
	v_lshlrev_b32_e32 v9, 2, v0
	s_mov_b32 s17, s23
	s_waitcnt lgkmcnt(0)
	s_lshl_b64 s[2:3], s[6:7], 2
	s_delay_alu instid0(SALU_CYCLE_1)
	s_add_u32 s18, s24, s2
	s_addc_u32 s19, s25, s3
	s_add_u32 s20, s26, s2
	s_addc_u32 s21, s27, s3
	s_lshl_b32 s22, s16, 10
	s_lshr_b64 s[24:25], s[8:9], 10
	s_lshl_b64 s[2:3], s[22:23], 2
	s_delay_alu instid0(SALU_CYCLE_1)
	s_add_u32 s18, s18, s2
	s_addc_u32 s19, s19, s3
	s_add_u32 s20, s20, s2
	s_addc_u32 s21, s21, s3
	;; [unrolled: 2-line block ×4, first 2 shown]
	s_cmp_lg_u64 s[24:25], s[16:17]
	s_cbranch_scc0 .LBB544_16
; %bb.1:
	s_clause 0x7
	global_load_b32 v1, v9, s[20:21] offset:1024
	global_load_b32 v2, v9, s[18:19] offset:1024
	global_load_b32 v3, v9, s[18:19]
	global_load_b32 v4, v9, s[20:21]
	global_load_b32 v5, v9, s[18:19] offset:2048
	global_load_b32 v6, v9, s[20:21] offset:2048
	global_load_b32 v7, v9, s[20:21] offset:3072
	global_load_b32 v8, v9, s[18:19] offset:3072
	v_mov_b32_e32 v10, 0x100
	s_waitcnt vmcnt(6)
	v_cmp_ne_u32_e32 vcc_lo, v2, v1
	s_waitcnt vmcnt(4)
	v_cmp_ne_u32_e64 s2, v3, v4
	s_waitcnt vmcnt(2)
	v_cmp_ne_u32_e64 s3, v5, v6
	v_cndmask_b32_e32 v1, 0x200, v10, vcc_lo
	s_waitcnt vmcnt(0)
	v_cmp_ne_u32_e64 s4, v8, v7
	s_delay_alu instid0(VALU_DEP_2) | instskip(SKIP_1) | instid1(SALU_CYCLE_1)
	v_cndmask_b32_e64 v1, v1, 0, s2
	s_or_b32 s2, s2, vcc_lo
	s_or_b32 vcc_lo, s2, s3
	v_add_co_u32 v2, s2, s5, v0
	s_delay_alu instid0(VALU_DEP_2) | instskip(SKIP_3) | instid1(VALU_DEP_3)
	v_cndmask_b32_e32 v1, 0x300, v1, vcc_lo
	s_or_b32 s3, vcc_lo, s4
	v_add_co_ci_u32_e64 v3, null, s23, 0, s2
	v_cndmask_b32_e64 v5, 0, 1, s3
	v_add_co_u32 v1, vcc_lo, v2, v1
	s_delay_alu instid0(VALU_DEP_3) | instskip(NEXT) | instid1(VALU_DEP_3)
	v_add_co_ci_u32_e32 v2, vcc_lo, 0, v3, vcc_lo
	v_mov_b32_dpp v6, v5 quad_perm:[1,0,3,2] row_mask:0xf bank_mask:0xf
	s_delay_alu instid0(VALU_DEP_3) | instskip(SKIP_1) | instid1(VALU_DEP_3)
	v_mov_b32_dpp v3, v1 quad_perm:[1,0,3,2] row_mask:0xf bank_mask:0xf
	s_mov_b32 s4, exec_lo
	v_mov_b32_dpp v4, v2 quad_perm:[1,0,3,2] row_mask:0xf bank_mask:0xf
	s_delay_alu instid0(VALU_DEP_3) | instskip(NEXT) | instid1(VALU_DEP_1)
	v_and_b32_e32 v7, 1, v6
	v_cmpx_eq_u32_e32 1, v7
; %bb.2:
	v_cndmask_b32_e64 v5, v6, 1, s3
	s_delay_alu instid0(VALU_DEP_4) | instskip(NEXT) | instid1(VALU_DEP_2)
	v_cmp_lt_i64_e32 vcc_lo, v[1:2], v[3:4]
	v_and_b32_e32 v6, 1, v5
	v_and_b32_e32 v5, 0xff, v5
	s_and_b32 vcc_lo, s3, vcc_lo
	s_and_not1_b32 s3, s3, exec_lo
	v_dual_cndmask_b32 v2, v4, v2 :: v_dual_cndmask_b32 v1, v3, v1
	v_cmp_eq_u32_e64 s2, 1, v6
	s_delay_alu instid0(VALU_DEP_1) | instskip(NEXT) | instid1(SALU_CYCLE_1)
	s_and_b32 s2, s2, exec_lo
	s_or_b32 s3, s3, s2
; %bb.3:
	s_or_b32 exec_lo, exec_lo, s4
	v_mov_b32_dpp v6, v5 quad_perm:[2,3,0,1] row_mask:0xf bank_mask:0xf
	v_mov_b32_dpp v3, v1 quad_perm:[2,3,0,1] row_mask:0xf bank_mask:0xf
	;; [unrolled: 1-line block ×3, first 2 shown]
	s_mov_b32 s4, exec_lo
	s_delay_alu instid0(VALU_DEP_3) | instskip(NEXT) | instid1(VALU_DEP_1)
	v_and_b32_e32 v7, 1, v6
	v_cmpx_eq_u32_e32 1, v7
; %bb.4:
	v_cndmask_b32_e64 v5, v6, 1, s3
	v_cmp_lt_i64_e32 vcc_lo, v[1:2], v[3:4]
	s_delay_alu instid0(VALU_DEP_2)
	v_and_b32_e32 v6, 1, v5
	v_and_b32_e32 v5, 0xff, v5
	s_and_b32 vcc_lo, s3, vcc_lo
	s_and_not1_b32 s3, s3, exec_lo
	v_dual_cndmask_b32 v2, v4, v2 :: v_dual_cndmask_b32 v1, v3, v1
	v_cmp_eq_u32_e64 s2, 1, v6
	s_delay_alu instid0(VALU_DEP_1) | instskip(NEXT) | instid1(SALU_CYCLE_1)
	s_and_b32 s2, s2, exec_lo
	s_or_b32 s3, s3, s2
; %bb.5:
	s_or_b32 exec_lo, exec_lo, s4
	v_mov_b32_dpp v6, v5 row_ror:4 row_mask:0xf bank_mask:0xf
	v_mov_b32_dpp v3, v1 row_ror:4 row_mask:0xf bank_mask:0xf
	;; [unrolled: 1-line block ×3, first 2 shown]
	s_mov_b32 s4, exec_lo
	s_delay_alu instid0(VALU_DEP_3) | instskip(NEXT) | instid1(VALU_DEP_1)
	v_and_b32_e32 v7, 1, v6
	v_cmpx_eq_u32_e32 1, v7
; %bb.6:
	v_cndmask_b32_e64 v5, v6, 1, s3
	v_cmp_lt_i64_e32 vcc_lo, v[1:2], v[3:4]
	s_delay_alu instid0(VALU_DEP_2)
	v_and_b32_e32 v6, 1, v5
	v_and_b32_e32 v5, 0xff, v5
	s_and_b32 vcc_lo, s3, vcc_lo
	s_and_not1_b32 s3, s3, exec_lo
	v_dual_cndmask_b32 v2, v4, v2 :: v_dual_cndmask_b32 v1, v3, v1
	v_cmp_eq_u32_e64 s2, 1, v6
	s_delay_alu instid0(VALU_DEP_1) | instskip(NEXT) | instid1(SALU_CYCLE_1)
	s_and_b32 s2, s2, exec_lo
	s_or_b32 s3, s3, s2
; %bb.7:
	s_or_b32 exec_lo, exec_lo, s4
	v_mov_b32_dpp v6, v5 row_ror:8 row_mask:0xf bank_mask:0xf
	v_mov_b32_dpp v3, v1 row_ror:8 row_mask:0xf bank_mask:0xf
	;; [unrolled: 1-line block ×3, first 2 shown]
	s_mov_b32 s4, exec_lo
	s_delay_alu instid0(VALU_DEP_3) | instskip(NEXT) | instid1(VALU_DEP_1)
	v_and_b32_e32 v7, 1, v6
	v_cmpx_eq_u32_e32 1, v7
; %bb.8:
	v_cndmask_b32_e64 v5, v6, 1, s3
	v_cmp_lt_i64_e32 vcc_lo, v[1:2], v[3:4]
	s_delay_alu instid0(VALU_DEP_2)
	v_and_b32_e32 v6, 1, v5
	v_and_b32_e32 v5, 0xff, v5
	s_and_b32 vcc_lo, s3, vcc_lo
	s_and_not1_b32 s3, s3, exec_lo
	v_dual_cndmask_b32 v2, v4, v2 :: v_dual_cndmask_b32 v1, v3, v1
	v_cmp_eq_u32_e64 s2, 1, v6
	s_delay_alu instid0(VALU_DEP_1) | instskip(NEXT) | instid1(SALU_CYCLE_1)
	s_and_b32 s2, s2, exec_lo
	s_or_b32 s3, s3, s2
; %bb.9:
	s_or_b32 exec_lo, exec_lo, s4
	ds_swizzle_b32 v6, v5 offset:swizzle(BROADCAST,32,15)
	ds_swizzle_b32 v3, v1 offset:swizzle(BROADCAST,32,15)
	ds_swizzle_b32 v4, v2 offset:swizzle(BROADCAST,32,15)
	s_mov_b32 s2, exec_lo
	s_waitcnt lgkmcnt(2)
	v_and_b32_e32 v7, 1, v6
	s_delay_alu instid0(VALU_DEP_1)
	v_cmpx_eq_u32_e32 1, v7
	s_cbranch_execz .LBB544_11
; %bb.10:
	s_waitcnt lgkmcnt(0)
	v_cmp_lt_i64_e32 vcc_lo, v[1:2], v[3:4]
	v_and_b32_e32 v5, 0xff, v6
	s_delay_alu instid0(VALU_DEP_1)
	v_cndmask_b32_e64 v5, v5, 1, s3
	s_and_b32 vcc_lo, s3, vcc_lo
	v_dual_cndmask_b32 v1, v3, v1 :: v_dual_cndmask_b32 v2, v4, v2
.LBB544_11:
	s_or_b32 exec_lo, exec_lo, s2
	s_waitcnt lgkmcnt(1)
	v_mov_b32_e32 v3, 0
	s_mov_b32 s2, exec_lo
	ds_bpermute_b32 v6, v3, v5 offset:124
	ds_bpermute_b32 v1, v3, v1 offset:124
	;; [unrolled: 1-line block ×3, first 2 shown]
	v_mbcnt_lo_u32_b32 v3, -1, 0
	s_delay_alu instid0(VALU_DEP_1)
	v_cmpx_eq_u32_e32 0, v3
	s_cbranch_execz .LBB544_13
; %bb.12:
	s_waitcnt lgkmcnt(3)
	v_lshrrev_b32_e32 v4, 1, v0
	s_delay_alu instid0(VALU_DEP_1)
	v_and_b32_e32 v4, 0x70, v4
	s_waitcnt lgkmcnt(2)
	ds_store_b8 v4, v6
	s_waitcnt lgkmcnt(1)
	ds_store_b64 v4, v[1:2] offset:8
.LBB544_13:
	s_or_b32 exec_lo, exec_lo, s2
	s_delay_alu instid0(SALU_CYCLE_1)
	s_mov_b32 s4, exec_lo
	s_waitcnt lgkmcnt(0)
	s_barrier
	buffer_gl0_inv
	v_cmpx_gt_u32_e32 32, v0
	s_cbranch_execz .LBB544_15
; %bb.14:
	v_and_b32_e32 v6, 7, v3
	s_delay_alu instid0(VALU_DEP_1)
	v_lshlrev_b32_e32 v1, 4, v6
	v_cmp_ne_u32_e32 vcc_lo, 7, v6
	ds_load_u8 v7, v1
	ds_load_b64 v[1:2], v1 offset:8
	v_add_co_ci_u32_e32 v4, vcc_lo, 0, v3, vcc_lo
	v_cmp_gt_u32_e32 vcc_lo, 6, v6
	s_delay_alu instid0(VALU_DEP_2)
	v_lshlrev_b32_e32 v5, 2, v4
	v_cndmask_b32_e64 v11, 0, 1, vcc_lo
	s_waitcnt lgkmcnt(1)
	v_and_b32_e32 v4, 0xff, v7
	v_and_b32_e32 v12, 1, v7
	ds_bpermute_b32 v8, v5, v4
	s_waitcnt lgkmcnt(1)
	ds_bpermute_b32 v4, v5, v1
	ds_bpermute_b32 v5, v5, v2
	v_cmp_eq_u32_e64 s3, 1, v12
	s_waitcnt lgkmcnt(2)
	v_and_b32_e32 v10, 1, v8
	s_waitcnt lgkmcnt(0)
	v_cmp_lt_i64_e64 s2, v[4:5], v[1:2]
	s_delay_alu instid0(VALU_DEP_2) | instskip(SKIP_2) | instid1(VALU_DEP_4)
	v_cmp_eq_u32_e32 vcc_lo, 1, v10
	v_lshlrev_b32_e32 v10, 1, v11
	v_cndmask_b32_e64 v7, v7, 1, vcc_lo
	s_and_b32 vcc_lo, vcc_lo, s2
	v_dual_cndmask_b32 v1, v1, v4 :: v_dual_cndmask_b32 v2, v2, v5
	s_delay_alu instid0(VALU_DEP_2) | instskip(SKIP_2) | instid1(VALU_DEP_4)
	v_cndmask_b32_e64 v7, v8, v7, s3
	v_add_lshl_u32 v8, v10, v3, 2
	v_cmp_gt_u32_e32 vcc_lo, 4, v6
	v_cndmask_b32_e64 v1, v4, v1, s3
	v_cndmask_b32_e64 v2, v5, v2, s3
	v_and_b32_e32 v10, 0xff, v7
	v_cndmask_b32_e64 v6, 0, 1, vcc_lo
	ds_bpermute_b32 v4, v8, v1
	ds_bpermute_b32 v5, v8, v2
	;; [unrolled: 1-line block ×3, first 2 shown]
	v_and_b32_e32 v11, 1, v7
	v_lshlrev_b32_e32 v6, 2, v6
	s_delay_alu instid0(VALU_DEP_1) | instskip(SKIP_4) | instid1(VALU_DEP_1)
	v_add_lshl_u32 v6, v6, v3, 2
	s_waitcnt lgkmcnt(1)
	v_cmp_lt_i64_e64 s2, v[4:5], v[1:2]
	s_waitcnt lgkmcnt(0)
	v_and_b32_e32 v8, 1, v10
	v_cmp_eq_u32_e32 vcc_lo, 1, v8
	v_cndmask_b32_e64 v7, v7, 1, vcc_lo
	s_delay_alu instid0(VALU_DEP_4) | instskip(SKIP_3) | instid1(VALU_DEP_2)
	s_and_b32 vcc_lo, vcc_lo, s2
	v_cndmask_b32_e32 v2, v2, v5, vcc_lo
	v_cmp_eq_u32_e64 s3, 1, v11
	v_cndmask_b32_e32 v1, v1, v4, vcc_lo
	v_cndmask_b32_e64 v7, v10, v7, s3
	s_delay_alu instid0(VALU_DEP_4) | instskip(NEXT) | instid1(VALU_DEP_3)
	v_cndmask_b32_e64 v2, v5, v2, s3
	v_cndmask_b32_e64 v1, v4, v1, s3
	ds_bpermute_b32 v4, v6, v2
	v_and_b32_e32 v3, 0xff, v7
	ds_bpermute_b32 v5, v6, v3
	ds_bpermute_b32 v3, v6, v1
	s_waitcnt lgkmcnt(1)
	v_and_b32_e32 v6, 1, v5
	s_waitcnt lgkmcnt(0)
	v_cmp_lt_i64_e32 vcc_lo, v[3:4], v[1:2]
	s_delay_alu instid0(VALU_DEP_2) | instskip(SKIP_1) | instid1(VALU_DEP_2)
	v_cmp_eq_u32_e64 s2, 1, v6
	v_and_b32_e32 v6, 1, v7
	v_cndmask_b32_e64 v7, v7, 1, s2
	s_and_b32 vcc_lo, s2, vcc_lo
	s_delay_alu instid0(VALU_DEP_2) | instskip(SKIP_1) | instid1(VALU_DEP_2)
	v_cmp_eq_u32_e64 s2, 1, v6
	v_dual_cndmask_b32 v2, v2, v4 :: v_dual_cndmask_b32 v1, v1, v3
	v_cndmask_b32_e64 v5, v5, v7, s2
	s_delay_alu instid0(VALU_DEP_2) | instskip(NEXT) | instid1(VALU_DEP_3)
	v_cndmask_b32_e64 v2, v4, v2, s2
	v_cndmask_b32_e64 v1, v3, v1, s2
	s_delay_alu instid0(VALU_DEP_3)
	v_and_b32_e32 v6, 0xff, v5
.LBB544_15:
	s_or_b32 exec_lo, exec_lo, s4
	s_load_b64 s[6:7], s[0:1], 0x58
	s_branch .LBB544_49
.LBB544_16:
                                        ; implicit-def: $vgpr1_vgpr2
                                        ; implicit-def: $vgpr6
	s_load_b64 s[6:7], s[0:1], 0x58
	s_cbranch_execz .LBB544_49
; %bb.17:
	v_dual_mov_b32 v5, 0 :: v_dual_mov_b32 v12, 0
	v_mov_b32_e32 v6, 0
	s_delay_alu instid0(VALU_DEP_2) | instskip(SKIP_2) | instid1(VALU_DEP_2)
	v_dual_mov_b32 v1, v5 :: v_dual_mov_b32 v10, 0
	s_sub_i32 s22, s8, s22
	s_mov_b32 s2, exec_lo
	v_mov_b32_e32 v2, v6
	v_cmpx_gt_u32_e64 s22, v0
	s_cbranch_execz .LBB544_19
; %bb.18:
	s_clause 0x1
	global_load_b32 v3, v9, s[18:19]
	global_load_b32 v4, v9, s[20:21]
	v_add_co_u32 v1, s3, s5, v0
	s_delay_alu instid0(VALU_DEP_1)
	v_add_co_ci_u32_e64 v2, null, s23, 0, s3
	s_waitcnt vmcnt(0)
	v_cmp_ne_u32_e32 vcc_lo, v3, v4
	v_cndmask_b32_e64 v10, 0, 1, vcc_lo
.LBB544_19:
	s_or_b32 exec_lo, exec_lo, s2
	v_or_b32_e32 v3, 0x100, v0
	s_delay_alu instid0(VALU_DEP_1) | instskip(NEXT) | instid1(VALU_DEP_1)
	v_cmp_gt_u32_e64 s3, s22, v3
	s_and_saveexec_b32 s2, s3
	s_cbranch_execz .LBB544_21
; %bb.20:
	s_clause 0x1
	global_load_b32 v4, v9, s[18:19] offset:1024
	global_load_b32 v7, v9, s[20:21] offset:1024
	v_add_co_u32 v5, s4, s5, v3
	s_delay_alu instid0(VALU_DEP_1)
	v_add_co_ci_u32_e64 v6, null, s23, 0, s4
	s_waitcnt vmcnt(0)
	v_cmp_ne_u32_e32 vcc_lo, v4, v7
	v_cndmask_b32_e64 v12, 0, 1, vcc_lo
.LBB544_21:
	s_or_b32 exec_lo, exec_lo, s2
	v_mov_b32_e32 v3, 0
	v_dual_mov_b32 v4, 0 :: v_dual_mov_b32 v11, 0
	v_or_b32_e32 v14, 0x200, v0
	s_delay_alu instid0(VALU_DEP_2) | instskip(NEXT) | instid1(VALU_DEP_4)
	v_dual_mov_b32 v13, 0 :: v_dual_mov_b32 v8, v4
	v_mov_b32_e32 v7, v3
	s_delay_alu instid0(VALU_DEP_3) | instskip(NEXT) | instid1(VALU_DEP_1)
	v_cmp_gt_u32_e64 s2, s22, v14
	s_and_saveexec_b32 s4, s2
	s_cbranch_execz .LBB544_23
; %bb.22:
	s_clause 0x1
	global_load_b32 v13, v9, s[18:19] offset:2048
	global_load_b32 v15, v9, s[20:21] offset:2048
	v_add_co_u32 v7, s24, s5, v14
	s_delay_alu instid0(VALU_DEP_1)
	v_add_co_ci_u32_e64 v8, null, s23, 0, s24
	s_waitcnt vmcnt(0)
	v_cmp_ne_u32_e32 vcc_lo, v13, v15
	v_cndmask_b32_e64 v13, 0, 1, vcc_lo
.LBB544_23:
	s_or_b32 exec_lo, exec_lo, s4
	v_or_b32_e32 v14, 0x300, v0
	s_delay_alu instid0(VALU_DEP_1)
	v_cmp_gt_u32_e32 vcc_lo, s22, v14
	s_and_saveexec_b32 s24, vcc_lo
	s_cbranch_execnz .LBB544_52
; %bb.24:
	s_or_b32 exec_lo, exec_lo, s24
	s_and_saveexec_b32 s5, s3
	s_cbranch_execnz .LBB544_53
.LBB544_25:
	s_or_b32 exec_lo, exec_lo, s5
	s_and_saveexec_b32 s4, s2
	s_cbranch_execnz .LBB544_54
.LBB544_26:
	s_or_b32 exec_lo, exec_lo, s4
	s_and_saveexec_b32 s3, vcc_lo
.LBB544_27:
	v_and_b32_e32 v5, 1, v11
	v_cmp_lt_i64_e32 vcc_lo, v[3:4], v[1:2]
	s_delay_alu instid0(VALU_DEP_2) | instskip(SKIP_1) | instid1(VALU_DEP_2)
	v_cmp_eq_u32_e64 s2, 1, v5
	v_and_b32_e32 v5, 1, v10
	s_and_b32 vcc_lo, s2, vcc_lo
	v_cndmask_b32_e64 v6, v10, 1, s2
	v_dual_cndmask_b32 v2, v2, v4 :: v_dual_cndmask_b32 v1, v1, v3
	s_delay_alu instid0(VALU_DEP_3) | instskip(NEXT) | instid1(VALU_DEP_3)
	v_cmp_eq_u32_e32 vcc_lo, 1, v5
	v_cndmask_b32_e32 v10, v11, v6, vcc_lo
	s_delay_alu instid0(VALU_DEP_3)
	v_dual_cndmask_b32 v2, v4, v2 :: v_dual_cndmask_b32 v1, v3, v1
.LBB544_28:
	s_or_b32 exec_lo, exec_lo, s3
	v_mbcnt_lo_u32_b32 v5, -1, 0
	v_and_b32_e32 v7, 0xe0, v0
	s_min_u32 s3, s22, 0x100
	v_and_b32_e32 v6, 0xffff, v10
	s_delay_alu instid0(VALU_DEP_3) | instskip(NEXT) | instid1(VALU_DEP_3)
	v_cmp_ne_u32_e32 vcc_lo, 31, v5
	v_sub_nc_u32_e64 v8, s3, v7 clamp
	v_add_nc_u32_e32 v7, 1, v5
	v_add_co_ci_u32_e32 v3, vcc_lo, 0, v5, vcc_lo
	s_delay_alu instid0(VALU_DEP_2) | instskip(NEXT) | instid1(VALU_DEP_2)
	v_cmp_lt_u32_e32 vcc_lo, v7, v8
	v_dual_mov_b32 v7, v6 :: v_dual_lshlrev_b32 v4, 2, v3
	ds_bpermute_b32 v9, v4, v6
	ds_bpermute_b32 v3, v4, v1
	;; [unrolled: 1-line block ×3, first 2 shown]
	s_and_saveexec_b32 s2, vcc_lo
	s_delay_alu instid0(SALU_CYCLE_1)
	s_xor_b32 s4, exec_lo, s2
	s_cbranch_execz .LBB544_30
; %bb.29:
	s_waitcnt lgkmcnt(0)
	v_and_b32_e32 v7, 1, v9
	v_cmp_lt_i64_e32 vcc_lo, v[3:4], v[1:2]
	s_delay_alu instid0(VALU_DEP_2) | instskip(SKIP_1) | instid1(VALU_DEP_2)
	v_cmp_eq_u32_e64 s2, 1, v7
	v_and_b32_e32 v7, 1, v10
	v_cndmask_b32_e64 v6, v6, 1, s2
	s_and_b32 vcc_lo, s2, vcc_lo
	s_delay_alu instid0(VALU_DEP_2) | instskip(SKIP_1) | instid1(VALU_DEP_2)
	v_cmp_eq_u32_e64 s2, 1, v7
	v_dual_cndmask_b32 v2, v2, v4 :: v_dual_cndmask_b32 v1, v1, v3
	v_cndmask_b32_e64 v7, v9, v6, s2
	s_delay_alu instid0(VALU_DEP_2) | instskip(NEXT) | instid1(VALU_DEP_3)
	v_cndmask_b32_e64 v2, v4, v2, s2
	v_cndmask_b32_e64 v1, v3, v1, s2
	s_delay_alu instid0(VALU_DEP_3)
	v_and_b32_e32 v6, 0xff, v7
.LBB544_30:
	s_or_b32 exec_lo, exec_lo, s4
	v_cmp_gt_u32_e32 vcc_lo, 30, v5
	v_add_nc_u32_e32 v10, 2, v5
	s_mov_b32 s4, exec_lo
	s_waitcnt lgkmcnt(0)
	v_cndmask_b32_e64 v3, 0, 1, vcc_lo
	s_delay_alu instid0(VALU_DEP_1) | instskip(NEXT) | instid1(VALU_DEP_1)
	v_lshlrev_b32_e32 v3, 1, v3
	v_add_lshl_u32 v4, v3, v5, 2
	ds_bpermute_b32 v9, v4, v6
	ds_bpermute_b32 v3, v4, v1
	ds_bpermute_b32 v4, v4, v2
	v_cmpx_lt_u32_e64 v10, v8
	s_cbranch_execz .LBB544_32
; %bb.31:
	s_waitcnt lgkmcnt(2)
	v_and_b32_e32 v6, 1, v9
	s_waitcnt lgkmcnt(0)
	v_cmp_lt_i64_e32 vcc_lo, v[3:4], v[1:2]
	s_delay_alu instid0(VALU_DEP_2) | instskip(SKIP_1) | instid1(VALU_DEP_2)
	v_cmp_eq_u32_e64 s2, 1, v6
	v_and_b32_e32 v6, 1, v7
	v_cndmask_b32_e64 v7, v7, 1, s2
	s_and_b32 vcc_lo, s2, vcc_lo
	s_delay_alu instid0(VALU_DEP_2) | instskip(SKIP_1) | instid1(VALU_DEP_2)
	v_cmp_eq_u32_e64 s2, 1, v6
	v_dual_cndmask_b32 v1, v1, v3 :: v_dual_cndmask_b32 v2, v2, v4
	v_cndmask_b32_e64 v7, v9, v7, s2
	s_delay_alu instid0(VALU_DEP_2) | instskip(NEXT) | instid1(VALU_DEP_3)
	v_cndmask_b32_e64 v1, v3, v1, s2
	v_cndmask_b32_e64 v2, v4, v2, s2
	s_delay_alu instid0(VALU_DEP_3)
	v_and_b32_e32 v6, 0xff, v7
.LBB544_32:
	s_or_b32 exec_lo, exec_lo, s4
	v_cmp_gt_u32_e32 vcc_lo, 28, v5
	v_add_nc_u32_e32 v10, 4, v5
	s_mov_b32 s4, exec_lo
	s_waitcnt lgkmcnt(1)
	v_cndmask_b32_e64 v3, 0, 1, vcc_lo
	s_delay_alu instid0(VALU_DEP_1) | instskip(SKIP_1) | instid1(VALU_DEP_1)
	v_lshlrev_b32_e32 v3, 2, v3
	s_waitcnt lgkmcnt(0)
	v_add_lshl_u32 v4, v3, v5, 2
	ds_bpermute_b32 v9, v4, v6
	ds_bpermute_b32 v3, v4, v1
	ds_bpermute_b32 v4, v4, v2
	v_cmpx_lt_u32_e64 v10, v8
	s_cbranch_execz .LBB544_34
; %bb.33:
	s_waitcnt lgkmcnt(2)
	v_and_b32_e32 v6, 1, v9
	s_waitcnt lgkmcnt(0)
	v_cmp_lt_i64_e32 vcc_lo, v[3:4], v[1:2]
	s_delay_alu instid0(VALU_DEP_2) | instskip(SKIP_1) | instid1(VALU_DEP_2)
	v_cmp_eq_u32_e64 s2, 1, v6
	v_and_b32_e32 v6, 1, v7
	v_cndmask_b32_e64 v7, v7, 1, s2
	s_and_b32 vcc_lo, s2, vcc_lo
	s_delay_alu instid0(VALU_DEP_2) | instskip(SKIP_1) | instid1(VALU_DEP_2)
	v_cmp_eq_u32_e64 s2, 1, v6
	v_dual_cndmask_b32 v1, v1, v3 :: v_dual_cndmask_b32 v2, v2, v4
	v_cndmask_b32_e64 v7, v9, v7, s2
	s_delay_alu instid0(VALU_DEP_2) | instskip(NEXT) | instid1(VALU_DEP_3)
	v_cndmask_b32_e64 v1, v3, v1, s2
	v_cndmask_b32_e64 v2, v4, v2, s2
	s_delay_alu instid0(VALU_DEP_3)
	v_and_b32_e32 v6, 0xff, v7
.LBB544_34:
	s_or_b32 exec_lo, exec_lo, s4
	v_cmp_gt_u32_e32 vcc_lo, 24, v5
	v_add_nc_u32_e32 v10, 8, v5
	s_mov_b32 s4, exec_lo
	s_waitcnt lgkmcnt(1)
	v_cndmask_b32_e64 v3, 0, 1, vcc_lo
	s_delay_alu instid0(VALU_DEP_1) | instskip(SKIP_1) | instid1(VALU_DEP_1)
	v_lshlrev_b32_e32 v3, 3, v3
	s_waitcnt lgkmcnt(0)
	;; [unrolled: 35-line block ×3, first 2 shown]
	v_add_lshl_u32 v4, v3, v5, 2
	ds_bpermute_b32 v9, v4, v6
	ds_bpermute_b32 v3, v4, v1
	;; [unrolled: 1-line block ×3, first 2 shown]
	v_cmpx_lt_u32_e64 v10, v8
	s_cbranch_execz .LBB544_38
; %bb.37:
	s_waitcnt lgkmcnt(2)
	v_and_b32_e32 v6, 1, v9
	s_waitcnt lgkmcnt(0)
	v_cmp_lt_i64_e32 vcc_lo, v[3:4], v[1:2]
	s_delay_alu instid0(VALU_DEP_2) | instskip(SKIP_1) | instid1(VALU_DEP_2)
	v_cmp_eq_u32_e64 s2, 1, v6
	v_and_b32_e32 v6, 1, v7
	v_cndmask_b32_e64 v7, v7, 1, s2
	s_and_b32 vcc_lo, s2, vcc_lo
	s_delay_alu instid0(VALU_DEP_2) | instskip(SKIP_1) | instid1(VALU_DEP_2)
	v_cmp_eq_u32_e64 s2, 1, v6
	v_dual_cndmask_b32 v1, v1, v3 :: v_dual_cndmask_b32 v2, v2, v4
	v_cndmask_b32_e64 v7, v9, v7, s2
	s_delay_alu instid0(VALU_DEP_2) | instskip(NEXT) | instid1(VALU_DEP_3)
	v_cndmask_b32_e64 v1, v3, v1, s2
	v_cndmask_b32_e64 v2, v4, v2, s2
	s_delay_alu instid0(VALU_DEP_3)
	v_and_b32_e32 v6, 0xff, v7
.LBB544_38:
	s_or_b32 exec_lo, exec_lo, s4
	s_delay_alu instid0(SALU_CYCLE_1)
	s_mov_b32 s2, exec_lo
	v_cmpx_eq_u32_e32 0, v5
	s_cbranch_execz .LBB544_40
; %bb.39:
	s_waitcnt lgkmcnt(1)
	v_lshrrev_b32_e32 v3, 1, v0
	s_delay_alu instid0(VALU_DEP_1)
	v_and_b32_e32 v3, 0x70, v3
	ds_store_b8 v3, v7 offset:128
	ds_store_b64 v3, v[1:2] offset:136
.LBB544_40:
	s_or_b32 exec_lo, exec_lo, s2
	s_delay_alu instid0(SALU_CYCLE_1)
	s_mov_b32 s4, exec_lo
	s_waitcnt lgkmcnt(0)
	s_barrier
	buffer_gl0_inv
	v_cmpx_gt_u32_e32 8, v0
	s_cbranch_execz .LBB544_48
; %bb.41:
	v_lshlrev_b32_e32 v1, 4, v5
	v_and_b32_e32 v8, 7, v5
	s_add_i32 s3, s3, 31
	s_mov_b32 s5, exec_lo
	s_lshr_b32 s3, s3, 5
	ds_load_u8 v7, v1 offset:128
	ds_load_b64 v[1:2], v1 offset:136
	v_cmp_ne_u32_e32 vcc_lo, 7, v8
	v_add_nc_u32_e32 v10, 1, v8
	v_add_co_ci_u32_e32 v3, vcc_lo, 0, v5, vcc_lo
	s_delay_alu instid0(VALU_DEP_1)
	v_lshlrev_b32_e32 v4, 2, v3
	s_waitcnt lgkmcnt(1)
	v_and_b32_e32 v6, 0xff, v7
	s_waitcnt lgkmcnt(0)
	ds_bpermute_b32 v3, v4, v1
	ds_bpermute_b32 v9, v4, v6
	;; [unrolled: 1-line block ×3, first 2 shown]
	v_cmpx_gt_u32_e64 s3, v10
	s_cbranch_execz .LBB544_43
; %bb.42:
	s_waitcnt lgkmcnt(1)
	v_and_b32_e32 v6, 1, v9
	s_waitcnt lgkmcnt(0)
	v_cmp_lt_i64_e32 vcc_lo, v[3:4], v[1:2]
	s_delay_alu instid0(VALU_DEP_2) | instskip(SKIP_1) | instid1(VALU_DEP_2)
	v_cmp_eq_u32_e64 s2, 1, v6
	v_and_b32_e32 v6, 1, v7
	v_cndmask_b32_e64 v7, v7, 1, s2
	s_and_b32 vcc_lo, s2, vcc_lo
	s_delay_alu instid0(VALU_DEP_2) | instskip(SKIP_1) | instid1(VALU_DEP_2)
	v_cmp_eq_u32_e64 s2, 1, v6
	v_dual_cndmask_b32 v1, v1, v3 :: v_dual_cndmask_b32 v2, v2, v4
	v_cndmask_b32_e64 v7, v9, v7, s2
	s_delay_alu instid0(VALU_DEP_2) | instskip(NEXT) | instid1(VALU_DEP_3)
	v_cndmask_b32_e64 v1, v3, v1, s2
	v_cndmask_b32_e64 v2, v4, v2, s2
	s_delay_alu instid0(VALU_DEP_3)
	v_and_b32_e32 v6, 0xff, v7
.LBB544_43:
	s_or_b32 exec_lo, exec_lo, s5
	v_cmp_gt_u32_e32 vcc_lo, 6, v8
	v_add_nc_u32_e32 v10, 2, v8
	s_mov_b32 s5, exec_lo
	s_waitcnt lgkmcnt(2)
	v_cndmask_b32_e64 v3, 0, 1, vcc_lo
	s_delay_alu instid0(VALU_DEP_1) | instskip(SKIP_1) | instid1(VALU_DEP_1)
	v_lshlrev_b32_e32 v3, 1, v3
	s_waitcnt lgkmcnt(0)
	v_add_lshl_u32 v4, v3, v5, 2
	ds_bpermute_b32 v9, v4, v6
	ds_bpermute_b32 v3, v4, v1
	;; [unrolled: 1-line block ×3, first 2 shown]
	v_cmpx_gt_u32_e64 s3, v10
	s_cbranch_execz .LBB544_45
; %bb.44:
	s_waitcnt lgkmcnt(2)
	v_and_b32_e32 v6, 1, v9
	s_waitcnt lgkmcnt(0)
	v_cmp_lt_i64_e32 vcc_lo, v[3:4], v[1:2]
	s_delay_alu instid0(VALU_DEP_2) | instskip(SKIP_1) | instid1(VALU_DEP_2)
	v_cmp_eq_u32_e64 s2, 1, v6
	v_and_b32_e32 v6, 1, v7
	v_cndmask_b32_e64 v7, v7, 1, s2
	s_and_b32 vcc_lo, s2, vcc_lo
	s_delay_alu instid0(VALU_DEP_2) | instskip(SKIP_1) | instid1(VALU_DEP_2)
	v_cmp_eq_u32_e64 s2, 1, v6
	v_dual_cndmask_b32 v1, v1, v3 :: v_dual_cndmask_b32 v2, v2, v4
	v_cndmask_b32_e64 v7, v9, v7, s2
	s_delay_alu instid0(VALU_DEP_2) | instskip(NEXT) | instid1(VALU_DEP_3)
	v_cndmask_b32_e64 v1, v3, v1, s2
	v_cndmask_b32_e64 v2, v4, v2, s2
	s_delay_alu instid0(VALU_DEP_3)
	v_and_b32_e32 v6, 0xff, v7
.LBB544_45:
	s_or_b32 exec_lo, exec_lo, s5
	v_cmp_gt_u32_e32 vcc_lo, 4, v8
	v_add_nc_u32_e32 v8, 4, v8
	s_waitcnt lgkmcnt(1)
	v_cndmask_b32_e64 v3, 0, 1, vcc_lo
	s_delay_alu instid0(VALU_DEP_2) | instskip(NEXT) | instid1(VALU_DEP_2)
	v_cmp_gt_u32_e32 vcc_lo, s3, v8
	v_lshlrev_b32_e32 v3, 2, v3
	s_waitcnt lgkmcnt(0)
	s_delay_alu instid0(VALU_DEP_1)
	v_add_lshl_u32 v4, v3, v5, 2
	ds_bpermute_b32 v5, v4, v6
	ds_bpermute_b32 v3, v4, v1
	ds_bpermute_b32 v4, v4, v2
	s_and_saveexec_b32 s3, vcc_lo
	s_cbranch_execz .LBB544_47
; %bb.46:
	s_waitcnt lgkmcnt(2)
	v_and_b32_e32 v6, 1, v5
	s_waitcnt lgkmcnt(0)
	v_cmp_lt_i64_e32 vcc_lo, v[3:4], v[1:2]
	s_delay_alu instid0(VALU_DEP_2) | instskip(SKIP_1) | instid1(VALU_DEP_2)
	v_cmp_eq_u32_e64 s2, 1, v6
	v_and_b32_e32 v6, 1, v7
	v_cndmask_b32_e64 v7, v7, 1, s2
	s_and_b32 vcc_lo, s2, vcc_lo
	s_delay_alu instid0(VALU_DEP_2) | instskip(SKIP_1) | instid1(VALU_DEP_2)
	v_cmp_eq_u32_e64 s2, 1, v6
	v_dual_cndmask_b32 v1, v1, v3 :: v_dual_cndmask_b32 v2, v2, v4
	v_cndmask_b32_e64 v5, v5, v7, s2
	s_delay_alu instid0(VALU_DEP_2) | instskip(NEXT) | instid1(VALU_DEP_3)
	v_cndmask_b32_e64 v1, v3, v1, s2
	v_cndmask_b32_e64 v2, v4, v2, s2
	s_delay_alu instid0(VALU_DEP_3)
	v_and_b32_e32 v6, 0xff, v5
.LBB544_47:
	s_or_b32 exec_lo, exec_lo, s3
.LBB544_48:
	s_delay_alu instid0(SALU_CYCLE_1)
	s_or_b32 exec_lo, exec_lo, s4
.LBB544_49:
	s_load_b32 s0, s[0:1], 0x50
	s_mov_b32 s1, exec_lo
	v_cmpx_eq_u32_e32 0, v0
	s_cbranch_execz .LBB544_51
; %bb.50:
	s_mul_i32 s1, s14, s13
	s_mul_hi_u32 s2, s14, s12
	s_mul_i32 s3, s15, s12
	s_add_i32 s1, s2, s1
	s_mul_i32 s2, s14, s12
	s_add_i32 s3, s1, s3
	v_mov_b32_e32 v0, 0
	s_lshl_b64 s[2:3], s[2:3], 4
	s_delay_alu instid0(SALU_CYCLE_1)
	s_add_u32 s1, s10, s2
	s_addc_u32 s4, s11, s3
	s_cmp_eq_u64 s[8:9], 0
	s_cselect_b32 s5, -1, 0
	s_lshl_b64 s[2:3], s[16:17], 4
	s_waitcnt lgkmcnt(0)
	v_cndmask_b32_e64 v3, v6, s0, s5
	v_cndmask_b32_e64 v2, v2, s7, s5
	;; [unrolled: 1-line block ×3, first 2 shown]
	s_add_u32 s0, s1, s2
	s_addc_u32 s1, s4, s3
	s_clause 0x1
	global_store_b8 v0, v3, s[0:1]
	global_store_b64 v0, v[1:2], s[0:1] offset:8
.LBB544_51:
	s_nop 0
	s_sendmsg sendmsg(MSG_DEALLOC_VGPRS)
	s_endpgm
.LBB544_52:
	s_clause 0x1
	global_load_b32 v11, v9, s[18:19] offset:3072
	global_load_b32 v9, v9, s[20:21] offset:3072
	v_add_co_u32 v3, s4, s5, v14
	s_delay_alu instid0(VALU_DEP_1) | instskip(SKIP_2) | instid1(VALU_DEP_1)
	v_add_co_ci_u32_e64 v4, null, s23, 0, s4
	s_waitcnt vmcnt(0)
	v_cmp_ne_u32_e64 s4, v11, v9
	v_cndmask_b32_e64 v11, 0, 1, s4
	s_or_b32 exec_lo, exec_lo, s24
	s_and_saveexec_b32 s5, s3
	s_cbranch_execz .LBB544_25
.LBB544_53:
	v_and_b32_e32 v9, 1, v12
	v_cmp_lt_i64_e64 s3, v[5:6], v[1:2]
	s_delay_alu instid0(VALU_DEP_2) | instskip(SKIP_1) | instid1(VALU_DEP_2)
	v_cmp_eq_u32_e64 s4, 1, v9
	v_and_b32_e32 v9, 1, v10
	s_and_b32 s3, s4, s3
	v_cndmask_b32_e64 v10, v10, 1, s4
	v_cndmask_b32_e64 v1, v1, v5, s3
	;; [unrolled: 1-line block ×3, first 2 shown]
	v_cmp_eq_u32_e64 s3, 1, v9
	s_delay_alu instid0(VALU_DEP_1) | instskip(NEXT) | instid1(VALU_DEP_3)
	v_cndmask_b32_e64 v10, v12, v10, s3
	v_cndmask_b32_e64 v2, v6, v2, s3
	;; [unrolled: 1-line block ×3, first 2 shown]
	s_or_b32 exec_lo, exec_lo, s5
	s_and_saveexec_b32 s4, s2
	s_cbranch_execz .LBB544_26
.LBB544_54:
	v_and_b32_e32 v5, 1, v13
	v_cmp_lt_i64_e64 s2, v[7:8], v[1:2]
	s_delay_alu instid0(VALU_DEP_2) | instskip(SKIP_1) | instid1(VALU_DEP_2)
	v_cmp_eq_u32_e64 s3, 1, v5
	v_and_b32_e32 v5, 1, v10
	s_and_b32 s2, s3, s2
	v_cndmask_b32_e64 v6, v10, 1, s3
	v_cndmask_b32_e64 v1, v1, v7, s2
	;; [unrolled: 1-line block ×3, first 2 shown]
	v_cmp_eq_u32_e64 s2, 1, v5
	s_delay_alu instid0(VALU_DEP_1) | instskip(NEXT) | instid1(VALU_DEP_3)
	v_cndmask_b32_e64 v10, v13, v6, s2
	v_cndmask_b32_e64 v2, v8, v2, s2
	;; [unrolled: 1-line block ×3, first 2 shown]
	s_or_b32 exec_lo, exec_lo, s4
	s_and_saveexec_b32 s3, vcc_lo
	s_cbranch_execnz .LBB544_27
	s_branch .LBB544_28
	.section	.rodata,"a",@progbits
	.p2align	6, 0x0
	.amdhsa_kernel _ZN7rocprim17ROCPRIM_400000_NS6detail17trampoline_kernelINS0_14default_configENS1_22reduce_config_selectorIN6thrust23THRUST_200600_302600_NS5tupleIblNS6_9null_typeES8_S8_S8_S8_S8_S8_S8_EEEEZNS1_11reduce_implILb1ES3_NS6_12zip_iteratorINS7_INS6_11hip_rocprim26transform_input_iterator_tIbNSD_35transform_pair_of_input_iterators_tIbNS6_6detail15normal_iteratorINS6_10device_ptrIKiEEEESL_NS6_8equal_toIiEEEENSG_9not_fun_tINSD_8identityEEEEENSD_19counting_iterator_tIlEES8_S8_S8_S8_S8_S8_S8_S8_EEEEPS9_S9_NSD_9__find_if7functorIS9_EEEE10hipError_tPvRmT1_T2_T3_mT4_P12ihipStream_tbEUlT_E0_NS1_11comp_targetILNS1_3genE9ELNS1_11target_archE1100ELNS1_3gpuE3ELNS1_3repE0EEENS1_30default_config_static_selectorELNS0_4arch9wavefront6targetE0EEEvS14_
		.amdhsa_group_segment_fixed_size 256
		.amdhsa_private_segment_fixed_size 0
		.amdhsa_kernarg_size 104
		.amdhsa_user_sgpr_count 15
		.amdhsa_user_sgpr_dispatch_ptr 0
		.amdhsa_user_sgpr_queue_ptr 0
		.amdhsa_user_sgpr_kernarg_segment_ptr 1
		.amdhsa_user_sgpr_dispatch_id 0
		.amdhsa_user_sgpr_private_segment_size 0
		.amdhsa_wavefront_size32 1
		.amdhsa_uses_dynamic_stack 0
		.amdhsa_enable_private_segment 0
		.amdhsa_system_sgpr_workgroup_id_x 1
		.amdhsa_system_sgpr_workgroup_id_y 0
		.amdhsa_system_sgpr_workgroup_id_z 0
		.amdhsa_system_sgpr_workgroup_info 0
		.amdhsa_system_vgpr_workitem_id 0
		.amdhsa_next_free_vgpr 16
		.amdhsa_next_free_sgpr 28
		.amdhsa_reserve_vcc 1
		.amdhsa_float_round_mode_32 0
		.amdhsa_float_round_mode_16_64 0
		.amdhsa_float_denorm_mode_32 3
		.amdhsa_float_denorm_mode_16_64 3
		.amdhsa_dx10_clamp 1
		.amdhsa_ieee_mode 1
		.amdhsa_fp16_overflow 0
		.amdhsa_workgroup_processor_mode 1
		.amdhsa_memory_ordered 1
		.amdhsa_forward_progress 0
		.amdhsa_shared_vgpr_count 0
		.amdhsa_exception_fp_ieee_invalid_op 0
		.amdhsa_exception_fp_denorm_src 0
		.amdhsa_exception_fp_ieee_div_zero 0
		.amdhsa_exception_fp_ieee_overflow 0
		.amdhsa_exception_fp_ieee_underflow 0
		.amdhsa_exception_fp_ieee_inexact 0
		.amdhsa_exception_int_div_zero 0
	.end_amdhsa_kernel
	.section	.text._ZN7rocprim17ROCPRIM_400000_NS6detail17trampoline_kernelINS0_14default_configENS1_22reduce_config_selectorIN6thrust23THRUST_200600_302600_NS5tupleIblNS6_9null_typeES8_S8_S8_S8_S8_S8_S8_EEEEZNS1_11reduce_implILb1ES3_NS6_12zip_iteratorINS7_INS6_11hip_rocprim26transform_input_iterator_tIbNSD_35transform_pair_of_input_iterators_tIbNS6_6detail15normal_iteratorINS6_10device_ptrIKiEEEESL_NS6_8equal_toIiEEEENSG_9not_fun_tINSD_8identityEEEEENSD_19counting_iterator_tIlEES8_S8_S8_S8_S8_S8_S8_S8_EEEEPS9_S9_NSD_9__find_if7functorIS9_EEEE10hipError_tPvRmT1_T2_T3_mT4_P12ihipStream_tbEUlT_E0_NS1_11comp_targetILNS1_3genE9ELNS1_11target_archE1100ELNS1_3gpuE3ELNS1_3repE0EEENS1_30default_config_static_selectorELNS0_4arch9wavefront6targetE0EEEvS14_,"axG",@progbits,_ZN7rocprim17ROCPRIM_400000_NS6detail17trampoline_kernelINS0_14default_configENS1_22reduce_config_selectorIN6thrust23THRUST_200600_302600_NS5tupleIblNS6_9null_typeES8_S8_S8_S8_S8_S8_S8_EEEEZNS1_11reduce_implILb1ES3_NS6_12zip_iteratorINS7_INS6_11hip_rocprim26transform_input_iterator_tIbNSD_35transform_pair_of_input_iterators_tIbNS6_6detail15normal_iteratorINS6_10device_ptrIKiEEEESL_NS6_8equal_toIiEEEENSG_9not_fun_tINSD_8identityEEEEENSD_19counting_iterator_tIlEES8_S8_S8_S8_S8_S8_S8_S8_EEEEPS9_S9_NSD_9__find_if7functorIS9_EEEE10hipError_tPvRmT1_T2_T3_mT4_P12ihipStream_tbEUlT_E0_NS1_11comp_targetILNS1_3genE9ELNS1_11target_archE1100ELNS1_3gpuE3ELNS1_3repE0EEENS1_30default_config_static_selectorELNS0_4arch9wavefront6targetE0EEEvS14_,comdat
.Lfunc_end544:
	.size	_ZN7rocprim17ROCPRIM_400000_NS6detail17trampoline_kernelINS0_14default_configENS1_22reduce_config_selectorIN6thrust23THRUST_200600_302600_NS5tupleIblNS6_9null_typeES8_S8_S8_S8_S8_S8_S8_EEEEZNS1_11reduce_implILb1ES3_NS6_12zip_iteratorINS7_INS6_11hip_rocprim26transform_input_iterator_tIbNSD_35transform_pair_of_input_iterators_tIbNS6_6detail15normal_iteratorINS6_10device_ptrIKiEEEESL_NS6_8equal_toIiEEEENSG_9not_fun_tINSD_8identityEEEEENSD_19counting_iterator_tIlEES8_S8_S8_S8_S8_S8_S8_S8_EEEEPS9_S9_NSD_9__find_if7functorIS9_EEEE10hipError_tPvRmT1_T2_T3_mT4_P12ihipStream_tbEUlT_E0_NS1_11comp_targetILNS1_3genE9ELNS1_11target_archE1100ELNS1_3gpuE3ELNS1_3repE0EEENS1_30default_config_static_selectorELNS0_4arch9wavefront6targetE0EEEvS14_, .Lfunc_end544-_ZN7rocprim17ROCPRIM_400000_NS6detail17trampoline_kernelINS0_14default_configENS1_22reduce_config_selectorIN6thrust23THRUST_200600_302600_NS5tupleIblNS6_9null_typeES8_S8_S8_S8_S8_S8_S8_EEEEZNS1_11reduce_implILb1ES3_NS6_12zip_iteratorINS7_INS6_11hip_rocprim26transform_input_iterator_tIbNSD_35transform_pair_of_input_iterators_tIbNS6_6detail15normal_iteratorINS6_10device_ptrIKiEEEESL_NS6_8equal_toIiEEEENSG_9not_fun_tINSD_8identityEEEEENSD_19counting_iterator_tIlEES8_S8_S8_S8_S8_S8_S8_S8_EEEEPS9_S9_NSD_9__find_if7functorIS9_EEEE10hipError_tPvRmT1_T2_T3_mT4_P12ihipStream_tbEUlT_E0_NS1_11comp_targetILNS1_3genE9ELNS1_11target_archE1100ELNS1_3gpuE3ELNS1_3repE0EEENS1_30default_config_static_selectorELNS0_4arch9wavefront6targetE0EEEvS14_
                                        ; -- End function
	.section	.AMDGPU.csdata,"",@progbits
; Kernel info:
; codeLenInByte = 4024
; NumSgprs: 30
; NumVgprs: 16
; ScratchSize: 0
; MemoryBound: 0
; FloatMode: 240
; IeeeMode: 1
; LDSByteSize: 256 bytes/workgroup (compile time only)
; SGPRBlocks: 3
; VGPRBlocks: 1
; NumSGPRsForWavesPerEU: 30
; NumVGPRsForWavesPerEU: 16
; Occupancy: 16
; WaveLimiterHint : 0
; COMPUTE_PGM_RSRC2:SCRATCH_EN: 0
; COMPUTE_PGM_RSRC2:USER_SGPR: 15
; COMPUTE_PGM_RSRC2:TRAP_HANDLER: 0
; COMPUTE_PGM_RSRC2:TGID_X_EN: 1
; COMPUTE_PGM_RSRC2:TGID_Y_EN: 0
; COMPUTE_PGM_RSRC2:TGID_Z_EN: 0
; COMPUTE_PGM_RSRC2:TIDIG_COMP_CNT: 0
	.section	.text._ZN7rocprim17ROCPRIM_400000_NS6detail17trampoline_kernelINS0_14default_configENS1_22reduce_config_selectorIN6thrust23THRUST_200600_302600_NS5tupleIblNS6_9null_typeES8_S8_S8_S8_S8_S8_S8_EEEEZNS1_11reduce_implILb1ES3_NS6_12zip_iteratorINS7_INS6_11hip_rocprim26transform_input_iterator_tIbNSD_35transform_pair_of_input_iterators_tIbNS6_6detail15normal_iteratorINS6_10device_ptrIKiEEEESL_NS6_8equal_toIiEEEENSG_9not_fun_tINSD_8identityEEEEENSD_19counting_iterator_tIlEES8_S8_S8_S8_S8_S8_S8_S8_EEEEPS9_S9_NSD_9__find_if7functorIS9_EEEE10hipError_tPvRmT1_T2_T3_mT4_P12ihipStream_tbEUlT_E0_NS1_11comp_targetILNS1_3genE8ELNS1_11target_archE1030ELNS1_3gpuE2ELNS1_3repE0EEENS1_30default_config_static_selectorELNS0_4arch9wavefront6targetE0EEEvS14_,"axG",@progbits,_ZN7rocprim17ROCPRIM_400000_NS6detail17trampoline_kernelINS0_14default_configENS1_22reduce_config_selectorIN6thrust23THRUST_200600_302600_NS5tupleIblNS6_9null_typeES8_S8_S8_S8_S8_S8_S8_EEEEZNS1_11reduce_implILb1ES3_NS6_12zip_iteratorINS7_INS6_11hip_rocprim26transform_input_iterator_tIbNSD_35transform_pair_of_input_iterators_tIbNS6_6detail15normal_iteratorINS6_10device_ptrIKiEEEESL_NS6_8equal_toIiEEEENSG_9not_fun_tINSD_8identityEEEEENSD_19counting_iterator_tIlEES8_S8_S8_S8_S8_S8_S8_S8_EEEEPS9_S9_NSD_9__find_if7functorIS9_EEEE10hipError_tPvRmT1_T2_T3_mT4_P12ihipStream_tbEUlT_E0_NS1_11comp_targetILNS1_3genE8ELNS1_11target_archE1030ELNS1_3gpuE2ELNS1_3repE0EEENS1_30default_config_static_selectorELNS0_4arch9wavefront6targetE0EEEvS14_,comdat
	.protected	_ZN7rocprim17ROCPRIM_400000_NS6detail17trampoline_kernelINS0_14default_configENS1_22reduce_config_selectorIN6thrust23THRUST_200600_302600_NS5tupleIblNS6_9null_typeES8_S8_S8_S8_S8_S8_S8_EEEEZNS1_11reduce_implILb1ES3_NS6_12zip_iteratorINS7_INS6_11hip_rocprim26transform_input_iterator_tIbNSD_35transform_pair_of_input_iterators_tIbNS6_6detail15normal_iteratorINS6_10device_ptrIKiEEEESL_NS6_8equal_toIiEEEENSG_9not_fun_tINSD_8identityEEEEENSD_19counting_iterator_tIlEES8_S8_S8_S8_S8_S8_S8_S8_EEEEPS9_S9_NSD_9__find_if7functorIS9_EEEE10hipError_tPvRmT1_T2_T3_mT4_P12ihipStream_tbEUlT_E0_NS1_11comp_targetILNS1_3genE8ELNS1_11target_archE1030ELNS1_3gpuE2ELNS1_3repE0EEENS1_30default_config_static_selectorELNS0_4arch9wavefront6targetE0EEEvS14_ ; -- Begin function _ZN7rocprim17ROCPRIM_400000_NS6detail17trampoline_kernelINS0_14default_configENS1_22reduce_config_selectorIN6thrust23THRUST_200600_302600_NS5tupleIblNS6_9null_typeES8_S8_S8_S8_S8_S8_S8_EEEEZNS1_11reduce_implILb1ES3_NS6_12zip_iteratorINS7_INS6_11hip_rocprim26transform_input_iterator_tIbNSD_35transform_pair_of_input_iterators_tIbNS6_6detail15normal_iteratorINS6_10device_ptrIKiEEEESL_NS6_8equal_toIiEEEENSG_9not_fun_tINSD_8identityEEEEENSD_19counting_iterator_tIlEES8_S8_S8_S8_S8_S8_S8_S8_EEEEPS9_S9_NSD_9__find_if7functorIS9_EEEE10hipError_tPvRmT1_T2_T3_mT4_P12ihipStream_tbEUlT_E0_NS1_11comp_targetILNS1_3genE8ELNS1_11target_archE1030ELNS1_3gpuE2ELNS1_3repE0EEENS1_30default_config_static_selectorELNS0_4arch9wavefront6targetE0EEEvS14_
	.globl	_ZN7rocprim17ROCPRIM_400000_NS6detail17trampoline_kernelINS0_14default_configENS1_22reduce_config_selectorIN6thrust23THRUST_200600_302600_NS5tupleIblNS6_9null_typeES8_S8_S8_S8_S8_S8_S8_EEEEZNS1_11reduce_implILb1ES3_NS6_12zip_iteratorINS7_INS6_11hip_rocprim26transform_input_iterator_tIbNSD_35transform_pair_of_input_iterators_tIbNS6_6detail15normal_iteratorINS6_10device_ptrIKiEEEESL_NS6_8equal_toIiEEEENSG_9not_fun_tINSD_8identityEEEEENSD_19counting_iterator_tIlEES8_S8_S8_S8_S8_S8_S8_S8_EEEEPS9_S9_NSD_9__find_if7functorIS9_EEEE10hipError_tPvRmT1_T2_T3_mT4_P12ihipStream_tbEUlT_E0_NS1_11comp_targetILNS1_3genE8ELNS1_11target_archE1030ELNS1_3gpuE2ELNS1_3repE0EEENS1_30default_config_static_selectorELNS0_4arch9wavefront6targetE0EEEvS14_
	.p2align	8
	.type	_ZN7rocprim17ROCPRIM_400000_NS6detail17trampoline_kernelINS0_14default_configENS1_22reduce_config_selectorIN6thrust23THRUST_200600_302600_NS5tupleIblNS6_9null_typeES8_S8_S8_S8_S8_S8_S8_EEEEZNS1_11reduce_implILb1ES3_NS6_12zip_iteratorINS7_INS6_11hip_rocprim26transform_input_iterator_tIbNSD_35transform_pair_of_input_iterators_tIbNS6_6detail15normal_iteratorINS6_10device_ptrIKiEEEESL_NS6_8equal_toIiEEEENSG_9not_fun_tINSD_8identityEEEEENSD_19counting_iterator_tIlEES8_S8_S8_S8_S8_S8_S8_S8_EEEEPS9_S9_NSD_9__find_if7functorIS9_EEEE10hipError_tPvRmT1_T2_T3_mT4_P12ihipStream_tbEUlT_E0_NS1_11comp_targetILNS1_3genE8ELNS1_11target_archE1030ELNS1_3gpuE2ELNS1_3repE0EEENS1_30default_config_static_selectorELNS0_4arch9wavefront6targetE0EEEvS14_,@function
_ZN7rocprim17ROCPRIM_400000_NS6detail17trampoline_kernelINS0_14default_configENS1_22reduce_config_selectorIN6thrust23THRUST_200600_302600_NS5tupleIblNS6_9null_typeES8_S8_S8_S8_S8_S8_S8_EEEEZNS1_11reduce_implILb1ES3_NS6_12zip_iteratorINS7_INS6_11hip_rocprim26transform_input_iterator_tIbNSD_35transform_pair_of_input_iterators_tIbNS6_6detail15normal_iteratorINS6_10device_ptrIKiEEEESL_NS6_8equal_toIiEEEENSG_9not_fun_tINSD_8identityEEEEENSD_19counting_iterator_tIlEES8_S8_S8_S8_S8_S8_S8_S8_EEEEPS9_S9_NSD_9__find_if7functorIS9_EEEE10hipError_tPvRmT1_T2_T3_mT4_P12ihipStream_tbEUlT_E0_NS1_11comp_targetILNS1_3genE8ELNS1_11target_archE1030ELNS1_3gpuE2ELNS1_3repE0EEENS1_30default_config_static_selectorELNS0_4arch9wavefront6targetE0EEEvS14_: ; @_ZN7rocprim17ROCPRIM_400000_NS6detail17trampoline_kernelINS0_14default_configENS1_22reduce_config_selectorIN6thrust23THRUST_200600_302600_NS5tupleIblNS6_9null_typeES8_S8_S8_S8_S8_S8_S8_EEEEZNS1_11reduce_implILb1ES3_NS6_12zip_iteratorINS7_INS6_11hip_rocprim26transform_input_iterator_tIbNSD_35transform_pair_of_input_iterators_tIbNS6_6detail15normal_iteratorINS6_10device_ptrIKiEEEESL_NS6_8equal_toIiEEEENSG_9not_fun_tINSD_8identityEEEEENSD_19counting_iterator_tIlEES8_S8_S8_S8_S8_S8_S8_S8_EEEEPS9_S9_NSD_9__find_if7functorIS9_EEEE10hipError_tPvRmT1_T2_T3_mT4_P12ihipStream_tbEUlT_E0_NS1_11comp_targetILNS1_3genE8ELNS1_11target_archE1030ELNS1_3gpuE2ELNS1_3repE0EEENS1_30default_config_static_selectorELNS0_4arch9wavefront6targetE0EEEvS14_
; %bb.0:
	.section	.rodata,"a",@progbits
	.p2align	6, 0x0
	.amdhsa_kernel _ZN7rocprim17ROCPRIM_400000_NS6detail17trampoline_kernelINS0_14default_configENS1_22reduce_config_selectorIN6thrust23THRUST_200600_302600_NS5tupleIblNS6_9null_typeES8_S8_S8_S8_S8_S8_S8_EEEEZNS1_11reduce_implILb1ES3_NS6_12zip_iteratorINS7_INS6_11hip_rocprim26transform_input_iterator_tIbNSD_35transform_pair_of_input_iterators_tIbNS6_6detail15normal_iteratorINS6_10device_ptrIKiEEEESL_NS6_8equal_toIiEEEENSG_9not_fun_tINSD_8identityEEEEENSD_19counting_iterator_tIlEES8_S8_S8_S8_S8_S8_S8_S8_EEEEPS9_S9_NSD_9__find_if7functorIS9_EEEE10hipError_tPvRmT1_T2_T3_mT4_P12ihipStream_tbEUlT_E0_NS1_11comp_targetILNS1_3genE8ELNS1_11target_archE1030ELNS1_3gpuE2ELNS1_3repE0EEENS1_30default_config_static_selectorELNS0_4arch9wavefront6targetE0EEEvS14_
		.amdhsa_group_segment_fixed_size 0
		.amdhsa_private_segment_fixed_size 0
		.amdhsa_kernarg_size 104
		.amdhsa_user_sgpr_count 15
		.amdhsa_user_sgpr_dispatch_ptr 0
		.amdhsa_user_sgpr_queue_ptr 0
		.amdhsa_user_sgpr_kernarg_segment_ptr 1
		.amdhsa_user_sgpr_dispatch_id 0
		.amdhsa_user_sgpr_private_segment_size 0
		.amdhsa_wavefront_size32 1
		.amdhsa_uses_dynamic_stack 0
		.amdhsa_enable_private_segment 0
		.amdhsa_system_sgpr_workgroup_id_x 1
		.amdhsa_system_sgpr_workgroup_id_y 0
		.amdhsa_system_sgpr_workgroup_id_z 0
		.amdhsa_system_sgpr_workgroup_info 0
		.amdhsa_system_vgpr_workitem_id 0
		.amdhsa_next_free_vgpr 1
		.amdhsa_next_free_sgpr 1
		.amdhsa_reserve_vcc 0
		.amdhsa_float_round_mode_32 0
		.amdhsa_float_round_mode_16_64 0
		.amdhsa_float_denorm_mode_32 3
		.amdhsa_float_denorm_mode_16_64 3
		.amdhsa_dx10_clamp 1
		.amdhsa_ieee_mode 1
		.amdhsa_fp16_overflow 0
		.amdhsa_workgroup_processor_mode 1
		.amdhsa_memory_ordered 1
		.amdhsa_forward_progress 0
		.amdhsa_shared_vgpr_count 0
		.amdhsa_exception_fp_ieee_invalid_op 0
		.amdhsa_exception_fp_denorm_src 0
		.amdhsa_exception_fp_ieee_div_zero 0
		.amdhsa_exception_fp_ieee_overflow 0
		.amdhsa_exception_fp_ieee_underflow 0
		.amdhsa_exception_fp_ieee_inexact 0
		.amdhsa_exception_int_div_zero 0
	.end_amdhsa_kernel
	.section	.text._ZN7rocprim17ROCPRIM_400000_NS6detail17trampoline_kernelINS0_14default_configENS1_22reduce_config_selectorIN6thrust23THRUST_200600_302600_NS5tupleIblNS6_9null_typeES8_S8_S8_S8_S8_S8_S8_EEEEZNS1_11reduce_implILb1ES3_NS6_12zip_iteratorINS7_INS6_11hip_rocprim26transform_input_iterator_tIbNSD_35transform_pair_of_input_iterators_tIbNS6_6detail15normal_iteratorINS6_10device_ptrIKiEEEESL_NS6_8equal_toIiEEEENSG_9not_fun_tINSD_8identityEEEEENSD_19counting_iterator_tIlEES8_S8_S8_S8_S8_S8_S8_S8_EEEEPS9_S9_NSD_9__find_if7functorIS9_EEEE10hipError_tPvRmT1_T2_T3_mT4_P12ihipStream_tbEUlT_E0_NS1_11comp_targetILNS1_3genE8ELNS1_11target_archE1030ELNS1_3gpuE2ELNS1_3repE0EEENS1_30default_config_static_selectorELNS0_4arch9wavefront6targetE0EEEvS14_,"axG",@progbits,_ZN7rocprim17ROCPRIM_400000_NS6detail17trampoline_kernelINS0_14default_configENS1_22reduce_config_selectorIN6thrust23THRUST_200600_302600_NS5tupleIblNS6_9null_typeES8_S8_S8_S8_S8_S8_S8_EEEEZNS1_11reduce_implILb1ES3_NS6_12zip_iteratorINS7_INS6_11hip_rocprim26transform_input_iterator_tIbNSD_35transform_pair_of_input_iterators_tIbNS6_6detail15normal_iteratorINS6_10device_ptrIKiEEEESL_NS6_8equal_toIiEEEENSG_9not_fun_tINSD_8identityEEEEENSD_19counting_iterator_tIlEES8_S8_S8_S8_S8_S8_S8_S8_EEEEPS9_S9_NSD_9__find_if7functorIS9_EEEE10hipError_tPvRmT1_T2_T3_mT4_P12ihipStream_tbEUlT_E0_NS1_11comp_targetILNS1_3genE8ELNS1_11target_archE1030ELNS1_3gpuE2ELNS1_3repE0EEENS1_30default_config_static_selectorELNS0_4arch9wavefront6targetE0EEEvS14_,comdat
.Lfunc_end545:
	.size	_ZN7rocprim17ROCPRIM_400000_NS6detail17trampoline_kernelINS0_14default_configENS1_22reduce_config_selectorIN6thrust23THRUST_200600_302600_NS5tupleIblNS6_9null_typeES8_S8_S8_S8_S8_S8_S8_EEEEZNS1_11reduce_implILb1ES3_NS6_12zip_iteratorINS7_INS6_11hip_rocprim26transform_input_iterator_tIbNSD_35transform_pair_of_input_iterators_tIbNS6_6detail15normal_iteratorINS6_10device_ptrIKiEEEESL_NS6_8equal_toIiEEEENSG_9not_fun_tINSD_8identityEEEEENSD_19counting_iterator_tIlEES8_S8_S8_S8_S8_S8_S8_S8_EEEEPS9_S9_NSD_9__find_if7functorIS9_EEEE10hipError_tPvRmT1_T2_T3_mT4_P12ihipStream_tbEUlT_E0_NS1_11comp_targetILNS1_3genE8ELNS1_11target_archE1030ELNS1_3gpuE2ELNS1_3repE0EEENS1_30default_config_static_selectorELNS0_4arch9wavefront6targetE0EEEvS14_, .Lfunc_end545-_ZN7rocprim17ROCPRIM_400000_NS6detail17trampoline_kernelINS0_14default_configENS1_22reduce_config_selectorIN6thrust23THRUST_200600_302600_NS5tupleIblNS6_9null_typeES8_S8_S8_S8_S8_S8_S8_EEEEZNS1_11reduce_implILb1ES3_NS6_12zip_iteratorINS7_INS6_11hip_rocprim26transform_input_iterator_tIbNSD_35transform_pair_of_input_iterators_tIbNS6_6detail15normal_iteratorINS6_10device_ptrIKiEEEESL_NS6_8equal_toIiEEEENSG_9not_fun_tINSD_8identityEEEEENSD_19counting_iterator_tIlEES8_S8_S8_S8_S8_S8_S8_S8_EEEEPS9_S9_NSD_9__find_if7functorIS9_EEEE10hipError_tPvRmT1_T2_T3_mT4_P12ihipStream_tbEUlT_E0_NS1_11comp_targetILNS1_3genE8ELNS1_11target_archE1030ELNS1_3gpuE2ELNS1_3repE0EEENS1_30default_config_static_selectorELNS0_4arch9wavefront6targetE0EEEvS14_
                                        ; -- End function
	.section	.AMDGPU.csdata,"",@progbits
; Kernel info:
; codeLenInByte = 0
; NumSgprs: 0
; NumVgprs: 0
; ScratchSize: 0
; MemoryBound: 0
; FloatMode: 240
; IeeeMode: 1
; LDSByteSize: 0 bytes/workgroup (compile time only)
; SGPRBlocks: 0
; VGPRBlocks: 0
; NumSGPRsForWavesPerEU: 1
; NumVGPRsForWavesPerEU: 1
; Occupancy: 16
; WaveLimiterHint : 0
; COMPUTE_PGM_RSRC2:SCRATCH_EN: 0
; COMPUTE_PGM_RSRC2:USER_SGPR: 15
; COMPUTE_PGM_RSRC2:TRAP_HANDLER: 0
; COMPUTE_PGM_RSRC2:TGID_X_EN: 1
; COMPUTE_PGM_RSRC2:TGID_Y_EN: 0
; COMPUTE_PGM_RSRC2:TGID_Z_EN: 0
; COMPUTE_PGM_RSRC2:TIDIG_COMP_CNT: 0
	.section	.text._ZN7rocprim17ROCPRIM_400000_NS6detail17trampoline_kernelINS0_14default_configENS1_22reduce_config_selectorIN6thrust23THRUST_200600_302600_NS5tupleIblNS6_9null_typeES8_S8_S8_S8_S8_S8_S8_EEEEZNS1_11reduce_implILb1ES3_NS6_12zip_iteratorINS7_INS6_11hip_rocprim26transform_input_iterator_tIbNSD_35transform_pair_of_input_iterators_tIbNS6_6detail15normal_iteratorINS6_10device_ptrIKiEEEESL_NS6_8equal_toIiEEEENSG_9not_fun_tINSD_8identityEEEEENSD_19counting_iterator_tIlEES8_S8_S8_S8_S8_S8_S8_S8_EEEEPS9_S9_NSD_9__find_if7functorIS9_EEEE10hipError_tPvRmT1_T2_T3_mT4_P12ihipStream_tbEUlT_E1_NS1_11comp_targetILNS1_3genE0ELNS1_11target_archE4294967295ELNS1_3gpuE0ELNS1_3repE0EEENS1_30default_config_static_selectorELNS0_4arch9wavefront6targetE0EEEvS14_,"axG",@progbits,_ZN7rocprim17ROCPRIM_400000_NS6detail17trampoline_kernelINS0_14default_configENS1_22reduce_config_selectorIN6thrust23THRUST_200600_302600_NS5tupleIblNS6_9null_typeES8_S8_S8_S8_S8_S8_S8_EEEEZNS1_11reduce_implILb1ES3_NS6_12zip_iteratorINS7_INS6_11hip_rocprim26transform_input_iterator_tIbNSD_35transform_pair_of_input_iterators_tIbNS6_6detail15normal_iteratorINS6_10device_ptrIKiEEEESL_NS6_8equal_toIiEEEENSG_9not_fun_tINSD_8identityEEEEENSD_19counting_iterator_tIlEES8_S8_S8_S8_S8_S8_S8_S8_EEEEPS9_S9_NSD_9__find_if7functorIS9_EEEE10hipError_tPvRmT1_T2_T3_mT4_P12ihipStream_tbEUlT_E1_NS1_11comp_targetILNS1_3genE0ELNS1_11target_archE4294967295ELNS1_3gpuE0ELNS1_3repE0EEENS1_30default_config_static_selectorELNS0_4arch9wavefront6targetE0EEEvS14_,comdat
	.protected	_ZN7rocprim17ROCPRIM_400000_NS6detail17trampoline_kernelINS0_14default_configENS1_22reduce_config_selectorIN6thrust23THRUST_200600_302600_NS5tupleIblNS6_9null_typeES8_S8_S8_S8_S8_S8_S8_EEEEZNS1_11reduce_implILb1ES3_NS6_12zip_iteratorINS7_INS6_11hip_rocprim26transform_input_iterator_tIbNSD_35transform_pair_of_input_iterators_tIbNS6_6detail15normal_iteratorINS6_10device_ptrIKiEEEESL_NS6_8equal_toIiEEEENSG_9not_fun_tINSD_8identityEEEEENSD_19counting_iterator_tIlEES8_S8_S8_S8_S8_S8_S8_S8_EEEEPS9_S9_NSD_9__find_if7functorIS9_EEEE10hipError_tPvRmT1_T2_T3_mT4_P12ihipStream_tbEUlT_E1_NS1_11comp_targetILNS1_3genE0ELNS1_11target_archE4294967295ELNS1_3gpuE0ELNS1_3repE0EEENS1_30default_config_static_selectorELNS0_4arch9wavefront6targetE0EEEvS14_ ; -- Begin function _ZN7rocprim17ROCPRIM_400000_NS6detail17trampoline_kernelINS0_14default_configENS1_22reduce_config_selectorIN6thrust23THRUST_200600_302600_NS5tupleIblNS6_9null_typeES8_S8_S8_S8_S8_S8_S8_EEEEZNS1_11reduce_implILb1ES3_NS6_12zip_iteratorINS7_INS6_11hip_rocprim26transform_input_iterator_tIbNSD_35transform_pair_of_input_iterators_tIbNS6_6detail15normal_iteratorINS6_10device_ptrIKiEEEESL_NS6_8equal_toIiEEEENSG_9not_fun_tINSD_8identityEEEEENSD_19counting_iterator_tIlEES8_S8_S8_S8_S8_S8_S8_S8_EEEEPS9_S9_NSD_9__find_if7functorIS9_EEEE10hipError_tPvRmT1_T2_T3_mT4_P12ihipStream_tbEUlT_E1_NS1_11comp_targetILNS1_3genE0ELNS1_11target_archE4294967295ELNS1_3gpuE0ELNS1_3repE0EEENS1_30default_config_static_selectorELNS0_4arch9wavefront6targetE0EEEvS14_
	.globl	_ZN7rocprim17ROCPRIM_400000_NS6detail17trampoline_kernelINS0_14default_configENS1_22reduce_config_selectorIN6thrust23THRUST_200600_302600_NS5tupleIblNS6_9null_typeES8_S8_S8_S8_S8_S8_S8_EEEEZNS1_11reduce_implILb1ES3_NS6_12zip_iteratorINS7_INS6_11hip_rocprim26transform_input_iterator_tIbNSD_35transform_pair_of_input_iterators_tIbNS6_6detail15normal_iteratorINS6_10device_ptrIKiEEEESL_NS6_8equal_toIiEEEENSG_9not_fun_tINSD_8identityEEEEENSD_19counting_iterator_tIlEES8_S8_S8_S8_S8_S8_S8_S8_EEEEPS9_S9_NSD_9__find_if7functorIS9_EEEE10hipError_tPvRmT1_T2_T3_mT4_P12ihipStream_tbEUlT_E1_NS1_11comp_targetILNS1_3genE0ELNS1_11target_archE4294967295ELNS1_3gpuE0ELNS1_3repE0EEENS1_30default_config_static_selectorELNS0_4arch9wavefront6targetE0EEEvS14_
	.p2align	8
	.type	_ZN7rocprim17ROCPRIM_400000_NS6detail17trampoline_kernelINS0_14default_configENS1_22reduce_config_selectorIN6thrust23THRUST_200600_302600_NS5tupleIblNS6_9null_typeES8_S8_S8_S8_S8_S8_S8_EEEEZNS1_11reduce_implILb1ES3_NS6_12zip_iteratorINS7_INS6_11hip_rocprim26transform_input_iterator_tIbNSD_35transform_pair_of_input_iterators_tIbNS6_6detail15normal_iteratorINS6_10device_ptrIKiEEEESL_NS6_8equal_toIiEEEENSG_9not_fun_tINSD_8identityEEEEENSD_19counting_iterator_tIlEES8_S8_S8_S8_S8_S8_S8_S8_EEEEPS9_S9_NSD_9__find_if7functorIS9_EEEE10hipError_tPvRmT1_T2_T3_mT4_P12ihipStream_tbEUlT_E1_NS1_11comp_targetILNS1_3genE0ELNS1_11target_archE4294967295ELNS1_3gpuE0ELNS1_3repE0EEENS1_30default_config_static_selectorELNS0_4arch9wavefront6targetE0EEEvS14_,@function
_ZN7rocprim17ROCPRIM_400000_NS6detail17trampoline_kernelINS0_14default_configENS1_22reduce_config_selectorIN6thrust23THRUST_200600_302600_NS5tupleIblNS6_9null_typeES8_S8_S8_S8_S8_S8_S8_EEEEZNS1_11reduce_implILb1ES3_NS6_12zip_iteratorINS7_INS6_11hip_rocprim26transform_input_iterator_tIbNSD_35transform_pair_of_input_iterators_tIbNS6_6detail15normal_iteratorINS6_10device_ptrIKiEEEESL_NS6_8equal_toIiEEEENSG_9not_fun_tINSD_8identityEEEEENSD_19counting_iterator_tIlEES8_S8_S8_S8_S8_S8_S8_S8_EEEEPS9_S9_NSD_9__find_if7functorIS9_EEEE10hipError_tPvRmT1_T2_T3_mT4_P12ihipStream_tbEUlT_E1_NS1_11comp_targetILNS1_3genE0ELNS1_11target_archE4294967295ELNS1_3gpuE0ELNS1_3repE0EEENS1_30default_config_static_selectorELNS0_4arch9wavefront6targetE0EEEvS14_: ; @_ZN7rocprim17ROCPRIM_400000_NS6detail17trampoline_kernelINS0_14default_configENS1_22reduce_config_selectorIN6thrust23THRUST_200600_302600_NS5tupleIblNS6_9null_typeES8_S8_S8_S8_S8_S8_S8_EEEEZNS1_11reduce_implILb1ES3_NS6_12zip_iteratorINS7_INS6_11hip_rocprim26transform_input_iterator_tIbNSD_35transform_pair_of_input_iterators_tIbNS6_6detail15normal_iteratorINS6_10device_ptrIKiEEEESL_NS6_8equal_toIiEEEENSG_9not_fun_tINSD_8identityEEEEENSD_19counting_iterator_tIlEES8_S8_S8_S8_S8_S8_S8_S8_EEEEPS9_S9_NSD_9__find_if7functorIS9_EEEE10hipError_tPvRmT1_T2_T3_mT4_P12ihipStream_tbEUlT_E1_NS1_11comp_targetILNS1_3genE0ELNS1_11target_archE4294967295ELNS1_3gpuE0ELNS1_3repE0EEENS1_30default_config_static_selectorELNS0_4arch9wavefront6targetE0EEEvS14_
; %bb.0:
	.section	.rodata,"a",@progbits
	.p2align	6, 0x0
	.amdhsa_kernel _ZN7rocprim17ROCPRIM_400000_NS6detail17trampoline_kernelINS0_14default_configENS1_22reduce_config_selectorIN6thrust23THRUST_200600_302600_NS5tupleIblNS6_9null_typeES8_S8_S8_S8_S8_S8_S8_EEEEZNS1_11reduce_implILb1ES3_NS6_12zip_iteratorINS7_INS6_11hip_rocprim26transform_input_iterator_tIbNSD_35transform_pair_of_input_iterators_tIbNS6_6detail15normal_iteratorINS6_10device_ptrIKiEEEESL_NS6_8equal_toIiEEEENSG_9not_fun_tINSD_8identityEEEEENSD_19counting_iterator_tIlEES8_S8_S8_S8_S8_S8_S8_S8_EEEEPS9_S9_NSD_9__find_if7functorIS9_EEEE10hipError_tPvRmT1_T2_T3_mT4_P12ihipStream_tbEUlT_E1_NS1_11comp_targetILNS1_3genE0ELNS1_11target_archE4294967295ELNS1_3gpuE0ELNS1_3repE0EEENS1_30default_config_static_selectorELNS0_4arch9wavefront6targetE0EEEvS14_
		.amdhsa_group_segment_fixed_size 0
		.amdhsa_private_segment_fixed_size 0
		.amdhsa_kernarg_size 88
		.amdhsa_user_sgpr_count 15
		.amdhsa_user_sgpr_dispatch_ptr 0
		.amdhsa_user_sgpr_queue_ptr 0
		.amdhsa_user_sgpr_kernarg_segment_ptr 1
		.amdhsa_user_sgpr_dispatch_id 0
		.amdhsa_user_sgpr_private_segment_size 0
		.amdhsa_wavefront_size32 1
		.amdhsa_uses_dynamic_stack 0
		.amdhsa_enable_private_segment 0
		.amdhsa_system_sgpr_workgroup_id_x 1
		.amdhsa_system_sgpr_workgroup_id_y 0
		.amdhsa_system_sgpr_workgroup_id_z 0
		.amdhsa_system_sgpr_workgroup_info 0
		.amdhsa_system_vgpr_workitem_id 0
		.amdhsa_next_free_vgpr 1
		.amdhsa_next_free_sgpr 1
		.amdhsa_reserve_vcc 0
		.amdhsa_float_round_mode_32 0
		.amdhsa_float_round_mode_16_64 0
		.amdhsa_float_denorm_mode_32 3
		.amdhsa_float_denorm_mode_16_64 3
		.amdhsa_dx10_clamp 1
		.amdhsa_ieee_mode 1
		.amdhsa_fp16_overflow 0
		.amdhsa_workgroup_processor_mode 1
		.amdhsa_memory_ordered 1
		.amdhsa_forward_progress 0
		.amdhsa_shared_vgpr_count 0
		.amdhsa_exception_fp_ieee_invalid_op 0
		.amdhsa_exception_fp_denorm_src 0
		.amdhsa_exception_fp_ieee_div_zero 0
		.amdhsa_exception_fp_ieee_overflow 0
		.amdhsa_exception_fp_ieee_underflow 0
		.amdhsa_exception_fp_ieee_inexact 0
		.amdhsa_exception_int_div_zero 0
	.end_amdhsa_kernel
	.section	.text._ZN7rocprim17ROCPRIM_400000_NS6detail17trampoline_kernelINS0_14default_configENS1_22reduce_config_selectorIN6thrust23THRUST_200600_302600_NS5tupleIblNS6_9null_typeES8_S8_S8_S8_S8_S8_S8_EEEEZNS1_11reduce_implILb1ES3_NS6_12zip_iteratorINS7_INS6_11hip_rocprim26transform_input_iterator_tIbNSD_35transform_pair_of_input_iterators_tIbNS6_6detail15normal_iteratorINS6_10device_ptrIKiEEEESL_NS6_8equal_toIiEEEENSG_9not_fun_tINSD_8identityEEEEENSD_19counting_iterator_tIlEES8_S8_S8_S8_S8_S8_S8_S8_EEEEPS9_S9_NSD_9__find_if7functorIS9_EEEE10hipError_tPvRmT1_T2_T3_mT4_P12ihipStream_tbEUlT_E1_NS1_11comp_targetILNS1_3genE0ELNS1_11target_archE4294967295ELNS1_3gpuE0ELNS1_3repE0EEENS1_30default_config_static_selectorELNS0_4arch9wavefront6targetE0EEEvS14_,"axG",@progbits,_ZN7rocprim17ROCPRIM_400000_NS6detail17trampoline_kernelINS0_14default_configENS1_22reduce_config_selectorIN6thrust23THRUST_200600_302600_NS5tupleIblNS6_9null_typeES8_S8_S8_S8_S8_S8_S8_EEEEZNS1_11reduce_implILb1ES3_NS6_12zip_iteratorINS7_INS6_11hip_rocprim26transform_input_iterator_tIbNSD_35transform_pair_of_input_iterators_tIbNS6_6detail15normal_iteratorINS6_10device_ptrIKiEEEESL_NS6_8equal_toIiEEEENSG_9not_fun_tINSD_8identityEEEEENSD_19counting_iterator_tIlEES8_S8_S8_S8_S8_S8_S8_S8_EEEEPS9_S9_NSD_9__find_if7functorIS9_EEEE10hipError_tPvRmT1_T2_T3_mT4_P12ihipStream_tbEUlT_E1_NS1_11comp_targetILNS1_3genE0ELNS1_11target_archE4294967295ELNS1_3gpuE0ELNS1_3repE0EEENS1_30default_config_static_selectorELNS0_4arch9wavefront6targetE0EEEvS14_,comdat
.Lfunc_end546:
	.size	_ZN7rocprim17ROCPRIM_400000_NS6detail17trampoline_kernelINS0_14default_configENS1_22reduce_config_selectorIN6thrust23THRUST_200600_302600_NS5tupleIblNS6_9null_typeES8_S8_S8_S8_S8_S8_S8_EEEEZNS1_11reduce_implILb1ES3_NS6_12zip_iteratorINS7_INS6_11hip_rocprim26transform_input_iterator_tIbNSD_35transform_pair_of_input_iterators_tIbNS6_6detail15normal_iteratorINS6_10device_ptrIKiEEEESL_NS6_8equal_toIiEEEENSG_9not_fun_tINSD_8identityEEEEENSD_19counting_iterator_tIlEES8_S8_S8_S8_S8_S8_S8_S8_EEEEPS9_S9_NSD_9__find_if7functorIS9_EEEE10hipError_tPvRmT1_T2_T3_mT4_P12ihipStream_tbEUlT_E1_NS1_11comp_targetILNS1_3genE0ELNS1_11target_archE4294967295ELNS1_3gpuE0ELNS1_3repE0EEENS1_30default_config_static_selectorELNS0_4arch9wavefront6targetE0EEEvS14_, .Lfunc_end546-_ZN7rocprim17ROCPRIM_400000_NS6detail17trampoline_kernelINS0_14default_configENS1_22reduce_config_selectorIN6thrust23THRUST_200600_302600_NS5tupleIblNS6_9null_typeES8_S8_S8_S8_S8_S8_S8_EEEEZNS1_11reduce_implILb1ES3_NS6_12zip_iteratorINS7_INS6_11hip_rocprim26transform_input_iterator_tIbNSD_35transform_pair_of_input_iterators_tIbNS6_6detail15normal_iteratorINS6_10device_ptrIKiEEEESL_NS6_8equal_toIiEEEENSG_9not_fun_tINSD_8identityEEEEENSD_19counting_iterator_tIlEES8_S8_S8_S8_S8_S8_S8_S8_EEEEPS9_S9_NSD_9__find_if7functorIS9_EEEE10hipError_tPvRmT1_T2_T3_mT4_P12ihipStream_tbEUlT_E1_NS1_11comp_targetILNS1_3genE0ELNS1_11target_archE4294967295ELNS1_3gpuE0ELNS1_3repE0EEENS1_30default_config_static_selectorELNS0_4arch9wavefront6targetE0EEEvS14_
                                        ; -- End function
	.section	.AMDGPU.csdata,"",@progbits
; Kernel info:
; codeLenInByte = 0
; NumSgprs: 0
; NumVgprs: 0
; ScratchSize: 0
; MemoryBound: 0
; FloatMode: 240
; IeeeMode: 1
; LDSByteSize: 0 bytes/workgroup (compile time only)
; SGPRBlocks: 0
; VGPRBlocks: 0
; NumSGPRsForWavesPerEU: 1
; NumVGPRsForWavesPerEU: 1
; Occupancy: 16
; WaveLimiterHint : 0
; COMPUTE_PGM_RSRC2:SCRATCH_EN: 0
; COMPUTE_PGM_RSRC2:USER_SGPR: 15
; COMPUTE_PGM_RSRC2:TRAP_HANDLER: 0
; COMPUTE_PGM_RSRC2:TGID_X_EN: 1
; COMPUTE_PGM_RSRC2:TGID_Y_EN: 0
; COMPUTE_PGM_RSRC2:TGID_Z_EN: 0
; COMPUTE_PGM_RSRC2:TIDIG_COMP_CNT: 0
	.section	.text._ZN7rocprim17ROCPRIM_400000_NS6detail17trampoline_kernelINS0_14default_configENS1_22reduce_config_selectorIN6thrust23THRUST_200600_302600_NS5tupleIblNS6_9null_typeES8_S8_S8_S8_S8_S8_S8_EEEEZNS1_11reduce_implILb1ES3_NS6_12zip_iteratorINS7_INS6_11hip_rocprim26transform_input_iterator_tIbNSD_35transform_pair_of_input_iterators_tIbNS6_6detail15normal_iteratorINS6_10device_ptrIKiEEEESL_NS6_8equal_toIiEEEENSG_9not_fun_tINSD_8identityEEEEENSD_19counting_iterator_tIlEES8_S8_S8_S8_S8_S8_S8_S8_EEEEPS9_S9_NSD_9__find_if7functorIS9_EEEE10hipError_tPvRmT1_T2_T3_mT4_P12ihipStream_tbEUlT_E1_NS1_11comp_targetILNS1_3genE5ELNS1_11target_archE942ELNS1_3gpuE9ELNS1_3repE0EEENS1_30default_config_static_selectorELNS0_4arch9wavefront6targetE0EEEvS14_,"axG",@progbits,_ZN7rocprim17ROCPRIM_400000_NS6detail17trampoline_kernelINS0_14default_configENS1_22reduce_config_selectorIN6thrust23THRUST_200600_302600_NS5tupleIblNS6_9null_typeES8_S8_S8_S8_S8_S8_S8_EEEEZNS1_11reduce_implILb1ES3_NS6_12zip_iteratorINS7_INS6_11hip_rocprim26transform_input_iterator_tIbNSD_35transform_pair_of_input_iterators_tIbNS6_6detail15normal_iteratorINS6_10device_ptrIKiEEEESL_NS6_8equal_toIiEEEENSG_9not_fun_tINSD_8identityEEEEENSD_19counting_iterator_tIlEES8_S8_S8_S8_S8_S8_S8_S8_EEEEPS9_S9_NSD_9__find_if7functorIS9_EEEE10hipError_tPvRmT1_T2_T3_mT4_P12ihipStream_tbEUlT_E1_NS1_11comp_targetILNS1_3genE5ELNS1_11target_archE942ELNS1_3gpuE9ELNS1_3repE0EEENS1_30default_config_static_selectorELNS0_4arch9wavefront6targetE0EEEvS14_,comdat
	.protected	_ZN7rocprim17ROCPRIM_400000_NS6detail17trampoline_kernelINS0_14default_configENS1_22reduce_config_selectorIN6thrust23THRUST_200600_302600_NS5tupleIblNS6_9null_typeES8_S8_S8_S8_S8_S8_S8_EEEEZNS1_11reduce_implILb1ES3_NS6_12zip_iteratorINS7_INS6_11hip_rocprim26transform_input_iterator_tIbNSD_35transform_pair_of_input_iterators_tIbNS6_6detail15normal_iteratorINS6_10device_ptrIKiEEEESL_NS6_8equal_toIiEEEENSG_9not_fun_tINSD_8identityEEEEENSD_19counting_iterator_tIlEES8_S8_S8_S8_S8_S8_S8_S8_EEEEPS9_S9_NSD_9__find_if7functorIS9_EEEE10hipError_tPvRmT1_T2_T3_mT4_P12ihipStream_tbEUlT_E1_NS1_11comp_targetILNS1_3genE5ELNS1_11target_archE942ELNS1_3gpuE9ELNS1_3repE0EEENS1_30default_config_static_selectorELNS0_4arch9wavefront6targetE0EEEvS14_ ; -- Begin function _ZN7rocprim17ROCPRIM_400000_NS6detail17trampoline_kernelINS0_14default_configENS1_22reduce_config_selectorIN6thrust23THRUST_200600_302600_NS5tupleIblNS6_9null_typeES8_S8_S8_S8_S8_S8_S8_EEEEZNS1_11reduce_implILb1ES3_NS6_12zip_iteratorINS7_INS6_11hip_rocprim26transform_input_iterator_tIbNSD_35transform_pair_of_input_iterators_tIbNS6_6detail15normal_iteratorINS6_10device_ptrIKiEEEESL_NS6_8equal_toIiEEEENSG_9not_fun_tINSD_8identityEEEEENSD_19counting_iterator_tIlEES8_S8_S8_S8_S8_S8_S8_S8_EEEEPS9_S9_NSD_9__find_if7functorIS9_EEEE10hipError_tPvRmT1_T2_T3_mT4_P12ihipStream_tbEUlT_E1_NS1_11comp_targetILNS1_3genE5ELNS1_11target_archE942ELNS1_3gpuE9ELNS1_3repE0EEENS1_30default_config_static_selectorELNS0_4arch9wavefront6targetE0EEEvS14_
	.globl	_ZN7rocprim17ROCPRIM_400000_NS6detail17trampoline_kernelINS0_14default_configENS1_22reduce_config_selectorIN6thrust23THRUST_200600_302600_NS5tupleIblNS6_9null_typeES8_S8_S8_S8_S8_S8_S8_EEEEZNS1_11reduce_implILb1ES3_NS6_12zip_iteratorINS7_INS6_11hip_rocprim26transform_input_iterator_tIbNSD_35transform_pair_of_input_iterators_tIbNS6_6detail15normal_iteratorINS6_10device_ptrIKiEEEESL_NS6_8equal_toIiEEEENSG_9not_fun_tINSD_8identityEEEEENSD_19counting_iterator_tIlEES8_S8_S8_S8_S8_S8_S8_S8_EEEEPS9_S9_NSD_9__find_if7functorIS9_EEEE10hipError_tPvRmT1_T2_T3_mT4_P12ihipStream_tbEUlT_E1_NS1_11comp_targetILNS1_3genE5ELNS1_11target_archE942ELNS1_3gpuE9ELNS1_3repE0EEENS1_30default_config_static_selectorELNS0_4arch9wavefront6targetE0EEEvS14_
	.p2align	8
	.type	_ZN7rocprim17ROCPRIM_400000_NS6detail17trampoline_kernelINS0_14default_configENS1_22reduce_config_selectorIN6thrust23THRUST_200600_302600_NS5tupleIblNS6_9null_typeES8_S8_S8_S8_S8_S8_S8_EEEEZNS1_11reduce_implILb1ES3_NS6_12zip_iteratorINS7_INS6_11hip_rocprim26transform_input_iterator_tIbNSD_35transform_pair_of_input_iterators_tIbNS6_6detail15normal_iteratorINS6_10device_ptrIKiEEEESL_NS6_8equal_toIiEEEENSG_9not_fun_tINSD_8identityEEEEENSD_19counting_iterator_tIlEES8_S8_S8_S8_S8_S8_S8_S8_EEEEPS9_S9_NSD_9__find_if7functorIS9_EEEE10hipError_tPvRmT1_T2_T3_mT4_P12ihipStream_tbEUlT_E1_NS1_11comp_targetILNS1_3genE5ELNS1_11target_archE942ELNS1_3gpuE9ELNS1_3repE0EEENS1_30default_config_static_selectorELNS0_4arch9wavefront6targetE0EEEvS14_,@function
_ZN7rocprim17ROCPRIM_400000_NS6detail17trampoline_kernelINS0_14default_configENS1_22reduce_config_selectorIN6thrust23THRUST_200600_302600_NS5tupleIblNS6_9null_typeES8_S8_S8_S8_S8_S8_S8_EEEEZNS1_11reduce_implILb1ES3_NS6_12zip_iteratorINS7_INS6_11hip_rocprim26transform_input_iterator_tIbNSD_35transform_pair_of_input_iterators_tIbNS6_6detail15normal_iteratorINS6_10device_ptrIKiEEEESL_NS6_8equal_toIiEEEENSG_9not_fun_tINSD_8identityEEEEENSD_19counting_iterator_tIlEES8_S8_S8_S8_S8_S8_S8_S8_EEEEPS9_S9_NSD_9__find_if7functorIS9_EEEE10hipError_tPvRmT1_T2_T3_mT4_P12ihipStream_tbEUlT_E1_NS1_11comp_targetILNS1_3genE5ELNS1_11target_archE942ELNS1_3gpuE9ELNS1_3repE0EEENS1_30default_config_static_selectorELNS0_4arch9wavefront6targetE0EEEvS14_: ; @_ZN7rocprim17ROCPRIM_400000_NS6detail17trampoline_kernelINS0_14default_configENS1_22reduce_config_selectorIN6thrust23THRUST_200600_302600_NS5tupleIblNS6_9null_typeES8_S8_S8_S8_S8_S8_S8_EEEEZNS1_11reduce_implILb1ES3_NS6_12zip_iteratorINS7_INS6_11hip_rocprim26transform_input_iterator_tIbNSD_35transform_pair_of_input_iterators_tIbNS6_6detail15normal_iteratorINS6_10device_ptrIKiEEEESL_NS6_8equal_toIiEEEENSG_9not_fun_tINSD_8identityEEEEENSD_19counting_iterator_tIlEES8_S8_S8_S8_S8_S8_S8_S8_EEEEPS9_S9_NSD_9__find_if7functorIS9_EEEE10hipError_tPvRmT1_T2_T3_mT4_P12ihipStream_tbEUlT_E1_NS1_11comp_targetILNS1_3genE5ELNS1_11target_archE942ELNS1_3gpuE9ELNS1_3repE0EEENS1_30default_config_static_selectorELNS0_4arch9wavefront6targetE0EEEvS14_
; %bb.0:
	.section	.rodata,"a",@progbits
	.p2align	6, 0x0
	.amdhsa_kernel _ZN7rocprim17ROCPRIM_400000_NS6detail17trampoline_kernelINS0_14default_configENS1_22reduce_config_selectorIN6thrust23THRUST_200600_302600_NS5tupleIblNS6_9null_typeES8_S8_S8_S8_S8_S8_S8_EEEEZNS1_11reduce_implILb1ES3_NS6_12zip_iteratorINS7_INS6_11hip_rocprim26transform_input_iterator_tIbNSD_35transform_pair_of_input_iterators_tIbNS6_6detail15normal_iteratorINS6_10device_ptrIKiEEEESL_NS6_8equal_toIiEEEENSG_9not_fun_tINSD_8identityEEEEENSD_19counting_iterator_tIlEES8_S8_S8_S8_S8_S8_S8_S8_EEEEPS9_S9_NSD_9__find_if7functorIS9_EEEE10hipError_tPvRmT1_T2_T3_mT4_P12ihipStream_tbEUlT_E1_NS1_11comp_targetILNS1_3genE5ELNS1_11target_archE942ELNS1_3gpuE9ELNS1_3repE0EEENS1_30default_config_static_selectorELNS0_4arch9wavefront6targetE0EEEvS14_
		.amdhsa_group_segment_fixed_size 0
		.amdhsa_private_segment_fixed_size 0
		.amdhsa_kernarg_size 88
		.amdhsa_user_sgpr_count 15
		.amdhsa_user_sgpr_dispatch_ptr 0
		.amdhsa_user_sgpr_queue_ptr 0
		.amdhsa_user_sgpr_kernarg_segment_ptr 1
		.amdhsa_user_sgpr_dispatch_id 0
		.amdhsa_user_sgpr_private_segment_size 0
		.amdhsa_wavefront_size32 1
		.amdhsa_uses_dynamic_stack 0
		.amdhsa_enable_private_segment 0
		.amdhsa_system_sgpr_workgroup_id_x 1
		.amdhsa_system_sgpr_workgroup_id_y 0
		.amdhsa_system_sgpr_workgroup_id_z 0
		.amdhsa_system_sgpr_workgroup_info 0
		.amdhsa_system_vgpr_workitem_id 0
		.amdhsa_next_free_vgpr 1
		.amdhsa_next_free_sgpr 1
		.amdhsa_reserve_vcc 0
		.amdhsa_float_round_mode_32 0
		.amdhsa_float_round_mode_16_64 0
		.amdhsa_float_denorm_mode_32 3
		.amdhsa_float_denorm_mode_16_64 3
		.amdhsa_dx10_clamp 1
		.amdhsa_ieee_mode 1
		.amdhsa_fp16_overflow 0
		.amdhsa_workgroup_processor_mode 1
		.amdhsa_memory_ordered 1
		.amdhsa_forward_progress 0
		.amdhsa_shared_vgpr_count 0
		.amdhsa_exception_fp_ieee_invalid_op 0
		.amdhsa_exception_fp_denorm_src 0
		.amdhsa_exception_fp_ieee_div_zero 0
		.amdhsa_exception_fp_ieee_overflow 0
		.amdhsa_exception_fp_ieee_underflow 0
		.amdhsa_exception_fp_ieee_inexact 0
		.amdhsa_exception_int_div_zero 0
	.end_amdhsa_kernel
	.section	.text._ZN7rocprim17ROCPRIM_400000_NS6detail17trampoline_kernelINS0_14default_configENS1_22reduce_config_selectorIN6thrust23THRUST_200600_302600_NS5tupleIblNS6_9null_typeES8_S8_S8_S8_S8_S8_S8_EEEEZNS1_11reduce_implILb1ES3_NS6_12zip_iteratorINS7_INS6_11hip_rocprim26transform_input_iterator_tIbNSD_35transform_pair_of_input_iterators_tIbNS6_6detail15normal_iteratorINS6_10device_ptrIKiEEEESL_NS6_8equal_toIiEEEENSG_9not_fun_tINSD_8identityEEEEENSD_19counting_iterator_tIlEES8_S8_S8_S8_S8_S8_S8_S8_EEEEPS9_S9_NSD_9__find_if7functorIS9_EEEE10hipError_tPvRmT1_T2_T3_mT4_P12ihipStream_tbEUlT_E1_NS1_11comp_targetILNS1_3genE5ELNS1_11target_archE942ELNS1_3gpuE9ELNS1_3repE0EEENS1_30default_config_static_selectorELNS0_4arch9wavefront6targetE0EEEvS14_,"axG",@progbits,_ZN7rocprim17ROCPRIM_400000_NS6detail17trampoline_kernelINS0_14default_configENS1_22reduce_config_selectorIN6thrust23THRUST_200600_302600_NS5tupleIblNS6_9null_typeES8_S8_S8_S8_S8_S8_S8_EEEEZNS1_11reduce_implILb1ES3_NS6_12zip_iteratorINS7_INS6_11hip_rocprim26transform_input_iterator_tIbNSD_35transform_pair_of_input_iterators_tIbNS6_6detail15normal_iteratorINS6_10device_ptrIKiEEEESL_NS6_8equal_toIiEEEENSG_9not_fun_tINSD_8identityEEEEENSD_19counting_iterator_tIlEES8_S8_S8_S8_S8_S8_S8_S8_EEEEPS9_S9_NSD_9__find_if7functorIS9_EEEE10hipError_tPvRmT1_T2_T3_mT4_P12ihipStream_tbEUlT_E1_NS1_11comp_targetILNS1_3genE5ELNS1_11target_archE942ELNS1_3gpuE9ELNS1_3repE0EEENS1_30default_config_static_selectorELNS0_4arch9wavefront6targetE0EEEvS14_,comdat
.Lfunc_end547:
	.size	_ZN7rocprim17ROCPRIM_400000_NS6detail17trampoline_kernelINS0_14default_configENS1_22reduce_config_selectorIN6thrust23THRUST_200600_302600_NS5tupleIblNS6_9null_typeES8_S8_S8_S8_S8_S8_S8_EEEEZNS1_11reduce_implILb1ES3_NS6_12zip_iteratorINS7_INS6_11hip_rocprim26transform_input_iterator_tIbNSD_35transform_pair_of_input_iterators_tIbNS6_6detail15normal_iteratorINS6_10device_ptrIKiEEEESL_NS6_8equal_toIiEEEENSG_9not_fun_tINSD_8identityEEEEENSD_19counting_iterator_tIlEES8_S8_S8_S8_S8_S8_S8_S8_EEEEPS9_S9_NSD_9__find_if7functorIS9_EEEE10hipError_tPvRmT1_T2_T3_mT4_P12ihipStream_tbEUlT_E1_NS1_11comp_targetILNS1_3genE5ELNS1_11target_archE942ELNS1_3gpuE9ELNS1_3repE0EEENS1_30default_config_static_selectorELNS0_4arch9wavefront6targetE0EEEvS14_, .Lfunc_end547-_ZN7rocprim17ROCPRIM_400000_NS6detail17trampoline_kernelINS0_14default_configENS1_22reduce_config_selectorIN6thrust23THRUST_200600_302600_NS5tupleIblNS6_9null_typeES8_S8_S8_S8_S8_S8_S8_EEEEZNS1_11reduce_implILb1ES3_NS6_12zip_iteratorINS7_INS6_11hip_rocprim26transform_input_iterator_tIbNSD_35transform_pair_of_input_iterators_tIbNS6_6detail15normal_iteratorINS6_10device_ptrIKiEEEESL_NS6_8equal_toIiEEEENSG_9not_fun_tINSD_8identityEEEEENSD_19counting_iterator_tIlEES8_S8_S8_S8_S8_S8_S8_S8_EEEEPS9_S9_NSD_9__find_if7functorIS9_EEEE10hipError_tPvRmT1_T2_T3_mT4_P12ihipStream_tbEUlT_E1_NS1_11comp_targetILNS1_3genE5ELNS1_11target_archE942ELNS1_3gpuE9ELNS1_3repE0EEENS1_30default_config_static_selectorELNS0_4arch9wavefront6targetE0EEEvS14_
                                        ; -- End function
	.section	.AMDGPU.csdata,"",@progbits
; Kernel info:
; codeLenInByte = 0
; NumSgprs: 0
; NumVgprs: 0
; ScratchSize: 0
; MemoryBound: 0
; FloatMode: 240
; IeeeMode: 1
; LDSByteSize: 0 bytes/workgroup (compile time only)
; SGPRBlocks: 0
; VGPRBlocks: 0
; NumSGPRsForWavesPerEU: 1
; NumVGPRsForWavesPerEU: 1
; Occupancy: 16
; WaveLimiterHint : 0
; COMPUTE_PGM_RSRC2:SCRATCH_EN: 0
; COMPUTE_PGM_RSRC2:USER_SGPR: 15
; COMPUTE_PGM_RSRC2:TRAP_HANDLER: 0
; COMPUTE_PGM_RSRC2:TGID_X_EN: 1
; COMPUTE_PGM_RSRC2:TGID_Y_EN: 0
; COMPUTE_PGM_RSRC2:TGID_Z_EN: 0
; COMPUTE_PGM_RSRC2:TIDIG_COMP_CNT: 0
	.section	.text._ZN7rocprim17ROCPRIM_400000_NS6detail17trampoline_kernelINS0_14default_configENS1_22reduce_config_selectorIN6thrust23THRUST_200600_302600_NS5tupleIblNS6_9null_typeES8_S8_S8_S8_S8_S8_S8_EEEEZNS1_11reduce_implILb1ES3_NS6_12zip_iteratorINS7_INS6_11hip_rocprim26transform_input_iterator_tIbNSD_35transform_pair_of_input_iterators_tIbNS6_6detail15normal_iteratorINS6_10device_ptrIKiEEEESL_NS6_8equal_toIiEEEENSG_9not_fun_tINSD_8identityEEEEENSD_19counting_iterator_tIlEES8_S8_S8_S8_S8_S8_S8_S8_EEEEPS9_S9_NSD_9__find_if7functorIS9_EEEE10hipError_tPvRmT1_T2_T3_mT4_P12ihipStream_tbEUlT_E1_NS1_11comp_targetILNS1_3genE4ELNS1_11target_archE910ELNS1_3gpuE8ELNS1_3repE0EEENS1_30default_config_static_selectorELNS0_4arch9wavefront6targetE0EEEvS14_,"axG",@progbits,_ZN7rocprim17ROCPRIM_400000_NS6detail17trampoline_kernelINS0_14default_configENS1_22reduce_config_selectorIN6thrust23THRUST_200600_302600_NS5tupleIblNS6_9null_typeES8_S8_S8_S8_S8_S8_S8_EEEEZNS1_11reduce_implILb1ES3_NS6_12zip_iteratorINS7_INS6_11hip_rocprim26transform_input_iterator_tIbNSD_35transform_pair_of_input_iterators_tIbNS6_6detail15normal_iteratorINS6_10device_ptrIKiEEEESL_NS6_8equal_toIiEEEENSG_9not_fun_tINSD_8identityEEEEENSD_19counting_iterator_tIlEES8_S8_S8_S8_S8_S8_S8_S8_EEEEPS9_S9_NSD_9__find_if7functorIS9_EEEE10hipError_tPvRmT1_T2_T3_mT4_P12ihipStream_tbEUlT_E1_NS1_11comp_targetILNS1_3genE4ELNS1_11target_archE910ELNS1_3gpuE8ELNS1_3repE0EEENS1_30default_config_static_selectorELNS0_4arch9wavefront6targetE0EEEvS14_,comdat
	.protected	_ZN7rocprim17ROCPRIM_400000_NS6detail17trampoline_kernelINS0_14default_configENS1_22reduce_config_selectorIN6thrust23THRUST_200600_302600_NS5tupleIblNS6_9null_typeES8_S8_S8_S8_S8_S8_S8_EEEEZNS1_11reduce_implILb1ES3_NS6_12zip_iteratorINS7_INS6_11hip_rocprim26transform_input_iterator_tIbNSD_35transform_pair_of_input_iterators_tIbNS6_6detail15normal_iteratorINS6_10device_ptrIKiEEEESL_NS6_8equal_toIiEEEENSG_9not_fun_tINSD_8identityEEEEENSD_19counting_iterator_tIlEES8_S8_S8_S8_S8_S8_S8_S8_EEEEPS9_S9_NSD_9__find_if7functorIS9_EEEE10hipError_tPvRmT1_T2_T3_mT4_P12ihipStream_tbEUlT_E1_NS1_11comp_targetILNS1_3genE4ELNS1_11target_archE910ELNS1_3gpuE8ELNS1_3repE0EEENS1_30default_config_static_selectorELNS0_4arch9wavefront6targetE0EEEvS14_ ; -- Begin function _ZN7rocprim17ROCPRIM_400000_NS6detail17trampoline_kernelINS0_14default_configENS1_22reduce_config_selectorIN6thrust23THRUST_200600_302600_NS5tupleIblNS6_9null_typeES8_S8_S8_S8_S8_S8_S8_EEEEZNS1_11reduce_implILb1ES3_NS6_12zip_iteratorINS7_INS6_11hip_rocprim26transform_input_iterator_tIbNSD_35transform_pair_of_input_iterators_tIbNS6_6detail15normal_iteratorINS6_10device_ptrIKiEEEESL_NS6_8equal_toIiEEEENSG_9not_fun_tINSD_8identityEEEEENSD_19counting_iterator_tIlEES8_S8_S8_S8_S8_S8_S8_S8_EEEEPS9_S9_NSD_9__find_if7functorIS9_EEEE10hipError_tPvRmT1_T2_T3_mT4_P12ihipStream_tbEUlT_E1_NS1_11comp_targetILNS1_3genE4ELNS1_11target_archE910ELNS1_3gpuE8ELNS1_3repE0EEENS1_30default_config_static_selectorELNS0_4arch9wavefront6targetE0EEEvS14_
	.globl	_ZN7rocprim17ROCPRIM_400000_NS6detail17trampoline_kernelINS0_14default_configENS1_22reduce_config_selectorIN6thrust23THRUST_200600_302600_NS5tupleIblNS6_9null_typeES8_S8_S8_S8_S8_S8_S8_EEEEZNS1_11reduce_implILb1ES3_NS6_12zip_iteratorINS7_INS6_11hip_rocprim26transform_input_iterator_tIbNSD_35transform_pair_of_input_iterators_tIbNS6_6detail15normal_iteratorINS6_10device_ptrIKiEEEESL_NS6_8equal_toIiEEEENSG_9not_fun_tINSD_8identityEEEEENSD_19counting_iterator_tIlEES8_S8_S8_S8_S8_S8_S8_S8_EEEEPS9_S9_NSD_9__find_if7functorIS9_EEEE10hipError_tPvRmT1_T2_T3_mT4_P12ihipStream_tbEUlT_E1_NS1_11comp_targetILNS1_3genE4ELNS1_11target_archE910ELNS1_3gpuE8ELNS1_3repE0EEENS1_30default_config_static_selectorELNS0_4arch9wavefront6targetE0EEEvS14_
	.p2align	8
	.type	_ZN7rocprim17ROCPRIM_400000_NS6detail17trampoline_kernelINS0_14default_configENS1_22reduce_config_selectorIN6thrust23THRUST_200600_302600_NS5tupleIblNS6_9null_typeES8_S8_S8_S8_S8_S8_S8_EEEEZNS1_11reduce_implILb1ES3_NS6_12zip_iteratorINS7_INS6_11hip_rocprim26transform_input_iterator_tIbNSD_35transform_pair_of_input_iterators_tIbNS6_6detail15normal_iteratorINS6_10device_ptrIKiEEEESL_NS6_8equal_toIiEEEENSG_9not_fun_tINSD_8identityEEEEENSD_19counting_iterator_tIlEES8_S8_S8_S8_S8_S8_S8_S8_EEEEPS9_S9_NSD_9__find_if7functorIS9_EEEE10hipError_tPvRmT1_T2_T3_mT4_P12ihipStream_tbEUlT_E1_NS1_11comp_targetILNS1_3genE4ELNS1_11target_archE910ELNS1_3gpuE8ELNS1_3repE0EEENS1_30default_config_static_selectorELNS0_4arch9wavefront6targetE0EEEvS14_,@function
_ZN7rocprim17ROCPRIM_400000_NS6detail17trampoline_kernelINS0_14default_configENS1_22reduce_config_selectorIN6thrust23THRUST_200600_302600_NS5tupleIblNS6_9null_typeES8_S8_S8_S8_S8_S8_S8_EEEEZNS1_11reduce_implILb1ES3_NS6_12zip_iteratorINS7_INS6_11hip_rocprim26transform_input_iterator_tIbNSD_35transform_pair_of_input_iterators_tIbNS6_6detail15normal_iteratorINS6_10device_ptrIKiEEEESL_NS6_8equal_toIiEEEENSG_9not_fun_tINSD_8identityEEEEENSD_19counting_iterator_tIlEES8_S8_S8_S8_S8_S8_S8_S8_EEEEPS9_S9_NSD_9__find_if7functorIS9_EEEE10hipError_tPvRmT1_T2_T3_mT4_P12ihipStream_tbEUlT_E1_NS1_11comp_targetILNS1_3genE4ELNS1_11target_archE910ELNS1_3gpuE8ELNS1_3repE0EEENS1_30default_config_static_selectorELNS0_4arch9wavefront6targetE0EEEvS14_: ; @_ZN7rocprim17ROCPRIM_400000_NS6detail17trampoline_kernelINS0_14default_configENS1_22reduce_config_selectorIN6thrust23THRUST_200600_302600_NS5tupleIblNS6_9null_typeES8_S8_S8_S8_S8_S8_S8_EEEEZNS1_11reduce_implILb1ES3_NS6_12zip_iteratorINS7_INS6_11hip_rocprim26transform_input_iterator_tIbNSD_35transform_pair_of_input_iterators_tIbNS6_6detail15normal_iteratorINS6_10device_ptrIKiEEEESL_NS6_8equal_toIiEEEENSG_9not_fun_tINSD_8identityEEEEENSD_19counting_iterator_tIlEES8_S8_S8_S8_S8_S8_S8_S8_EEEEPS9_S9_NSD_9__find_if7functorIS9_EEEE10hipError_tPvRmT1_T2_T3_mT4_P12ihipStream_tbEUlT_E1_NS1_11comp_targetILNS1_3genE4ELNS1_11target_archE910ELNS1_3gpuE8ELNS1_3repE0EEENS1_30default_config_static_selectorELNS0_4arch9wavefront6targetE0EEEvS14_
; %bb.0:
	.section	.rodata,"a",@progbits
	.p2align	6, 0x0
	.amdhsa_kernel _ZN7rocprim17ROCPRIM_400000_NS6detail17trampoline_kernelINS0_14default_configENS1_22reduce_config_selectorIN6thrust23THRUST_200600_302600_NS5tupleIblNS6_9null_typeES8_S8_S8_S8_S8_S8_S8_EEEEZNS1_11reduce_implILb1ES3_NS6_12zip_iteratorINS7_INS6_11hip_rocprim26transform_input_iterator_tIbNSD_35transform_pair_of_input_iterators_tIbNS6_6detail15normal_iteratorINS6_10device_ptrIKiEEEESL_NS6_8equal_toIiEEEENSG_9not_fun_tINSD_8identityEEEEENSD_19counting_iterator_tIlEES8_S8_S8_S8_S8_S8_S8_S8_EEEEPS9_S9_NSD_9__find_if7functorIS9_EEEE10hipError_tPvRmT1_T2_T3_mT4_P12ihipStream_tbEUlT_E1_NS1_11comp_targetILNS1_3genE4ELNS1_11target_archE910ELNS1_3gpuE8ELNS1_3repE0EEENS1_30default_config_static_selectorELNS0_4arch9wavefront6targetE0EEEvS14_
		.amdhsa_group_segment_fixed_size 0
		.amdhsa_private_segment_fixed_size 0
		.amdhsa_kernarg_size 88
		.amdhsa_user_sgpr_count 15
		.amdhsa_user_sgpr_dispatch_ptr 0
		.amdhsa_user_sgpr_queue_ptr 0
		.amdhsa_user_sgpr_kernarg_segment_ptr 1
		.amdhsa_user_sgpr_dispatch_id 0
		.amdhsa_user_sgpr_private_segment_size 0
		.amdhsa_wavefront_size32 1
		.amdhsa_uses_dynamic_stack 0
		.amdhsa_enable_private_segment 0
		.amdhsa_system_sgpr_workgroup_id_x 1
		.amdhsa_system_sgpr_workgroup_id_y 0
		.amdhsa_system_sgpr_workgroup_id_z 0
		.amdhsa_system_sgpr_workgroup_info 0
		.amdhsa_system_vgpr_workitem_id 0
		.amdhsa_next_free_vgpr 1
		.amdhsa_next_free_sgpr 1
		.amdhsa_reserve_vcc 0
		.amdhsa_float_round_mode_32 0
		.amdhsa_float_round_mode_16_64 0
		.amdhsa_float_denorm_mode_32 3
		.amdhsa_float_denorm_mode_16_64 3
		.amdhsa_dx10_clamp 1
		.amdhsa_ieee_mode 1
		.amdhsa_fp16_overflow 0
		.amdhsa_workgroup_processor_mode 1
		.amdhsa_memory_ordered 1
		.amdhsa_forward_progress 0
		.amdhsa_shared_vgpr_count 0
		.amdhsa_exception_fp_ieee_invalid_op 0
		.amdhsa_exception_fp_denorm_src 0
		.amdhsa_exception_fp_ieee_div_zero 0
		.amdhsa_exception_fp_ieee_overflow 0
		.amdhsa_exception_fp_ieee_underflow 0
		.amdhsa_exception_fp_ieee_inexact 0
		.amdhsa_exception_int_div_zero 0
	.end_amdhsa_kernel
	.section	.text._ZN7rocprim17ROCPRIM_400000_NS6detail17trampoline_kernelINS0_14default_configENS1_22reduce_config_selectorIN6thrust23THRUST_200600_302600_NS5tupleIblNS6_9null_typeES8_S8_S8_S8_S8_S8_S8_EEEEZNS1_11reduce_implILb1ES3_NS6_12zip_iteratorINS7_INS6_11hip_rocprim26transform_input_iterator_tIbNSD_35transform_pair_of_input_iterators_tIbNS6_6detail15normal_iteratorINS6_10device_ptrIKiEEEESL_NS6_8equal_toIiEEEENSG_9not_fun_tINSD_8identityEEEEENSD_19counting_iterator_tIlEES8_S8_S8_S8_S8_S8_S8_S8_EEEEPS9_S9_NSD_9__find_if7functorIS9_EEEE10hipError_tPvRmT1_T2_T3_mT4_P12ihipStream_tbEUlT_E1_NS1_11comp_targetILNS1_3genE4ELNS1_11target_archE910ELNS1_3gpuE8ELNS1_3repE0EEENS1_30default_config_static_selectorELNS0_4arch9wavefront6targetE0EEEvS14_,"axG",@progbits,_ZN7rocprim17ROCPRIM_400000_NS6detail17trampoline_kernelINS0_14default_configENS1_22reduce_config_selectorIN6thrust23THRUST_200600_302600_NS5tupleIblNS6_9null_typeES8_S8_S8_S8_S8_S8_S8_EEEEZNS1_11reduce_implILb1ES3_NS6_12zip_iteratorINS7_INS6_11hip_rocprim26transform_input_iterator_tIbNSD_35transform_pair_of_input_iterators_tIbNS6_6detail15normal_iteratorINS6_10device_ptrIKiEEEESL_NS6_8equal_toIiEEEENSG_9not_fun_tINSD_8identityEEEEENSD_19counting_iterator_tIlEES8_S8_S8_S8_S8_S8_S8_S8_EEEEPS9_S9_NSD_9__find_if7functorIS9_EEEE10hipError_tPvRmT1_T2_T3_mT4_P12ihipStream_tbEUlT_E1_NS1_11comp_targetILNS1_3genE4ELNS1_11target_archE910ELNS1_3gpuE8ELNS1_3repE0EEENS1_30default_config_static_selectorELNS0_4arch9wavefront6targetE0EEEvS14_,comdat
.Lfunc_end548:
	.size	_ZN7rocprim17ROCPRIM_400000_NS6detail17trampoline_kernelINS0_14default_configENS1_22reduce_config_selectorIN6thrust23THRUST_200600_302600_NS5tupleIblNS6_9null_typeES8_S8_S8_S8_S8_S8_S8_EEEEZNS1_11reduce_implILb1ES3_NS6_12zip_iteratorINS7_INS6_11hip_rocprim26transform_input_iterator_tIbNSD_35transform_pair_of_input_iterators_tIbNS6_6detail15normal_iteratorINS6_10device_ptrIKiEEEESL_NS6_8equal_toIiEEEENSG_9not_fun_tINSD_8identityEEEEENSD_19counting_iterator_tIlEES8_S8_S8_S8_S8_S8_S8_S8_EEEEPS9_S9_NSD_9__find_if7functorIS9_EEEE10hipError_tPvRmT1_T2_T3_mT4_P12ihipStream_tbEUlT_E1_NS1_11comp_targetILNS1_3genE4ELNS1_11target_archE910ELNS1_3gpuE8ELNS1_3repE0EEENS1_30default_config_static_selectorELNS0_4arch9wavefront6targetE0EEEvS14_, .Lfunc_end548-_ZN7rocprim17ROCPRIM_400000_NS6detail17trampoline_kernelINS0_14default_configENS1_22reduce_config_selectorIN6thrust23THRUST_200600_302600_NS5tupleIblNS6_9null_typeES8_S8_S8_S8_S8_S8_S8_EEEEZNS1_11reduce_implILb1ES3_NS6_12zip_iteratorINS7_INS6_11hip_rocprim26transform_input_iterator_tIbNSD_35transform_pair_of_input_iterators_tIbNS6_6detail15normal_iteratorINS6_10device_ptrIKiEEEESL_NS6_8equal_toIiEEEENSG_9not_fun_tINSD_8identityEEEEENSD_19counting_iterator_tIlEES8_S8_S8_S8_S8_S8_S8_S8_EEEEPS9_S9_NSD_9__find_if7functorIS9_EEEE10hipError_tPvRmT1_T2_T3_mT4_P12ihipStream_tbEUlT_E1_NS1_11comp_targetILNS1_3genE4ELNS1_11target_archE910ELNS1_3gpuE8ELNS1_3repE0EEENS1_30default_config_static_selectorELNS0_4arch9wavefront6targetE0EEEvS14_
                                        ; -- End function
	.section	.AMDGPU.csdata,"",@progbits
; Kernel info:
; codeLenInByte = 0
; NumSgprs: 0
; NumVgprs: 0
; ScratchSize: 0
; MemoryBound: 0
; FloatMode: 240
; IeeeMode: 1
; LDSByteSize: 0 bytes/workgroup (compile time only)
; SGPRBlocks: 0
; VGPRBlocks: 0
; NumSGPRsForWavesPerEU: 1
; NumVGPRsForWavesPerEU: 1
; Occupancy: 16
; WaveLimiterHint : 0
; COMPUTE_PGM_RSRC2:SCRATCH_EN: 0
; COMPUTE_PGM_RSRC2:USER_SGPR: 15
; COMPUTE_PGM_RSRC2:TRAP_HANDLER: 0
; COMPUTE_PGM_RSRC2:TGID_X_EN: 1
; COMPUTE_PGM_RSRC2:TGID_Y_EN: 0
; COMPUTE_PGM_RSRC2:TGID_Z_EN: 0
; COMPUTE_PGM_RSRC2:TIDIG_COMP_CNT: 0
	.section	.text._ZN7rocprim17ROCPRIM_400000_NS6detail17trampoline_kernelINS0_14default_configENS1_22reduce_config_selectorIN6thrust23THRUST_200600_302600_NS5tupleIblNS6_9null_typeES8_S8_S8_S8_S8_S8_S8_EEEEZNS1_11reduce_implILb1ES3_NS6_12zip_iteratorINS7_INS6_11hip_rocprim26transform_input_iterator_tIbNSD_35transform_pair_of_input_iterators_tIbNS6_6detail15normal_iteratorINS6_10device_ptrIKiEEEESL_NS6_8equal_toIiEEEENSG_9not_fun_tINSD_8identityEEEEENSD_19counting_iterator_tIlEES8_S8_S8_S8_S8_S8_S8_S8_EEEEPS9_S9_NSD_9__find_if7functorIS9_EEEE10hipError_tPvRmT1_T2_T3_mT4_P12ihipStream_tbEUlT_E1_NS1_11comp_targetILNS1_3genE3ELNS1_11target_archE908ELNS1_3gpuE7ELNS1_3repE0EEENS1_30default_config_static_selectorELNS0_4arch9wavefront6targetE0EEEvS14_,"axG",@progbits,_ZN7rocprim17ROCPRIM_400000_NS6detail17trampoline_kernelINS0_14default_configENS1_22reduce_config_selectorIN6thrust23THRUST_200600_302600_NS5tupleIblNS6_9null_typeES8_S8_S8_S8_S8_S8_S8_EEEEZNS1_11reduce_implILb1ES3_NS6_12zip_iteratorINS7_INS6_11hip_rocprim26transform_input_iterator_tIbNSD_35transform_pair_of_input_iterators_tIbNS6_6detail15normal_iteratorINS6_10device_ptrIKiEEEESL_NS6_8equal_toIiEEEENSG_9not_fun_tINSD_8identityEEEEENSD_19counting_iterator_tIlEES8_S8_S8_S8_S8_S8_S8_S8_EEEEPS9_S9_NSD_9__find_if7functorIS9_EEEE10hipError_tPvRmT1_T2_T3_mT4_P12ihipStream_tbEUlT_E1_NS1_11comp_targetILNS1_3genE3ELNS1_11target_archE908ELNS1_3gpuE7ELNS1_3repE0EEENS1_30default_config_static_selectorELNS0_4arch9wavefront6targetE0EEEvS14_,comdat
	.protected	_ZN7rocprim17ROCPRIM_400000_NS6detail17trampoline_kernelINS0_14default_configENS1_22reduce_config_selectorIN6thrust23THRUST_200600_302600_NS5tupleIblNS6_9null_typeES8_S8_S8_S8_S8_S8_S8_EEEEZNS1_11reduce_implILb1ES3_NS6_12zip_iteratorINS7_INS6_11hip_rocprim26transform_input_iterator_tIbNSD_35transform_pair_of_input_iterators_tIbNS6_6detail15normal_iteratorINS6_10device_ptrIKiEEEESL_NS6_8equal_toIiEEEENSG_9not_fun_tINSD_8identityEEEEENSD_19counting_iterator_tIlEES8_S8_S8_S8_S8_S8_S8_S8_EEEEPS9_S9_NSD_9__find_if7functorIS9_EEEE10hipError_tPvRmT1_T2_T3_mT4_P12ihipStream_tbEUlT_E1_NS1_11comp_targetILNS1_3genE3ELNS1_11target_archE908ELNS1_3gpuE7ELNS1_3repE0EEENS1_30default_config_static_selectorELNS0_4arch9wavefront6targetE0EEEvS14_ ; -- Begin function _ZN7rocprim17ROCPRIM_400000_NS6detail17trampoline_kernelINS0_14default_configENS1_22reduce_config_selectorIN6thrust23THRUST_200600_302600_NS5tupleIblNS6_9null_typeES8_S8_S8_S8_S8_S8_S8_EEEEZNS1_11reduce_implILb1ES3_NS6_12zip_iteratorINS7_INS6_11hip_rocprim26transform_input_iterator_tIbNSD_35transform_pair_of_input_iterators_tIbNS6_6detail15normal_iteratorINS6_10device_ptrIKiEEEESL_NS6_8equal_toIiEEEENSG_9not_fun_tINSD_8identityEEEEENSD_19counting_iterator_tIlEES8_S8_S8_S8_S8_S8_S8_S8_EEEEPS9_S9_NSD_9__find_if7functorIS9_EEEE10hipError_tPvRmT1_T2_T3_mT4_P12ihipStream_tbEUlT_E1_NS1_11comp_targetILNS1_3genE3ELNS1_11target_archE908ELNS1_3gpuE7ELNS1_3repE0EEENS1_30default_config_static_selectorELNS0_4arch9wavefront6targetE0EEEvS14_
	.globl	_ZN7rocprim17ROCPRIM_400000_NS6detail17trampoline_kernelINS0_14default_configENS1_22reduce_config_selectorIN6thrust23THRUST_200600_302600_NS5tupleIblNS6_9null_typeES8_S8_S8_S8_S8_S8_S8_EEEEZNS1_11reduce_implILb1ES3_NS6_12zip_iteratorINS7_INS6_11hip_rocprim26transform_input_iterator_tIbNSD_35transform_pair_of_input_iterators_tIbNS6_6detail15normal_iteratorINS6_10device_ptrIKiEEEESL_NS6_8equal_toIiEEEENSG_9not_fun_tINSD_8identityEEEEENSD_19counting_iterator_tIlEES8_S8_S8_S8_S8_S8_S8_S8_EEEEPS9_S9_NSD_9__find_if7functorIS9_EEEE10hipError_tPvRmT1_T2_T3_mT4_P12ihipStream_tbEUlT_E1_NS1_11comp_targetILNS1_3genE3ELNS1_11target_archE908ELNS1_3gpuE7ELNS1_3repE0EEENS1_30default_config_static_selectorELNS0_4arch9wavefront6targetE0EEEvS14_
	.p2align	8
	.type	_ZN7rocprim17ROCPRIM_400000_NS6detail17trampoline_kernelINS0_14default_configENS1_22reduce_config_selectorIN6thrust23THRUST_200600_302600_NS5tupleIblNS6_9null_typeES8_S8_S8_S8_S8_S8_S8_EEEEZNS1_11reduce_implILb1ES3_NS6_12zip_iteratorINS7_INS6_11hip_rocprim26transform_input_iterator_tIbNSD_35transform_pair_of_input_iterators_tIbNS6_6detail15normal_iteratorINS6_10device_ptrIKiEEEESL_NS6_8equal_toIiEEEENSG_9not_fun_tINSD_8identityEEEEENSD_19counting_iterator_tIlEES8_S8_S8_S8_S8_S8_S8_S8_EEEEPS9_S9_NSD_9__find_if7functorIS9_EEEE10hipError_tPvRmT1_T2_T3_mT4_P12ihipStream_tbEUlT_E1_NS1_11comp_targetILNS1_3genE3ELNS1_11target_archE908ELNS1_3gpuE7ELNS1_3repE0EEENS1_30default_config_static_selectorELNS0_4arch9wavefront6targetE0EEEvS14_,@function
_ZN7rocprim17ROCPRIM_400000_NS6detail17trampoline_kernelINS0_14default_configENS1_22reduce_config_selectorIN6thrust23THRUST_200600_302600_NS5tupleIblNS6_9null_typeES8_S8_S8_S8_S8_S8_S8_EEEEZNS1_11reduce_implILb1ES3_NS6_12zip_iteratorINS7_INS6_11hip_rocprim26transform_input_iterator_tIbNSD_35transform_pair_of_input_iterators_tIbNS6_6detail15normal_iteratorINS6_10device_ptrIKiEEEESL_NS6_8equal_toIiEEEENSG_9not_fun_tINSD_8identityEEEEENSD_19counting_iterator_tIlEES8_S8_S8_S8_S8_S8_S8_S8_EEEEPS9_S9_NSD_9__find_if7functorIS9_EEEE10hipError_tPvRmT1_T2_T3_mT4_P12ihipStream_tbEUlT_E1_NS1_11comp_targetILNS1_3genE3ELNS1_11target_archE908ELNS1_3gpuE7ELNS1_3repE0EEENS1_30default_config_static_selectorELNS0_4arch9wavefront6targetE0EEEvS14_: ; @_ZN7rocprim17ROCPRIM_400000_NS6detail17trampoline_kernelINS0_14default_configENS1_22reduce_config_selectorIN6thrust23THRUST_200600_302600_NS5tupleIblNS6_9null_typeES8_S8_S8_S8_S8_S8_S8_EEEEZNS1_11reduce_implILb1ES3_NS6_12zip_iteratorINS7_INS6_11hip_rocprim26transform_input_iterator_tIbNSD_35transform_pair_of_input_iterators_tIbNS6_6detail15normal_iteratorINS6_10device_ptrIKiEEEESL_NS6_8equal_toIiEEEENSG_9not_fun_tINSD_8identityEEEEENSD_19counting_iterator_tIlEES8_S8_S8_S8_S8_S8_S8_S8_EEEEPS9_S9_NSD_9__find_if7functorIS9_EEEE10hipError_tPvRmT1_T2_T3_mT4_P12ihipStream_tbEUlT_E1_NS1_11comp_targetILNS1_3genE3ELNS1_11target_archE908ELNS1_3gpuE7ELNS1_3repE0EEENS1_30default_config_static_selectorELNS0_4arch9wavefront6targetE0EEEvS14_
; %bb.0:
	.section	.rodata,"a",@progbits
	.p2align	6, 0x0
	.amdhsa_kernel _ZN7rocprim17ROCPRIM_400000_NS6detail17trampoline_kernelINS0_14default_configENS1_22reduce_config_selectorIN6thrust23THRUST_200600_302600_NS5tupleIblNS6_9null_typeES8_S8_S8_S8_S8_S8_S8_EEEEZNS1_11reduce_implILb1ES3_NS6_12zip_iteratorINS7_INS6_11hip_rocprim26transform_input_iterator_tIbNSD_35transform_pair_of_input_iterators_tIbNS6_6detail15normal_iteratorINS6_10device_ptrIKiEEEESL_NS6_8equal_toIiEEEENSG_9not_fun_tINSD_8identityEEEEENSD_19counting_iterator_tIlEES8_S8_S8_S8_S8_S8_S8_S8_EEEEPS9_S9_NSD_9__find_if7functorIS9_EEEE10hipError_tPvRmT1_T2_T3_mT4_P12ihipStream_tbEUlT_E1_NS1_11comp_targetILNS1_3genE3ELNS1_11target_archE908ELNS1_3gpuE7ELNS1_3repE0EEENS1_30default_config_static_selectorELNS0_4arch9wavefront6targetE0EEEvS14_
		.amdhsa_group_segment_fixed_size 0
		.amdhsa_private_segment_fixed_size 0
		.amdhsa_kernarg_size 88
		.amdhsa_user_sgpr_count 15
		.amdhsa_user_sgpr_dispatch_ptr 0
		.amdhsa_user_sgpr_queue_ptr 0
		.amdhsa_user_sgpr_kernarg_segment_ptr 1
		.amdhsa_user_sgpr_dispatch_id 0
		.amdhsa_user_sgpr_private_segment_size 0
		.amdhsa_wavefront_size32 1
		.amdhsa_uses_dynamic_stack 0
		.amdhsa_enable_private_segment 0
		.amdhsa_system_sgpr_workgroup_id_x 1
		.amdhsa_system_sgpr_workgroup_id_y 0
		.amdhsa_system_sgpr_workgroup_id_z 0
		.amdhsa_system_sgpr_workgroup_info 0
		.amdhsa_system_vgpr_workitem_id 0
		.amdhsa_next_free_vgpr 1
		.amdhsa_next_free_sgpr 1
		.amdhsa_reserve_vcc 0
		.amdhsa_float_round_mode_32 0
		.amdhsa_float_round_mode_16_64 0
		.amdhsa_float_denorm_mode_32 3
		.amdhsa_float_denorm_mode_16_64 3
		.amdhsa_dx10_clamp 1
		.amdhsa_ieee_mode 1
		.amdhsa_fp16_overflow 0
		.amdhsa_workgroup_processor_mode 1
		.amdhsa_memory_ordered 1
		.amdhsa_forward_progress 0
		.amdhsa_shared_vgpr_count 0
		.amdhsa_exception_fp_ieee_invalid_op 0
		.amdhsa_exception_fp_denorm_src 0
		.amdhsa_exception_fp_ieee_div_zero 0
		.amdhsa_exception_fp_ieee_overflow 0
		.amdhsa_exception_fp_ieee_underflow 0
		.amdhsa_exception_fp_ieee_inexact 0
		.amdhsa_exception_int_div_zero 0
	.end_amdhsa_kernel
	.section	.text._ZN7rocprim17ROCPRIM_400000_NS6detail17trampoline_kernelINS0_14default_configENS1_22reduce_config_selectorIN6thrust23THRUST_200600_302600_NS5tupleIblNS6_9null_typeES8_S8_S8_S8_S8_S8_S8_EEEEZNS1_11reduce_implILb1ES3_NS6_12zip_iteratorINS7_INS6_11hip_rocprim26transform_input_iterator_tIbNSD_35transform_pair_of_input_iterators_tIbNS6_6detail15normal_iteratorINS6_10device_ptrIKiEEEESL_NS6_8equal_toIiEEEENSG_9not_fun_tINSD_8identityEEEEENSD_19counting_iterator_tIlEES8_S8_S8_S8_S8_S8_S8_S8_EEEEPS9_S9_NSD_9__find_if7functorIS9_EEEE10hipError_tPvRmT1_T2_T3_mT4_P12ihipStream_tbEUlT_E1_NS1_11comp_targetILNS1_3genE3ELNS1_11target_archE908ELNS1_3gpuE7ELNS1_3repE0EEENS1_30default_config_static_selectorELNS0_4arch9wavefront6targetE0EEEvS14_,"axG",@progbits,_ZN7rocprim17ROCPRIM_400000_NS6detail17trampoline_kernelINS0_14default_configENS1_22reduce_config_selectorIN6thrust23THRUST_200600_302600_NS5tupleIblNS6_9null_typeES8_S8_S8_S8_S8_S8_S8_EEEEZNS1_11reduce_implILb1ES3_NS6_12zip_iteratorINS7_INS6_11hip_rocprim26transform_input_iterator_tIbNSD_35transform_pair_of_input_iterators_tIbNS6_6detail15normal_iteratorINS6_10device_ptrIKiEEEESL_NS6_8equal_toIiEEEENSG_9not_fun_tINSD_8identityEEEEENSD_19counting_iterator_tIlEES8_S8_S8_S8_S8_S8_S8_S8_EEEEPS9_S9_NSD_9__find_if7functorIS9_EEEE10hipError_tPvRmT1_T2_T3_mT4_P12ihipStream_tbEUlT_E1_NS1_11comp_targetILNS1_3genE3ELNS1_11target_archE908ELNS1_3gpuE7ELNS1_3repE0EEENS1_30default_config_static_selectorELNS0_4arch9wavefront6targetE0EEEvS14_,comdat
.Lfunc_end549:
	.size	_ZN7rocprim17ROCPRIM_400000_NS6detail17trampoline_kernelINS0_14default_configENS1_22reduce_config_selectorIN6thrust23THRUST_200600_302600_NS5tupleIblNS6_9null_typeES8_S8_S8_S8_S8_S8_S8_EEEEZNS1_11reduce_implILb1ES3_NS6_12zip_iteratorINS7_INS6_11hip_rocprim26transform_input_iterator_tIbNSD_35transform_pair_of_input_iterators_tIbNS6_6detail15normal_iteratorINS6_10device_ptrIKiEEEESL_NS6_8equal_toIiEEEENSG_9not_fun_tINSD_8identityEEEEENSD_19counting_iterator_tIlEES8_S8_S8_S8_S8_S8_S8_S8_EEEEPS9_S9_NSD_9__find_if7functorIS9_EEEE10hipError_tPvRmT1_T2_T3_mT4_P12ihipStream_tbEUlT_E1_NS1_11comp_targetILNS1_3genE3ELNS1_11target_archE908ELNS1_3gpuE7ELNS1_3repE0EEENS1_30default_config_static_selectorELNS0_4arch9wavefront6targetE0EEEvS14_, .Lfunc_end549-_ZN7rocprim17ROCPRIM_400000_NS6detail17trampoline_kernelINS0_14default_configENS1_22reduce_config_selectorIN6thrust23THRUST_200600_302600_NS5tupleIblNS6_9null_typeES8_S8_S8_S8_S8_S8_S8_EEEEZNS1_11reduce_implILb1ES3_NS6_12zip_iteratorINS7_INS6_11hip_rocprim26transform_input_iterator_tIbNSD_35transform_pair_of_input_iterators_tIbNS6_6detail15normal_iteratorINS6_10device_ptrIKiEEEESL_NS6_8equal_toIiEEEENSG_9not_fun_tINSD_8identityEEEEENSD_19counting_iterator_tIlEES8_S8_S8_S8_S8_S8_S8_S8_EEEEPS9_S9_NSD_9__find_if7functorIS9_EEEE10hipError_tPvRmT1_T2_T3_mT4_P12ihipStream_tbEUlT_E1_NS1_11comp_targetILNS1_3genE3ELNS1_11target_archE908ELNS1_3gpuE7ELNS1_3repE0EEENS1_30default_config_static_selectorELNS0_4arch9wavefront6targetE0EEEvS14_
                                        ; -- End function
	.section	.AMDGPU.csdata,"",@progbits
; Kernel info:
; codeLenInByte = 0
; NumSgprs: 0
; NumVgprs: 0
; ScratchSize: 0
; MemoryBound: 0
; FloatMode: 240
; IeeeMode: 1
; LDSByteSize: 0 bytes/workgroup (compile time only)
; SGPRBlocks: 0
; VGPRBlocks: 0
; NumSGPRsForWavesPerEU: 1
; NumVGPRsForWavesPerEU: 1
; Occupancy: 16
; WaveLimiterHint : 0
; COMPUTE_PGM_RSRC2:SCRATCH_EN: 0
; COMPUTE_PGM_RSRC2:USER_SGPR: 15
; COMPUTE_PGM_RSRC2:TRAP_HANDLER: 0
; COMPUTE_PGM_RSRC2:TGID_X_EN: 1
; COMPUTE_PGM_RSRC2:TGID_Y_EN: 0
; COMPUTE_PGM_RSRC2:TGID_Z_EN: 0
; COMPUTE_PGM_RSRC2:TIDIG_COMP_CNT: 0
	.section	.text._ZN7rocprim17ROCPRIM_400000_NS6detail17trampoline_kernelINS0_14default_configENS1_22reduce_config_selectorIN6thrust23THRUST_200600_302600_NS5tupleIblNS6_9null_typeES8_S8_S8_S8_S8_S8_S8_EEEEZNS1_11reduce_implILb1ES3_NS6_12zip_iteratorINS7_INS6_11hip_rocprim26transform_input_iterator_tIbNSD_35transform_pair_of_input_iterators_tIbNS6_6detail15normal_iteratorINS6_10device_ptrIKiEEEESL_NS6_8equal_toIiEEEENSG_9not_fun_tINSD_8identityEEEEENSD_19counting_iterator_tIlEES8_S8_S8_S8_S8_S8_S8_S8_EEEEPS9_S9_NSD_9__find_if7functorIS9_EEEE10hipError_tPvRmT1_T2_T3_mT4_P12ihipStream_tbEUlT_E1_NS1_11comp_targetILNS1_3genE2ELNS1_11target_archE906ELNS1_3gpuE6ELNS1_3repE0EEENS1_30default_config_static_selectorELNS0_4arch9wavefront6targetE0EEEvS14_,"axG",@progbits,_ZN7rocprim17ROCPRIM_400000_NS6detail17trampoline_kernelINS0_14default_configENS1_22reduce_config_selectorIN6thrust23THRUST_200600_302600_NS5tupleIblNS6_9null_typeES8_S8_S8_S8_S8_S8_S8_EEEEZNS1_11reduce_implILb1ES3_NS6_12zip_iteratorINS7_INS6_11hip_rocprim26transform_input_iterator_tIbNSD_35transform_pair_of_input_iterators_tIbNS6_6detail15normal_iteratorINS6_10device_ptrIKiEEEESL_NS6_8equal_toIiEEEENSG_9not_fun_tINSD_8identityEEEEENSD_19counting_iterator_tIlEES8_S8_S8_S8_S8_S8_S8_S8_EEEEPS9_S9_NSD_9__find_if7functorIS9_EEEE10hipError_tPvRmT1_T2_T3_mT4_P12ihipStream_tbEUlT_E1_NS1_11comp_targetILNS1_3genE2ELNS1_11target_archE906ELNS1_3gpuE6ELNS1_3repE0EEENS1_30default_config_static_selectorELNS0_4arch9wavefront6targetE0EEEvS14_,comdat
	.protected	_ZN7rocprim17ROCPRIM_400000_NS6detail17trampoline_kernelINS0_14default_configENS1_22reduce_config_selectorIN6thrust23THRUST_200600_302600_NS5tupleIblNS6_9null_typeES8_S8_S8_S8_S8_S8_S8_EEEEZNS1_11reduce_implILb1ES3_NS6_12zip_iteratorINS7_INS6_11hip_rocprim26transform_input_iterator_tIbNSD_35transform_pair_of_input_iterators_tIbNS6_6detail15normal_iteratorINS6_10device_ptrIKiEEEESL_NS6_8equal_toIiEEEENSG_9not_fun_tINSD_8identityEEEEENSD_19counting_iterator_tIlEES8_S8_S8_S8_S8_S8_S8_S8_EEEEPS9_S9_NSD_9__find_if7functorIS9_EEEE10hipError_tPvRmT1_T2_T3_mT4_P12ihipStream_tbEUlT_E1_NS1_11comp_targetILNS1_3genE2ELNS1_11target_archE906ELNS1_3gpuE6ELNS1_3repE0EEENS1_30default_config_static_selectorELNS0_4arch9wavefront6targetE0EEEvS14_ ; -- Begin function _ZN7rocprim17ROCPRIM_400000_NS6detail17trampoline_kernelINS0_14default_configENS1_22reduce_config_selectorIN6thrust23THRUST_200600_302600_NS5tupleIblNS6_9null_typeES8_S8_S8_S8_S8_S8_S8_EEEEZNS1_11reduce_implILb1ES3_NS6_12zip_iteratorINS7_INS6_11hip_rocprim26transform_input_iterator_tIbNSD_35transform_pair_of_input_iterators_tIbNS6_6detail15normal_iteratorINS6_10device_ptrIKiEEEESL_NS6_8equal_toIiEEEENSG_9not_fun_tINSD_8identityEEEEENSD_19counting_iterator_tIlEES8_S8_S8_S8_S8_S8_S8_S8_EEEEPS9_S9_NSD_9__find_if7functorIS9_EEEE10hipError_tPvRmT1_T2_T3_mT4_P12ihipStream_tbEUlT_E1_NS1_11comp_targetILNS1_3genE2ELNS1_11target_archE906ELNS1_3gpuE6ELNS1_3repE0EEENS1_30default_config_static_selectorELNS0_4arch9wavefront6targetE0EEEvS14_
	.globl	_ZN7rocprim17ROCPRIM_400000_NS6detail17trampoline_kernelINS0_14default_configENS1_22reduce_config_selectorIN6thrust23THRUST_200600_302600_NS5tupleIblNS6_9null_typeES8_S8_S8_S8_S8_S8_S8_EEEEZNS1_11reduce_implILb1ES3_NS6_12zip_iteratorINS7_INS6_11hip_rocprim26transform_input_iterator_tIbNSD_35transform_pair_of_input_iterators_tIbNS6_6detail15normal_iteratorINS6_10device_ptrIKiEEEESL_NS6_8equal_toIiEEEENSG_9not_fun_tINSD_8identityEEEEENSD_19counting_iterator_tIlEES8_S8_S8_S8_S8_S8_S8_S8_EEEEPS9_S9_NSD_9__find_if7functorIS9_EEEE10hipError_tPvRmT1_T2_T3_mT4_P12ihipStream_tbEUlT_E1_NS1_11comp_targetILNS1_3genE2ELNS1_11target_archE906ELNS1_3gpuE6ELNS1_3repE0EEENS1_30default_config_static_selectorELNS0_4arch9wavefront6targetE0EEEvS14_
	.p2align	8
	.type	_ZN7rocprim17ROCPRIM_400000_NS6detail17trampoline_kernelINS0_14default_configENS1_22reduce_config_selectorIN6thrust23THRUST_200600_302600_NS5tupleIblNS6_9null_typeES8_S8_S8_S8_S8_S8_S8_EEEEZNS1_11reduce_implILb1ES3_NS6_12zip_iteratorINS7_INS6_11hip_rocprim26transform_input_iterator_tIbNSD_35transform_pair_of_input_iterators_tIbNS6_6detail15normal_iteratorINS6_10device_ptrIKiEEEESL_NS6_8equal_toIiEEEENSG_9not_fun_tINSD_8identityEEEEENSD_19counting_iterator_tIlEES8_S8_S8_S8_S8_S8_S8_S8_EEEEPS9_S9_NSD_9__find_if7functorIS9_EEEE10hipError_tPvRmT1_T2_T3_mT4_P12ihipStream_tbEUlT_E1_NS1_11comp_targetILNS1_3genE2ELNS1_11target_archE906ELNS1_3gpuE6ELNS1_3repE0EEENS1_30default_config_static_selectorELNS0_4arch9wavefront6targetE0EEEvS14_,@function
_ZN7rocprim17ROCPRIM_400000_NS6detail17trampoline_kernelINS0_14default_configENS1_22reduce_config_selectorIN6thrust23THRUST_200600_302600_NS5tupleIblNS6_9null_typeES8_S8_S8_S8_S8_S8_S8_EEEEZNS1_11reduce_implILb1ES3_NS6_12zip_iteratorINS7_INS6_11hip_rocprim26transform_input_iterator_tIbNSD_35transform_pair_of_input_iterators_tIbNS6_6detail15normal_iteratorINS6_10device_ptrIKiEEEESL_NS6_8equal_toIiEEEENSG_9not_fun_tINSD_8identityEEEEENSD_19counting_iterator_tIlEES8_S8_S8_S8_S8_S8_S8_S8_EEEEPS9_S9_NSD_9__find_if7functorIS9_EEEE10hipError_tPvRmT1_T2_T3_mT4_P12ihipStream_tbEUlT_E1_NS1_11comp_targetILNS1_3genE2ELNS1_11target_archE906ELNS1_3gpuE6ELNS1_3repE0EEENS1_30default_config_static_selectorELNS0_4arch9wavefront6targetE0EEEvS14_: ; @_ZN7rocprim17ROCPRIM_400000_NS6detail17trampoline_kernelINS0_14default_configENS1_22reduce_config_selectorIN6thrust23THRUST_200600_302600_NS5tupleIblNS6_9null_typeES8_S8_S8_S8_S8_S8_S8_EEEEZNS1_11reduce_implILb1ES3_NS6_12zip_iteratorINS7_INS6_11hip_rocprim26transform_input_iterator_tIbNSD_35transform_pair_of_input_iterators_tIbNS6_6detail15normal_iteratorINS6_10device_ptrIKiEEEESL_NS6_8equal_toIiEEEENSG_9not_fun_tINSD_8identityEEEEENSD_19counting_iterator_tIlEES8_S8_S8_S8_S8_S8_S8_S8_EEEEPS9_S9_NSD_9__find_if7functorIS9_EEEE10hipError_tPvRmT1_T2_T3_mT4_P12ihipStream_tbEUlT_E1_NS1_11comp_targetILNS1_3genE2ELNS1_11target_archE906ELNS1_3gpuE6ELNS1_3repE0EEENS1_30default_config_static_selectorELNS0_4arch9wavefront6targetE0EEEvS14_
; %bb.0:
	.section	.rodata,"a",@progbits
	.p2align	6, 0x0
	.amdhsa_kernel _ZN7rocprim17ROCPRIM_400000_NS6detail17trampoline_kernelINS0_14default_configENS1_22reduce_config_selectorIN6thrust23THRUST_200600_302600_NS5tupleIblNS6_9null_typeES8_S8_S8_S8_S8_S8_S8_EEEEZNS1_11reduce_implILb1ES3_NS6_12zip_iteratorINS7_INS6_11hip_rocprim26transform_input_iterator_tIbNSD_35transform_pair_of_input_iterators_tIbNS6_6detail15normal_iteratorINS6_10device_ptrIKiEEEESL_NS6_8equal_toIiEEEENSG_9not_fun_tINSD_8identityEEEEENSD_19counting_iterator_tIlEES8_S8_S8_S8_S8_S8_S8_S8_EEEEPS9_S9_NSD_9__find_if7functorIS9_EEEE10hipError_tPvRmT1_T2_T3_mT4_P12ihipStream_tbEUlT_E1_NS1_11comp_targetILNS1_3genE2ELNS1_11target_archE906ELNS1_3gpuE6ELNS1_3repE0EEENS1_30default_config_static_selectorELNS0_4arch9wavefront6targetE0EEEvS14_
		.amdhsa_group_segment_fixed_size 0
		.amdhsa_private_segment_fixed_size 0
		.amdhsa_kernarg_size 88
		.amdhsa_user_sgpr_count 15
		.amdhsa_user_sgpr_dispatch_ptr 0
		.amdhsa_user_sgpr_queue_ptr 0
		.amdhsa_user_sgpr_kernarg_segment_ptr 1
		.amdhsa_user_sgpr_dispatch_id 0
		.amdhsa_user_sgpr_private_segment_size 0
		.amdhsa_wavefront_size32 1
		.amdhsa_uses_dynamic_stack 0
		.amdhsa_enable_private_segment 0
		.amdhsa_system_sgpr_workgroup_id_x 1
		.amdhsa_system_sgpr_workgroup_id_y 0
		.amdhsa_system_sgpr_workgroup_id_z 0
		.amdhsa_system_sgpr_workgroup_info 0
		.amdhsa_system_vgpr_workitem_id 0
		.amdhsa_next_free_vgpr 1
		.amdhsa_next_free_sgpr 1
		.amdhsa_reserve_vcc 0
		.amdhsa_float_round_mode_32 0
		.amdhsa_float_round_mode_16_64 0
		.amdhsa_float_denorm_mode_32 3
		.amdhsa_float_denorm_mode_16_64 3
		.amdhsa_dx10_clamp 1
		.amdhsa_ieee_mode 1
		.amdhsa_fp16_overflow 0
		.amdhsa_workgroup_processor_mode 1
		.amdhsa_memory_ordered 1
		.amdhsa_forward_progress 0
		.amdhsa_shared_vgpr_count 0
		.amdhsa_exception_fp_ieee_invalid_op 0
		.amdhsa_exception_fp_denorm_src 0
		.amdhsa_exception_fp_ieee_div_zero 0
		.amdhsa_exception_fp_ieee_overflow 0
		.amdhsa_exception_fp_ieee_underflow 0
		.amdhsa_exception_fp_ieee_inexact 0
		.amdhsa_exception_int_div_zero 0
	.end_amdhsa_kernel
	.section	.text._ZN7rocprim17ROCPRIM_400000_NS6detail17trampoline_kernelINS0_14default_configENS1_22reduce_config_selectorIN6thrust23THRUST_200600_302600_NS5tupleIblNS6_9null_typeES8_S8_S8_S8_S8_S8_S8_EEEEZNS1_11reduce_implILb1ES3_NS6_12zip_iteratorINS7_INS6_11hip_rocprim26transform_input_iterator_tIbNSD_35transform_pair_of_input_iterators_tIbNS6_6detail15normal_iteratorINS6_10device_ptrIKiEEEESL_NS6_8equal_toIiEEEENSG_9not_fun_tINSD_8identityEEEEENSD_19counting_iterator_tIlEES8_S8_S8_S8_S8_S8_S8_S8_EEEEPS9_S9_NSD_9__find_if7functorIS9_EEEE10hipError_tPvRmT1_T2_T3_mT4_P12ihipStream_tbEUlT_E1_NS1_11comp_targetILNS1_3genE2ELNS1_11target_archE906ELNS1_3gpuE6ELNS1_3repE0EEENS1_30default_config_static_selectorELNS0_4arch9wavefront6targetE0EEEvS14_,"axG",@progbits,_ZN7rocprim17ROCPRIM_400000_NS6detail17trampoline_kernelINS0_14default_configENS1_22reduce_config_selectorIN6thrust23THRUST_200600_302600_NS5tupleIblNS6_9null_typeES8_S8_S8_S8_S8_S8_S8_EEEEZNS1_11reduce_implILb1ES3_NS6_12zip_iteratorINS7_INS6_11hip_rocprim26transform_input_iterator_tIbNSD_35transform_pair_of_input_iterators_tIbNS6_6detail15normal_iteratorINS6_10device_ptrIKiEEEESL_NS6_8equal_toIiEEEENSG_9not_fun_tINSD_8identityEEEEENSD_19counting_iterator_tIlEES8_S8_S8_S8_S8_S8_S8_S8_EEEEPS9_S9_NSD_9__find_if7functorIS9_EEEE10hipError_tPvRmT1_T2_T3_mT4_P12ihipStream_tbEUlT_E1_NS1_11comp_targetILNS1_3genE2ELNS1_11target_archE906ELNS1_3gpuE6ELNS1_3repE0EEENS1_30default_config_static_selectorELNS0_4arch9wavefront6targetE0EEEvS14_,comdat
.Lfunc_end550:
	.size	_ZN7rocprim17ROCPRIM_400000_NS6detail17trampoline_kernelINS0_14default_configENS1_22reduce_config_selectorIN6thrust23THRUST_200600_302600_NS5tupleIblNS6_9null_typeES8_S8_S8_S8_S8_S8_S8_EEEEZNS1_11reduce_implILb1ES3_NS6_12zip_iteratorINS7_INS6_11hip_rocprim26transform_input_iterator_tIbNSD_35transform_pair_of_input_iterators_tIbNS6_6detail15normal_iteratorINS6_10device_ptrIKiEEEESL_NS6_8equal_toIiEEEENSG_9not_fun_tINSD_8identityEEEEENSD_19counting_iterator_tIlEES8_S8_S8_S8_S8_S8_S8_S8_EEEEPS9_S9_NSD_9__find_if7functorIS9_EEEE10hipError_tPvRmT1_T2_T3_mT4_P12ihipStream_tbEUlT_E1_NS1_11comp_targetILNS1_3genE2ELNS1_11target_archE906ELNS1_3gpuE6ELNS1_3repE0EEENS1_30default_config_static_selectorELNS0_4arch9wavefront6targetE0EEEvS14_, .Lfunc_end550-_ZN7rocprim17ROCPRIM_400000_NS6detail17trampoline_kernelINS0_14default_configENS1_22reduce_config_selectorIN6thrust23THRUST_200600_302600_NS5tupleIblNS6_9null_typeES8_S8_S8_S8_S8_S8_S8_EEEEZNS1_11reduce_implILb1ES3_NS6_12zip_iteratorINS7_INS6_11hip_rocprim26transform_input_iterator_tIbNSD_35transform_pair_of_input_iterators_tIbNS6_6detail15normal_iteratorINS6_10device_ptrIKiEEEESL_NS6_8equal_toIiEEEENSG_9not_fun_tINSD_8identityEEEEENSD_19counting_iterator_tIlEES8_S8_S8_S8_S8_S8_S8_S8_EEEEPS9_S9_NSD_9__find_if7functorIS9_EEEE10hipError_tPvRmT1_T2_T3_mT4_P12ihipStream_tbEUlT_E1_NS1_11comp_targetILNS1_3genE2ELNS1_11target_archE906ELNS1_3gpuE6ELNS1_3repE0EEENS1_30default_config_static_selectorELNS0_4arch9wavefront6targetE0EEEvS14_
                                        ; -- End function
	.section	.AMDGPU.csdata,"",@progbits
; Kernel info:
; codeLenInByte = 0
; NumSgprs: 0
; NumVgprs: 0
; ScratchSize: 0
; MemoryBound: 0
; FloatMode: 240
; IeeeMode: 1
; LDSByteSize: 0 bytes/workgroup (compile time only)
; SGPRBlocks: 0
; VGPRBlocks: 0
; NumSGPRsForWavesPerEU: 1
; NumVGPRsForWavesPerEU: 1
; Occupancy: 16
; WaveLimiterHint : 0
; COMPUTE_PGM_RSRC2:SCRATCH_EN: 0
; COMPUTE_PGM_RSRC2:USER_SGPR: 15
; COMPUTE_PGM_RSRC2:TRAP_HANDLER: 0
; COMPUTE_PGM_RSRC2:TGID_X_EN: 1
; COMPUTE_PGM_RSRC2:TGID_Y_EN: 0
; COMPUTE_PGM_RSRC2:TGID_Z_EN: 0
; COMPUTE_PGM_RSRC2:TIDIG_COMP_CNT: 0
	.section	.text._ZN7rocprim17ROCPRIM_400000_NS6detail17trampoline_kernelINS0_14default_configENS1_22reduce_config_selectorIN6thrust23THRUST_200600_302600_NS5tupleIblNS6_9null_typeES8_S8_S8_S8_S8_S8_S8_EEEEZNS1_11reduce_implILb1ES3_NS6_12zip_iteratorINS7_INS6_11hip_rocprim26transform_input_iterator_tIbNSD_35transform_pair_of_input_iterators_tIbNS6_6detail15normal_iteratorINS6_10device_ptrIKiEEEESL_NS6_8equal_toIiEEEENSG_9not_fun_tINSD_8identityEEEEENSD_19counting_iterator_tIlEES8_S8_S8_S8_S8_S8_S8_S8_EEEEPS9_S9_NSD_9__find_if7functorIS9_EEEE10hipError_tPvRmT1_T2_T3_mT4_P12ihipStream_tbEUlT_E1_NS1_11comp_targetILNS1_3genE10ELNS1_11target_archE1201ELNS1_3gpuE5ELNS1_3repE0EEENS1_30default_config_static_selectorELNS0_4arch9wavefront6targetE0EEEvS14_,"axG",@progbits,_ZN7rocprim17ROCPRIM_400000_NS6detail17trampoline_kernelINS0_14default_configENS1_22reduce_config_selectorIN6thrust23THRUST_200600_302600_NS5tupleIblNS6_9null_typeES8_S8_S8_S8_S8_S8_S8_EEEEZNS1_11reduce_implILb1ES3_NS6_12zip_iteratorINS7_INS6_11hip_rocprim26transform_input_iterator_tIbNSD_35transform_pair_of_input_iterators_tIbNS6_6detail15normal_iteratorINS6_10device_ptrIKiEEEESL_NS6_8equal_toIiEEEENSG_9not_fun_tINSD_8identityEEEEENSD_19counting_iterator_tIlEES8_S8_S8_S8_S8_S8_S8_S8_EEEEPS9_S9_NSD_9__find_if7functorIS9_EEEE10hipError_tPvRmT1_T2_T3_mT4_P12ihipStream_tbEUlT_E1_NS1_11comp_targetILNS1_3genE10ELNS1_11target_archE1201ELNS1_3gpuE5ELNS1_3repE0EEENS1_30default_config_static_selectorELNS0_4arch9wavefront6targetE0EEEvS14_,comdat
	.protected	_ZN7rocprim17ROCPRIM_400000_NS6detail17trampoline_kernelINS0_14default_configENS1_22reduce_config_selectorIN6thrust23THRUST_200600_302600_NS5tupleIblNS6_9null_typeES8_S8_S8_S8_S8_S8_S8_EEEEZNS1_11reduce_implILb1ES3_NS6_12zip_iteratorINS7_INS6_11hip_rocprim26transform_input_iterator_tIbNSD_35transform_pair_of_input_iterators_tIbNS6_6detail15normal_iteratorINS6_10device_ptrIKiEEEESL_NS6_8equal_toIiEEEENSG_9not_fun_tINSD_8identityEEEEENSD_19counting_iterator_tIlEES8_S8_S8_S8_S8_S8_S8_S8_EEEEPS9_S9_NSD_9__find_if7functorIS9_EEEE10hipError_tPvRmT1_T2_T3_mT4_P12ihipStream_tbEUlT_E1_NS1_11comp_targetILNS1_3genE10ELNS1_11target_archE1201ELNS1_3gpuE5ELNS1_3repE0EEENS1_30default_config_static_selectorELNS0_4arch9wavefront6targetE0EEEvS14_ ; -- Begin function _ZN7rocprim17ROCPRIM_400000_NS6detail17trampoline_kernelINS0_14default_configENS1_22reduce_config_selectorIN6thrust23THRUST_200600_302600_NS5tupleIblNS6_9null_typeES8_S8_S8_S8_S8_S8_S8_EEEEZNS1_11reduce_implILb1ES3_NS6_12zip_iteratorINS7_INS6_11hip_rocprim26transform_input_iterator_tIbNSD_35transform_pair_of_input_iterators_tIbNS6_6detail15normal_iteratorINS6_10device_ptrIKiEEEESL_NS6_8equal_toIiEEEENSG_9not_fun_tINSD_8identityEEEEENSD_19counting_iterator_tIlEES8_S8_S8_S8_S8_S8_S8_S8_EEEEPS9_S9_NSD_9__find_if7functorIS9_EEEE10hipError_tPvRmT1_T2_T3_mT4_P12ihipStream_tbEUlT_E1_NS1_11comp_targetILNS1_3genE10ELNS1_11target_archE1201ELNS1_3gpuE5ELNS1_3repE0EEENS1_30default_config_static_selectorELNS0_4arch9wavefront6targetE0EEEvS14_
	.globl	_ZN7rocprim17ROCPRIM_400000_NS6detail17trampoline_kernelINS0_14default_configENS1_22reduce_config_selectorIN6thrust23THRUST_200600_302600_NS5tupleIblNS6_9null_typeES8_S8_S8_S8_S8_S8_S8_EEEEZNS1_11reduce_implILb1ES3_NS6_12zip_iteratorINS7_INS6_11hip_rocprim26transform_input_iterator_tIbNSD_35transform_pair_of_input_iterators_tIbNS6_6detail15normal_iteratorINS6_10device_ptrIKiEEEESL_NS6_8equal_toIiEEEENSG_9not_fun_tINSD_8identityEEEEENSD_19counting_iterator_tIlEES8_S8_S8_S8_S8_S8_S8_S8_EEEEPS9_S9_NSD_9__find_if7functorIS9_EEEE10hipError_tPvRmT1_T2_T3_mT4_P12ihipStream_tbEUlT_E1_NS1_11comp_targetILNS1_3genE10ELNS1_11target_archE1201ELNS1_3gpuE5ELNS1_3repE0EEENS1_30default_config_static_selectorELNS0_4arch9wavefront6targetE0EEEvS14_
	.p2align	8
	.type	_ZN7rocprim17ROCPRIM_400000_NS6detail17trampoline_kernelINS0_14default_configENS1_22reduce_config_selectorIN6thrust23THRUST_200600_302600_NS5tupleIblNS6_9null_typeES8_S8_S8_S8_S8_S8_S8_EEEEZNS1_11reduce_implILb1ES3_NS6_12zip_iteratorINS7_INS6_11hip_rocprim26transform_input_iterator_tIbNSD_35transform_pair_of_input_iterators_tIbNS6_6detail15normal_iteratorINS6_10device_ptrIKiEEEESL_NS6_8equal_toIiEEEENSG_9not_fun_tINSD_8identityEEEEENSD_19counting_iterator_tIlEES8_S8_S8_S8_S8_S8_S8_S8_EEEEPS9_S9_NSD_9__find_if7functorIS9_EEEE10hipError_tPvRmT1_T2_T3_mT4_P12ihipStream_tbEUlT_E1_NS1_11comp_targetILNS1_3genE10ELNS1_11target_archE1201ELNS1_3gpuE5ELNS1_3repE0EEENS1_30default_config_static_selectorELNS0_4arch9wavefront6targetE0EEEvS14_,@function
_ZN7rocprim17ROCPRIM_400000_NS6detail17trampoline_kernelINS0_14default_configENS1_22reduce_config_selectorIN6thrust23THRUST_200600_302600_NS5tupleIblNS6_9null_typeES8_S8_S8_S8_S8_S8_S8_EEEEZNS1_11reduce_implILb1ES3_NS6_12zip_iteratorINS7_INS6_11hip_rocprim26transform_input_iterator_tIbNSD_35transform_pair_of_input_iterators_tIbNS6_6detail15normal_iteratorINS6_10device_ptrIKiEEEESL_NS6_8equal_toIiEEEENSG_9not_fun_tINSD_8identityEEEEENSD_19counting_iterator_tIlEES8_S8_S8_S8_S8_S8_S8_S8_EEEEPS9_S9_NSD_9__find_if7functorIS9_EEEE10hipError_tPvRmT1_T2_T3_mT4_P12ihipStream_tbEUlT_E1_NS1_11comp_targetILNS1_3genE10ELNS1_11target_archE1201ELNS1_3gpuE5ELNS1_3repE0EEENS1_30default_config_static_selectorELNS0_4arch9wavefront6targetE0EEEvS14_: ; @_ZN7rocprim17ROCPRIM_400000_NS6detail17trampoline_kernelINS0_14default_configENS1_22reduce_config_selectorIN6thrust23THRUST_200600_302600_NS5tupleIblNS6_9null_typeES8_S8_S8_S8_S8_S8_S8_EEEEZNS1_11reduce_implILb1ES3_NS6_12zip_iteratorINS7_INS6_11hip_rocprim26transform_input_iterator_tIbNSD_35transform_pair_of_input_iterators_tIbNS6_6detail15normal_iteratorINS6_10device_ptrIKiEEEESL_NS6_8equal_toIiEEEENSG_9not_fun_tINSD_8identityEEEEENSD_19counting_iterator_tIlEES8_S8_S8_S8_S8_S8_S8_S8_EEEEPS9_S9_NSD_9__find_if7functorIS9_EEEE10hipError_tPvRmT1_T2_T3_mT4_P12ihipStream_tbEUlT_E1_NS1_11comp_targetILNS1_3genE10ELNS1_11target_archE1201ELNS1_3gpuE5ELNS1_3repE0EEENS1_30default_config_static_selectorELNS0_4arch9wavefront6targetE0EEEvS14_
; %bb.0:
	.section	.rodata,"a",@progbits
	.p2align	6, 0x0
	.amdhsa_kernel _ZN7rocprim17ROCPRIM_400000_NS6detail17trampoline_kernelINS0_14default_configENS1_22reduce_config_selectorIN6thrust23THRUST_200600_302600_NS5tupleIblNS6_9null_typeES8_S8_S8_S8_S8_S8_S8_EEEEZNS1_11reduce_implILb1ES3_NS6_12zip_iteratorINS7_INS6_11hip_rocprim26transform_input_iterator_tIbNSD_35transform_pair_of_input_iterators_tIbNS6_6detail15normal_iteratorINS6_10device_ptrIKiEEEESL_NS6_8equal_toIiEEEENSG_9not_fun_tINSD_8identityEEEEENSD_19counting_iterator_tIlEES8_S8_S8_S8_S8_S8_S8_S8_EEEEPS9_S9_NSD_9__find_if7functorIS9_EEEE10hipError_tPvRmT1_T2_T3_mT4_P12ihipStream_tbEUlT_E1_NS1_11comp_targetILNS1_3genE10ELNS1_11target_archE1201ELNS1_3gpuE5ELNS1_3repE0EEENS1_30default_config_static_selectorELNS0_4arch9wavefront6targetE0EEEvS14_
		.amdhsa_group_segment_fixed_size 0
		.amdhsa_private_segment_fixed_size 0
		.amdhsa_kernarg_size 88
		.amdhsa_user_sgpr_count 15
		.amdhsa_user_sgpr_dispatch_ptr 0
		.amdhsa_user_sgpr_queue_ptr 0
		.amdhsa_user_sgpr_kernarg_segment_ptr 1
		.amdhsa_user_sgpr_dispatch_id 0
		.amdhsa_user_sgpr_private_segment_size 0
		.amdhsa_wavefront_size32 1
		.amdhsa_uses_dynamic_stack 0
		.amdhsa_enable_private_segment 0
		.amdhsa_system_sgpr_workgroup_id_x 1
		.amdhsa_system_sgpr_workgroup_id_y 0
		.amdhsa_system_sgpr_workgroup_id_z 0
		.amdhsa_system_sgpr_workgroup_info 0
		.amdhsa_system_vgpr_workitem_id 0
		.amdhsa_next_free_vgpr 1
		.amdhsa_next_free_sgpr 1
		.amdhsa_reserve_vcc 0
		.amdhsa_float_round_mode_32 0
		.amdhsa_float_round_mode_16_64 0
		.amdhsa_float_denorm_mode_32 3
		.amdhsa_float_denorm_mode_16_64 3
		.amdhsa_dx10_clamp 1
		.amdhsa_ieee_mode 1
		.amdhsa_fp16_overflow 0
		.amdhsa_workgroup_processor_mode 1
		.amdhsa_memory_ordered 1
		.amdhsa_forward_progress 0
		.amdhsa_shared_vgpr_count 0
		.amdhsa_exception_fp_ieee_invalid_op 0
		.amdhsa_exception_fp_denorm_src 0
		.amdhsa_exception_fp_ieee_div_zero 0
		.amdhsa_exception_fp_ieee_overflow 0
		.amdhsa_exception_fp_ieee_underflow 0
		.amdhsa_exception_fp_ieee_inexact 0
		.amdhsa_exception_int_div_zero 0
	.end_amdhsa_kernel
	.section	.text._ZN7rocprim17ROCPRIM_400000_NS6detail17trampoline_kernelINS0_14default_configENS1_22reduce_config_selectorIN6thrust23THRUST_200600_302600_NS5tupleIblNS6_9null_typeES8_S8_S8_S8_S8_S8_S8_EEEEZNS1_11reduce_implILb1ES3_NS6_12zip_iteratorINS7_INS6_11hip_rocprim26transform_input_iterator_tIbNSD_35transform_pair_of_input_iterators_tIbNS6_6detail15normal_iteratorINS6_10device_ptrIKiEEEESL_NS6_8equal_toIiEEEENSG_9not_fun_tINSD_8identityEEEEENSD_19counting_iterator_tIlEES8_S8_S8_S8_S8_S8_S8_S8_EEEEPS9_S9_NSD_9__find_if7functorIS9_EEEE10hipError_tPvRmT1_T2_T3_mT4_P12ihipStream_tbEUlT_E1_NS1_11comp_targetILNS1_3genE10ELNS1_11target_archE1201ELNS1_3gpuE5ELNS1_3repE0EEENS1_30default_config_static_selectorELNS0_4arch9wavefront6targetE0EEEvS14_,"axG",@progbits,_ZN7rocprim17ROCPRIM_400000_NS6detail17trampoline_kernelINS0_14default_configENS1_22reduce_config_selectorIN6thrust23THRUST_200600_302600_NS5tupleIblNS6_9null_typeES8_S8_S8_S8_S8_S8_S8_EEEEZNS1_11reduce_implILb1ES3_NS6_12zip_iteratorINS7_INS6_11hip_rocprim26transform_input_iterator_tIbNSD_35transform_pair_of_input_iterators_tIbNS6_6detail15normal_iteratorINS6_10device_ptrIKiEEEESL_NS6_8equal_toIiEEEENSG_9not_fun_tINSD_8identityEEEEENSD_19counting_iterator_tIlEES8_S8_S8_S8_S8_S8_S8_S8_EEEEPS9_S9_NSD_9__find_if7functorIS9_EEEE10hipError_tPvRmT1_T2_T3_mT4_P12ihipStream_tbEUlT_E1_NS1_11comp_targetILNS1_3genE10ELNS1_11target_archE1201ELNS1_3gpuE5ELNS1_3repE0EEENS1_30default_config_static_selectorELNS0_4arch9wavefront6targetE0EEEvS14_,comdat
.Lfunc_end551:
	.size	_ZN7rocprim17ROCPRIM_400000_NS6detail17trampoline_kernelINS0_14default_configENS1_22reduce_config_selectorIN6thrust23THRUST_200600_302600_NS5tupleIblNS6_9null_typeES8_S8_S8_S8_S8_S8_S8_EEEEZNS1_11reduce_implILb1ES3_NS6_12zip_iteratorINS7_INS6_11hip_rocprim26transform_input_iterator_tIbNSD_35transform_pair_of_input_iterators_tIbNS6_6detail15normal_iteratorINS6_10device_ptrIKiEEEESL_NS6_8equal_toIiEEEENSG_9not_fun_tINSD_8identityEEEEENSD_19counting_iterator_tIlEES8_S8_S8_S8_S8_S8_S8_S8_EEEEPS9_S9_NSD_9__find_if7functorIS9_EEEE10hipError_tPvRmT1_T2_T3_mT4_P12ihipStream_tbEUlT_E1_NS1_11comp_targetILNS1_3genE10ELNS1_11target_archE1201ELNS1_3gpuE5ELNS1_3repE0EEENS1_30default_config_static_selectorELNS0_4arch9wavefront6targetE0EEEvS14_, .Lfunc_end551-_ZN7rocprim17ROCPRIM_400000_NS6detail17trampoline_kernelINS0_14default_configENS1_22reduce_config_selectorIN6thrust23THRUST_200600_302600_NS5tupleIblNS6_9null_typeES8_S8_S8_S8_S8_S8_S8_EEEEZNS1_11reduce_implILb1ES3_NS6_12zip_iteratorINS7_INS6_11hip_rocprim26transform_input_iterator_tIbNSD_35transform_pair_of_input_iterators_tIbNS6_6detail15normal_iteratorINS6_10device_ptrIKiEEEESL_NS6_8equal_toIiEEEENSG_9not_fun_tINSD_8identityEEEEENSD_19counting_iterator_tIlEES8_S8_S8_S8_S8_S8_S8_S8_EEEEPS9_S9_NSD_9__find_if7functorIS9_EEEE10hipError_tPvRmT1_T2_T3_mT4_P12ihipStream_tbEUlT_E1_NS1_11comp_targetILNS1_3genE10ELNS1_11target_archE1201ELNS1_3gpuE5ELNS1_3repE0EEENS1_30default_config_static_selectorELNS0_4arch9wavefront6targetE0EEEvS14_
                                        ; -- End function
	.section	.AMDGPU.csdata,"",@progbits
; Kernel info:
; codeLenInByte = 0
; NumSgprs: 0
; NumVgprs: 0
; ScratchSize: 0
; MemoryBound: 0
; FloatMode: 240
; IeeeMode: 1
; LDSByteSize: 0 bytes/workgroup (compile time only)
; SGPRBlocks: 0
; VGPRBlocks: 0
; NumSGPRsForWavesPerEU: 1
; NumVGPRsForWavesPerEU: 1
; Occupancy: 16
; WaveLimiterHint : 0
; COMPUTE_PGM_RSRC2:SCRATCH_EN: 0
; COMPUTE_PGM_RSRC2:USER_SGPR: 15
; COMPUTE_PGM_RSRC2:TRAP_HANDLER: 0
; COMPUTE_PGM_RSRC2:TGID_X_EN: 1
; COMPUTE_PGM_RSRC2:TGID_Y_EN: 0
; COMPUTE_PGM_RSRC2:TGID_Z_EN: 0
; COMPUTE_PGM_RSRC2:TIDIG_COMP_CNT: 0
	.section	.text._ZN7rocprim17ROCPRIM_400000_NS6detail17trampoline_kernelINS0_14default_configENS1_22reduce_config_selectorIN6thrust23THRUST_200600_302600_NS5tupleIblNS6_9null_typeES8_S8_S8_S8_S8_S8_S8_EEEEZNS1_11reduce_implILb1ES3_NS6_12zip_iteratorINS7_INS6_11hip_rocprim26transform_input_iterator_tIbNSD_35transform_pair_of_input_iterators_tIbNS6_6detail15normal_iteratorINS6_10device_ptrIKiEEEESL_NS6_8equal_toIiEEEENSG_9not_fun_tINSD_8identityEEEEENSD_19counting_iterator_tIlEES8_S8_S8_S8_S8_S8_S8_S8_EEEEPS9_S9_NSD_9__find_if7functorIS9_EEEE10hipError_tPvRmT1_T2_T3_mT4_P12ihipStream_tbEUlT_E1_NS1_11comp_targetILNS1_3genE10ELNS1_11target_archE1200ELNS1_3gpuE4ELNS1_3repE0EEENS1_30default_config_static_selectorELNS0_4arch9wavefront6targetE0EEEvS14_,"axG",@progbits,_ZN7rocprim17ROCPRIM_400000_NS6detail17trampoline_kernelINS0_14default_configENS1_22reduce_config_selectorIN6thrust23THRUST_200600_302600_NS5tupleIblNS6_9null_typeES8_S8_S8_S8_S8_S8_S8_EEEEZNS1_11reduce_implILb1ES3_NS6_12zip_iteratorINS7_INS6_11hip_rocprim26transform_input_iterator_tIbNSD_35transform_pair_of_input_iterators_tIbNS6_6detail15normal_iteratorINS6_10device_ptrIKiEEEESL_NS6_8equal_toIiEEEENSG_9not_fun_tINSD_8identityEEEEENSD_19counting_iterator_tIlEES8_S8_S8_S8_S8_S8_S8_S8_EEEEPS9_S9_NSD_9__find_if7functorIS9_EEEE10hipError_tPvRmT1_T2_T3_mT4_P12ihipStream_tbEUlT_E1_NS1_11comp_targetILNS1_3genE10ELNS1_11target_archE1200ELNS1_3gpuE4ELNS1_3repE0EEENS1_30default_config_static_selectorELNS0_4arch9wavefront6targetE0EEEvS14_,comdat
	.protected	_ZN7rocprim17ROCPRIM_400000_NS6detail17trampoline_kernelINS0_14default_configENS1_22reduce_config_selectorIN6thrust23THRUST_200600_302600_NS5tupleIblNS6_9null_typeES8_S8_S8_S8_S8_S8_S8_EEEEZNS1_11reduce_implILb1ES3_NS6_12zip_iteratorINS7_INS6_11hip_rocprim26transform_input_iterator_tIbNSD_35transform_pair_of_input_iterators_tIbNS6_6detail15normal_iteratorINS6_10device_ptrIKiEEEESL_NS6_8equal_toIiEEEENSG_9not_fun_tINSD_8identityEEEEENSD_19counting_iterator_tIlEES8_S8_S8_S8_S8_S8_S8_S8_EEEEPS9_S9_NSD_9__find_if7functorIS9_EEEE10hipError_tPvRmT1_T2_T3_mT4_P12ihipStream_tbEUlT_E1_NS1_11comp_targetILNS1_3genE10ELNS1_11target_archE1200ELNS1_3gpuE4ELNS1_3repE0EEENS1_30default_config_static_selectorELNS0_4arch9wavefront6targetE0EEEvS14_ ; -- Begin function _ZN7rocprim17ROCPRIM_400000_NS6detail17trampoline_kernelINS0_14default_configENS1_22reduce_config_selectorIN6thrust23THRUST_200600_302600_NS5tupleIblNS6_9null_typeES8_S8_S8_S8_S8_S8_S8_EEEEZNS1_11reduce_implILb1ES3_NS6_12zip_iteratorINS7_INS6_11hip_rocprim26transform_input_iterator_tIbNSD_35transform_pair_of_input_iterators_tIbNS6_6detail15normal_iteratorINS6_10device_ptrIKiEEEESL_NS6_8equal_toIiEEEENSG_9not_fun_tINSD_8identityEEEEENSD_19counting_iterator_tIlEES8_S8_S8_S8_S8_S8_S8_S8_EEEEPS9_S9_NSD_9__find_if7functorIS9_EEEE10hipError_tPvRmT1_T2_T3_mT4_P12ihipStream_tbEUlT_E1_NS1_11comp_targetILNS1_3genE10ELNS1_11target_archE1200ELNS1_3gpuE4ELNS1_3repE0EEENS1_30default_config_static_selectorELNS0_4arch9wavefront6targetE0EEEvS14_
	.globl	_ZN7rocprim17ROCPRIM_400000_NS6detail17trampoline_kernelINS0_14default_configENS1_22reduce_config_selectorIN6thrust23THRUST_200600_302600_NS5tupleIblNS6_9null_typeES8_S8_S8_S8_S8_S8_S8_EEEEZNS1_11reduce_implILb1ES3_NS6_12zip_iteratorINS7_INS6_11hip_rocprim26transform_input_iterator_tIbNSD_35transform_pair_of_input_iterators_tIbNS6_6detail15normal_iteratorINS6_10device_ptrIKiEEEESL_NS6_8equal_toIiEEEENSG_9not_fun_tINSD_8identityEEEEENSD_19counting_iterator_tIlEES8_S8_S8_S8_S8_S8_S8_S8_EEEEPS9_S9_NSD_9__find_if7functorIS9_EEEE10hipError_tPvRmT1_T2_T3_mT4_P12ihipStream_tbEUlT_E1_NS1_11comp_targetILNS1_3genE10ELNS1_11target_archE1200ELNS1_3gpuE4ELNS1_3repE0EEENS1_30default_config_static_selectorELNS0_4arch9wavefront6targetE0EEEvS14_
	.p2align	8
	.type	_ZN7rocprim17ROCPRIM_400000_NS6detail17trampoline_kernelINS0_14default_configENS1_22reduce_config_selectorIN6thrust23THRUST_200600_302600_NS5tupleIblNS6_9null_typeES8_S8_S8_S8_S8_S8_S8_EEEEZNS1_11reduce_implILb1ES3_NS6_12zip_iteratorINS7_INS6_11hip_rocprim26transform_input_iterator_tIbNSD_35transform_pair_of_input_iterators_tIbNS6_6detail15normal_iteratorINS6_10device_ptrIKiEEEESL_NS6_8equal_toIiEEEENSG_9not_fun_tINSD_8identityEEEEENSD_19counting_iterator_tIlEES8_S8_S8_S8_S8_S8_S8_S8_EEEEPS9_S9_NSD_9__find_if7functorIS9_EEEE10hipError_tPvRmT1_T2_T3_mT4_P12ihipStream_tbEUlT_E1_NS1_11comp_targetILNS1_3genE10ELNS1_11target_archE1200ELNS1_3gpuE4ELNS1_3repE0EEENS1_30default_config_static_selectorELNS0_4arch9wavefront6targetE0EEEvS14_,@function
_ZN7rocprim17ROCPRIM_400000_NS6detail17trampoline_kernelINS0_14default_configENS1_22reduce_config_selectorIN6thrust23THRUST_200600_302600_NS5tupleIblNS6_9null_typeES8_S8_S8_S8_S8_S8_S8_EEEEZNS1_11reduce_implILb1ES3_NS6_12zip_iteratorINS7_INS6_11hip_rocprim26transform_input_iterator_tIbNSD_35transform_pair_of_input_iterators_tIbNS6_6detail15normal_iteratorINS6_10device_ptrIKiEEEESL_NS6_8equal_toIiEEEENSG_9not_fun_tINSD_8identityEEEEENSD_19counting_iterator_tIlEES8_S8_S8_S8_S8_S8_S8_S8_EEEEPS9_S9_NSD_9__find_if7functorIS9_EEEE10hipError_tPvRmT1_T2_T3_mT4_P12ihipStream_tbEUlT_E1_NS1_11comp_targetILNS1_3genE10ELNS1_11target_archE1200ELNS1_3gpuE4ELNS1_3repE0EEENS1_30default_config_static_selectorELNS0_4arch9wavefront6targetE0EEEvS14_: ; @_ZN7rocprim17ROCPRIM_400000_NS6detail17trampoline_kernelINS0_14default_configENS1_22reduce_config_selectorIN6thrust23THRUST_200600_302600_NS5tupleIblNS6_9null_typeES8_S8_S8_S8_S8_S8_S8_EEEEZNS1_11reduce_implILb1ES3_NS6_12zip_iteratorINS7_INS6_11hip_rocprim26transform_input_iterator_tIbNSD_35transform_pair_of_input_iterators_tIbNS6_6detail15normal_iteratorINS6_10device_ptrIKiEEEESL_NS6_8equal_toIiEEEENSG_9not_fun_tINSD_8identityEEEEENSD_19counting_iterator_tIlEES8_S8_S8_S8_S8_S8_S8_S8_EEEEPS9_S9_NSD_9__find_if7functorIS9_EEEE10hipError_tPvRmT1_T2_T3_mT4_P12ihipStream_tbEUlT_E1_NS1_11comp_targetILNS1_3genE10ELNS1_11target_archE1200ELNS1_3gpuE4ELNS1_3repE0EEENS1_30default_config_static_selectorELNS0_4arch9wavefront6targetE0EEEvS14_
; %bb.0:
	.section	.rodata,"a",@progbits
	.p2align	6, 0x0
	.amdhsa_kernel _ZN7rocprim17ROCPRIM_400000_NS6detail17trampoline_kernelINS0_14default_configENS1_22reduce_config_selectorIN6thrust23THRUST_200600_302600_NS5tupleIblNS6_9null_typeES8_S8_S8_S8_S8_S8_S8_EEEEZNS1_11reduce_implILb1ES3_NS6_12zip_iteratorINS7_INS6_11hip_rocprim26transform_input_iterator_tIbNSD_35transform_pair_of_input_iterators_tIbNS6_6detail15normal_iteratorINS6_10device_ptrIKiEEEESL_NS6_8equal_toIiEEEENSG_9not_fun_tINSD_8identityEEEEENSD_19counting_iterator_tIlEES8_S8_S8_S8_S8_S8_S8_S8_EEEEPS9_S9_NSD_9__find_if7functorIS9_EEEE10hipError_tPvRmT1_T2_T3_mT4_P12ihipStream_tbEUlT_E1_NS1_11comp_targetILNS1_3genE10ELNS1_11target_archE1200ELNS1_3gpuE4ELNS1_3repE0EEENS1_30default_config_static_selectorELNS0_4arch9wavefront6targetE0EEEvS14_
		.amdhsa_group_segment_fixed_size 0
		.amdhsa_private_segment_fixed_size 0
		.amdhsa_kernarg_size 88
		.amdhsa_user_sgpr_count 15
		.amdhsa_user_sgpr_dispatch_ptr 0
		.amdhsa_user_sgpr_queue_ptr 0
		.amdhsa_user_sgpr_kernarg_segment_ptr 1
		.amdhsa_user_sgpr_dispatch_id 0
		.amdhsa_user_sgpr_private_segment_size 0
		.amdhsa_wavefront_size32 1
		.amdhsa_uses_dynamic_stack 0
		.amdhsa_enable_private_segment 0
		.amdhsa_system_sgpr_workgroup_id_x 1
		.amdhsa_system_sgpr_workgroup_id_y 0
		.amdhsa_system_sgpr_workgroup_id_z 0
		.amdhsa_system_sgpr_workgroup_info 0
		.amdhsa_system_vgpr_workitem_id 0
		.amdhsa_next_free_vgpr 1
		.amdhsa_next_free_sgpr 1
		.amdhsa_reserve_vcc 0
		.amdhsa_float_round_mode_32 0
		.amdhsa_float_round_mode_16_64 0
		.amdhsa_float_denorm_mode_32 3
		.amdhsa_float_denorm_mode_16_64 3
		.amdhsa_dx10_clamp 1
		.amdhsa_ieee_mode 1
		.amdhsa_fp16_overflow 0
		.amdhsa_workgroup_processor_mode 1
		.amdhsa_memory_ordered 1
		.amdhsa_forward_progress 0
		.amdhsa_shared_vgpr_count 0
		.amdhsa_exception_fp_ieee_invalid_op 0
		.amdhsa_exception_fp_denorm_src 0
		.amdhsa_exception_fp_ieee_div_zero 0
		.amdhsa_exception_fp_ieee_overflow 0
		.amdhsa_exception_fp_ieee_underflow 0
		.amdhsa_exception_fp_ieee_inexact 0
		.amdhsa_exception_int_div_zero 0
	.end_amdhsa_kernel
	.section	.text._ZN7rocprim17ROCPRIM_400000_NS6detail17trampoline_kernelINS0_14default_configENS1_22reduce_config_selectorIN6thrust23THRUST_200600_302600_NS5tupleIblNS6_9null_typeES8_S8_S8_S8_S8_S8_S8_EEEEZNS1_11reduce_implILb1ES3_NS6_12zip_iteratorINS7_INS6_11hip_rocprim26transform_input_iterator_tIbNSD_35transform_pair_of_input_iterators_tIbNS6_6detail15normal_iteratorINS6_10device_ptrIKiEEEESL_NS6_8equal_toIiEEEENSG_9not_fun_tINSD_8identityEEEEENSD_19counting_iterator_tIlEES8_S8_S8_S8_S8_S8_S8_S8_EEEEPS9_S9_NSD_9__find_if7functorIS9_EEEE10hipError_tPvRmT1_T2_T3_mT4_P12ihipStream_tbEUlT_E1_NS1_11comp_targetILNS1_3genE10ELNS1_11target_archE1200ELNS1_3gpuE4ELNS1_3repE0EEENS1_30default_config_static_selectorELNS0_4arch9wavefront6targetE0EEEvS14_,"axG",@progbits,_ZN7rocprim17ROCPRIM_400000_NS6detail17trampoline_kernelINS0_14default_configENS1_22reduce_config_selectorIN6thrust23THRUST_200600_302600_NS5tupleIblNS6_9null_typeES8_S8_S8_S8_S8_S8_S8_EEEEZNS1_11reduce_implILb1ES3_NS6_12zip_iteratorINS7_INS6_11hip_rocprim26transform_input_iterator_tIbNSD_35transform_pair_of_input_iterators_tIbNS6_6detail15normal_iteratorINS6_10device_ptrIKiEEEESL_NS6_8equal_toIiEEEENSG_9not_fun_tINSD_8identityEEEEENSD_19counting_iterator_tIlEES8_S8_S8_S8_S8_S8_S8_S8_EEEEPS9_S9_NSD_9__find_if7functorIS9_EEEE10hipError_tPvRmT1_T2_T3_mT4_P12ihipStream_tbEUlT_E1_NS1_11comp_targetILNS1_3genE10ELNS1_11target_archE1200ELNS1_3gpuE4ELNS1_3repE0EEENS1_30default_config_static_selectorELNS0_4arch9wavefront6targetE0EEEvS14_,comdat
.Lfunc_end552:
	.size	_ZN7rocprim17ROCPRIM_400000_NS6detail17trampoline_kernelINS0_14default_configENS1_22reduce_config_selectorIN6thrust23THRUST_200600_302600_NS5tupleIblNS6_9null_typeES8_S8_S8_S8_S8_S8_S8_EEEEZNS1_11reduce_implILb1ES3_NS6_12zip_iteratorINS7_INS6_11hip_rocprim26transform_input_iterator_tIbNSD_35transform_pair_of_input_iterators_tIbNS6_6detail15normal_iteratorINS6_10device_ptrIKiEEEESL_NS6_8equal_toIiEEEENSG_9not_fun_tINSD_8identityEEEEENSD_19counting_iterator_tIlEES8_S8_S8_S8_S8_S8_S8_S8_EEEEPS9_S9_NSD_9__find_if7functorIS9_EEEE10hipError_tPvRmT1_T2_T3_mT4_P12ihipStream_tbEUlT_E1_NS1_11comp_targetILNS1_3genE10ELNS1_11target_archE1200ELNS1_3gpuE4ELNS1_3repE0EEENS1_30default_config_static_selectorELNS0_4arch9wavefront6targetE0EEEvS14_, .Lfunc_end552-_ZN7rocprim17ROCPRIM_400000_NS6detail17trampoline_kernelINS0_14default_configENS1_22reduce_config_selectorIN6thrust23THRUST_200600_302600_NS5tupleIblNS6_9null_typeES8_S8_S8_S8_S8_S8_S8_EEEEZNS1_11reduce_implILb1ES3_NS6_12zip_iteratorINS7_INS6_11hip_rocprim26transform_input_iterator_tIbNSD_35transform_pair_of_input_iterators_tIbNS6_6detail15normal_iteratorINS6_10device_ptrIKiEEEESL_NS6_8equal_toIiEEEENSG_9not_fun_tINSD_8identityEEEEENSD_19counting_iterator_tIlEES8_S8_S8_S8_S8_S8_S8_S8_EEEEPS9_S9_NSD_9__find_if7functorIS9_EEEE10hipError_tPvRmT1_T2_T3_mT4_P12ihipStream_tbEUlT_E1_NS1_11comp_targetILNS1_3genE10ELNS1_11target_archE1200ELNS1_3gpuE4ELNS1_3repE0EEENS1_30default_config_static_selectorELNS0_4arch9wavefront6targetE0EEEvS14_
                                        ; -- End function
	.section	.AMDGPU.csdata,"",@progbits
; Kernel info:
; codeLenInByte = 0
; NumSgprs: 0
; NumVgprs: 0
; ScratchSize: 0
; MemoryBound: 0
; FloatMode: 240
; IeeeMode: 1
; LDSByteSize: 0 bytes/workgroup (compile time only)
; SGPRBlocks: 0
; VGPRBlocks: 0
; NumSGPRsForWavesPerEU: 1
; NumVGPRsForWavesPerEU: 1
; Occupancy: 16
; WaveLimiterHint : 0
; COMPUTE_PGM_RSRC2:SCRATCH_EN: 0
; COMPUTE_PGM_RSRC2:USER_SGPR: 15
; COMPUTE_PGM_RSRC2:TRAP_HANDLER: 0
; COMPUTE_PGM_RSRC2:TGID_X_EN: 1
; COMPUTE_PGM_RSRC2:TGID_Y_EN: 0
; COMPUTE_PGM_RSRC2:TGID_Z_EN: 0
; COMPUTE_PGM_RSRC2:TIDIG_COMP_CNT: 0
	.section	.text._ZN7rocprim17ROCPRIM_400000_NS6detail17trampoline_kernelINS0_14default_configENS1_22reduce_config_selectorIN6thrust23THRUST_200600_302600_NS5tupleIblNS6_9null_typeES8_S8_S8_S8_S8_S8_S8_EEEEZNS1_11reduce_implILb1ES3_NS6_12zip_iteratorINS7_INS6_11hip_rocprim26transform_input_iterator_tIbNSD_35transform_pair_of_input_iterators_tIbNS6_6detail15normal_iteratorINS6_10device_ptrIKiEEEESL_NS6_8equal_toIiEEEENSG_9not_fun_tINSD_8identityEEEEENSD_19counting_iterator_tIlEES8_S8_S8_S8_S8_S8_S8_S8_EEEEPS9_S9_NSD_9__find_if7functorIS9_EEEE10hipError_tPvRmT1_T2_T3_mT4_P12ihipStream_tbEUlT_E1_NS1_11comp_targetILNS1_3genE9ELNS1_11target_archE1100ELNS1_3gpuE3ELNS1_3repE0EEENS1_30default_config_static_selectorELNS0_4arch9wavefront6targetE0EEEvS14_,"axG",@progbits,_ZN7rocprim17ROCPRIM_400000_NS6detail17trampoline_kernelINS0_14default_configENS1_22reduce_config_selectorIN6thrust23THRUST_200600_302600_NS5tupleIblNS6_9null_typeES8_S8_S8_S8_S8_S8_S8_EEEEZNS1_11reduce_implILb1ES3_NS6_12zip_iteratorINS7_INS6_11hip_rocprim26transform_input_iterator_tIbNSD_35transform_pair_of_input_iterators_tIbNS6_6detail15normal_iteratorINS6_10device_ptrIKiEEEESL_NS6_8equal_toIiEEEENSG_9not_fun_tINSD_8identityEEEEENSD_19counting_iterator_tIlEES8_S8_S8_S8_S8_S8_S8_S8_EEEEPS9_S9_NSD_9__find_if7functorIS9_EEEE10hipError_tPvRmT1_T2_T3_mT4_P12ihipStream_tbEUlT_E1_NS1_11comp_targetILNS1_3genE9ELNS1_11target_archE1100ELNS1_3gpuE3ELNS1_3repE0EEENS1_30default_config_static_selectorELNS0_4arch9wavefront6targetE0EEEvS14_,comdat
	.protected	_ZN7rocprim17ROCPRIM_400000_NS6detail17trampoline_kernelINS0_14default_configENS1_22reduce_config_selectorIN6thrust23THRUST_200600_302600_NS5tupleIblNS6_9null_typeES8_S8_S8_S8_S8_S8_S8_EEEEZNS1_11reduce_implILb1ES3_NS6_12zip_iteratorINS7_INS6_11hip_rocprim26transform_input_iterator_tIbNSD_35transform_pair_of_input_iterators_tIbNS6_6detail15normal_iteratorINS6_10device_ptrIKiEEEESL_NS6_8equal_toIiEEEENSG_9not_fun_tINSD_8identityEEEEENSD_19counting_iterator_tIlEES8_S8_S8_S8_S8_S8_S8_S8_EEEEPS9_S9_NSD_9__find_if7functorIS9_EEEE10hipError_tPvRmT1_T2_T3_mT4_P12ihipStream_tbEUlT_E1_NS1_11comp_targetILNS1_3genE9ELNS1_11target_archE1100ELNS1_3gpuE3ELNS1_3repE0EEENS1_30default_config_static_selectorELNS0_4arch9wavefront6targetE0EEEvS14_ ; -- Begin function _ZN7rocprim17ROCPRIM_400000_NS6detail17trampoline_kernelINS0_14default_configENS1_22reduce_config_selectorIN6thrust23THRUST_200600_302600_NS5tupleIblNS6_9null_typeES8_S8_S8_S8_S8_S8_S8_EEEEZNS1_11reduce_implILb1ES3_NS6_12zip_iteratorINS7_INS6_11hip_rocprim26transform_input_iterator_tIbNSD_35transform_pair_of_input_iterators_tIbNS6_6detail15normal_iteratorINS6_10device_ptrIKiEEEESL_NS6_8equal_toIiEEEENSG_9not_fun_tINSD_8identityEEEEENSD_19counting_iterator_tIlEES8_S8_S8_S8_S8_S8_S8_S8_EEEEPS9_S9_NSD_9__find_if7functorIS9_EEEE10hipError_tPvRmT1_T2_T3_mT4_P12ihipStream_tbEUlT_E1_NS1_11comp_targetILNS1_3genE9ELNS1_11target_archE1100ELNS1_3gpuE3ELNS1_3repE0EEENS1_30default_config_static_selectorELNS0_4arch9wavefront6targetE0EEEvS14_
	.globl	_ZN7rocprim17ROCPRIM_400000_NS6detail17trampoline_kernelINS0_14default_configENS1_22reduce_config_selectorIN6thrust23THRUST_200600_302600_NS5tupleIblNS6_9null_typeES8_S8_S8_S8_S8_S8_S8_EEEEZNS1_11reduce_implILb1ES3_NS6_12zip_iteratorINS7_INS6_11hip_rocprim26transform_input_iterator_tIbNSD_35transform_pair_of_input_iterators_tIbNS6_6detail15normal_iteratorINS6_10device_ptrIKiEEEESL_NS6_8equal_toIiEEEENSG_9not_fun_tINSD_8identityEEEEENSD_19counting_iterator_tIlEES8_S8_S8_S8_S8_S8_S8_S8_EEEEPS9_S9_NSD_9__find_if7functorIS9_EEEE10hipError_tPvRmT1_T2_T3_mT4_P12ihipStream_tbEUlT_E1_NS1_11comp_targetILNS1_3genE9ELNS1_11target_archE1100ELNS1_3gpuE3ELNS1_3repE0EEENS1_30default_config_static_selectorELNS0_4arch9wavefront6targetE0EEEvS14_
	.p2align	8
	.type	_ZN7rocprim17ROCPRIM_400000_NS6detail17trampoline_kernelINS0_14default_configENS1_22reduce_config_selectorIN6thrust23THRUST_200600_302600_NS5tupleIblNS6_9null_typeES8_S8_S8_S8_S8_S8_S8_EEEEZNS1_11reduce_implILb1ES3_NS6_12zip_iteratorINS7_INS6_11hip_rocprim26transform_input_iterator_tIbNSD_35transform_pair_of_input_iterators_tIbNS6_6detail15normal_iteratorINS6_10device_ptrIKiEEEESL_NS6_8equal_toIiEEEENSG_9not_fun_tINSD_8identityEEEEENSD_19counting_iterator_tIlEES8_S8_S8_S8_S8_S8_S8_S8_EEEEPS9_S9_NSD_9__find_if7functorIS9_EEEE10hipError_tPvRmT1_T2_T3_mT4_P12ihipStream_tbEUlT_E1_NS1_11comp_targetILNS1_3genE9ELNS1_11target_archE1100ELNS1_3gpuE3ELNS1_3repE0EEENS1_30default_config_static_selectorELNS0_4arch9wavefront6targetE0EEEvS14_,@function
_ZN7rocprim17ROCPRIM_400000_NS6detail17trampoline_kernelINS0_14default_configENS1_22reduce_config_selectorIN6thrust23THRUST_200600_302600_NS5tupleIblNS6_9null_typeES8_S8_S8_S8_S8_S8_S8_EEEEZNS1_11reduce_implILb1ES3_NS6_12zip_iteratorINS7_INS6_11hip_rocprim26transform_input_iterator_tIbNSD_35transform_pair_of_input_iterators_tIbNS6_6detail15normal_iteratorINS6_10device_ptrIKiEEEESL_NS6_8equal_toIiEEEENSG_9not_fun_tINSD_8identityEEEEENSD_19counting_iterator_tIlEES8_S8_S8_S8_S8_S8_S8_S8_EEEEPS9_S9_NSD_9__find_if7functorIS9_EEEE10hipError_tPvRmT1_T2_T3_mT4_P12ihipStream_tbEUlT_E1_NS1_11comp_targetILNS1_3genE9ELNS1_11target_archE1100ELNS1_3gpuE3ELNS1_3repE0EEENS1_30default_config_static_selectorELNS0_4arch9wavefront6targetE0EEEvS14_: ; @_ZN7rocprim17ROCPRIM_400000_NS6detail17trampoline_kernelINS0_14default_configENS1_22reduce_config_selectorIN6thrust23THRUST_200600_302600_NS5tupleIblNS6_9null_typeES8_S8_S8_S8_S8_S8_S8_EEEEZNS1_11reduce_implILb1ES3_NS6_12zip_iteratorINS7_INS6_11hip_rocprim26transform_input_iterator_tIbNSD_35transform_pair_of_input_iterators_tIbNS6_6detail15normal_iteratorINS6_10device_ptrIKiEEEESL_NS6_8equal_toIiEEEENSG_9not_fun_tINSD_8identityEEEEENSD_19counting_iterator_tIlEES8_S8_S8_S8_S8_S8_S8_S8_EEEEPS9_S9_NSD_9__find_if7functorIS9_EEEE10hipError_tPvRmT1_T2_T3_mT4_P12ihipStream_tbEUlT_E1_NS1_11comp_targetILNS1_3genE9ELNS1_11target_archE1100ELNS1_3gpuE3ELNS1_3repE0EEENS1_30default_config_static_selectorELNS0_4arch9wavefront6targetE0EEEvS14_
; %bb.0:
	s_mov_b32 s10, s15
	s_clause 0x4
	s_load_b32 s25, s[0:1], 0x4
	s_load_b128 s[16:19], s[0:1], 0x8
	s_load_b128 s[12:15], s[0:1], 0x28
	s_load_b32 s24, s[0:1], 0x40
	s_load_b64 s[20:21], s[0:1], 0x48
	s_waitcnt lgkmcnt(0)
	s_cmp_lt_i32 s25, 4
	s_cbranch_scc1 .LBB553_19
; %bb.1:
	s_cmp_gt_i32 s25, 7
	s_cbranch_scc0 .LBB553_20
; %bb.2:
	s_cmp_eq_u32 s25, 8
	s_mov_b32 s27, 0
	s_cbranch_scc0 .LBB553_21
; %bb.3:
	s_mov_b32 s11, 0
	s_lshl_b32 s6, s10, 11
	s_mov_b32 s7, s11
	s_lshr_b64 s[4:5], s[14:15], 11
	s_lshl_b64 s[2:3], s[6:7], 2
	s_delay_alu instid0(SALU_CYCLE_1)
	s_add_u32 s8, s16, s2
	s_addc_u32 s9, s17, s3
	s_add_u32 s22, s18, s2
	s_addc_u32 s23, s19, s3
	;; [unrolled: 2-line block ×3, first 2 shown]
	s_cmp_lg_u64 s[4:5], s[10:11]
	s_cbranch_scc0 .LBB553_40
; %bb.4:
	v_lshlrev_b32_e32 v1, 2, v0
	s_clause 0x7
	global_load_b32 v6, v1, s[8:9]
	global_load_b32 v7, v1, s[8:9] offset:1024
	global_load_b32 v8, v1, s[8:9] offset:2048
	;; [unrolled: 1-line block ×5, first 2 shown]
	global_load_b32 v12, v1, s[22:23]
	global_load_b32 v13, v1, s[8:9] offset:3072
	v_add_co_u32 v3, s2, s8, v1
	s_delay_alu instid0(VALU_DEP_1) | instskip(SKIP_1) | instid1(VALU_DEP_1)
	v_add_co_ci_u32_e64 v4, null, s9, 0, s2
	v_add_co_u32 v2, s2, s22, v1
	v_add_co_ci_u32_e64 v5, null, s23, 0, s2
	s_delay_alu instid0(VALU_DEP_2) | instskip(NEXT) | instid1(VALU_DEP_2)
	v_add_co_u32 v1, vcc_lo, 0x1000, v2
	v_add_co_ci_u32_e32 v2, vcc_lo, 0, v5, vcc_lo
	v_add_co_u32 v3, vcc_lo, 0x1000, v3
	v_add_co_ci_u32_e32 v4, vcc_lo, 0, v4, vcc_lo
	global_load_b32 v5, v[1:2], off
	s_clause 0x1
	global_load_b32 v14, v[3:4], off
	global_load_b32 v15, v[3:4], off offset:1024
	s_clause 0x1
	global_load_b32 v16, v[1:2], off offset:1024
	global_load_b32 v17, v[1:2], off offset:2048
	s_clause 0x1
	global_load_b32 v18, v[3:4], off offset:2048
	global_load_b32 v3, v[3:4], off offset:3072
	;; [unrolled: 1-line block ×3, first 2 shown]
	v_mov_b32_e32 v2, 0x100
	v_mov_b32_e32 v4, 0x300
	s_waitcnt vmcnt(12)
	v_cmp_ne_u32_e32 vcc_lo, v7, v9
	s_waitcnt vmcnt(11)
	v_cmp_ne_u32_e64 s3, v8, v10
	s_waitcnt vmcnt(9)
	v_cmp_ne_u32_e64 s2, v6, v12
	;; [unrolled: 2-line block ×3, first 2 shown]
	v_cndmask_b32_e32 v2, 0x200, v2, vcc_lo
	v_mov_b32_e32 v6, 0x500
	s_delay_alu instid0(VALU_DEP_3) | instskip(NEXT) | instid1(VALU_DEP_3)
	v_cndmask_b32_e64 v4, 0x400, v4, s4
	v_cndmask_b32_e64 v2, v2, 0, s2
	s_or_b32 s2, s2, vcc_lo
	s_delay_alu instid0(SALU_CYCLE_1) | instskip(NEXT) | instid1(SALU_CYCLE_1)
	s_or_b32 s2, s2, s3
	s_or_b32 s4, s2, s4
	s_delay_alu instid0(VALU_DEP_1)
	v_cndmask_b32_e64 v2, v4, v2, s2
	s_waitcnt vmcnt(6)
	v_cmp_ne_u32_e32 vcc_lo, v14, v5
	s_waitcnt vmcnt(4)
	v_cmp_ne_u32_e64 s3, v15, v16
	s_waitcnt vmcnt(2)
	v_cmp_ne_u32_e64 s2, v18, v17
	s_or_b32 vcc_lo, s4, vcc_lo
	s_waitcnt vmcnt(0)
	v_cmp_ne_u32_e64 s4, v3, v1
	v_cndmask_b32_e64 v4, 0x600, v6, s3
	s_or_b32 s3, vcc_lo, s3
	s_delay_alu instid0(VALU_DEP_1) | instskip(SKIP_1) | instid1(SALU_CYCLE_1)
	v_cndmask_b32_e32 v2, v4, v2, vcc_lo
	s_or_b32 vcc_lo, s3, s2
	s_or_b32 s3, vcc_lo, s4
	s_mov_b32 s4, exec_lo
	s_delay_alu instid0(VALU_DEP_1) | instskip(SKIP_3) | instid1(VALU_DEP_3)
	v_cndmask_b32_e32 v1, 0x700, v2, vcc_lo
	v_add_co_u32 v2, s2, s26, v0
	v_cndmask_b32_e64 v5, 0, 1, s3
	v_add_co_ci_u32_e64 v3, null, s28, 0, s2
	v_add_co_u32 v1, vcc_lo, v2, v1
	s_delay_alu instid0(VALU_DEP_3) | instskip(NEXT) | instid1(VALU_DEP_3)
	v_mov_b32_dpp v6, v5 quad_perm:[1,0,3,2] row_mask:0xf bank_mask:0xf
	v_add_co_ci_u32_e32 v2, vcc_lo, 0, v3, vcc_lo
	s_delay_alu instid0(VALU_DEP_3) | instskip(NEXT) | instid1(VALU_DEP_3)
	v_mov_b32_dpp v3, v1 quad_perm:[1,0,3,2] row_mask:0xf bank_mask:0xf
	v_and_b32_e32 v7, 1, v6
	s_delay_alu instid0(VALU_DEP_3) | instskip(NEXT) | instid1(VALU_DEP_2)
	v_mov_b32_dpp v4, v2 quad_perm:[1,0,3,2] row_mask:0xf bank_mask:0xf
	v_cmpx_eq_u32_e32 1, v7
; %bb.5:
	v_cndmask_b32_e64 v5, v6, 1, s3
	s_delay_alu instid0(VALU_DEP_3) | instskip(NEXT) | instid1(VALU_DEP_2)
	v_cmp_lt_i64_e32 vcc_lo, v[1:2], v[3:4]
	v_and_b32_e32 v6, 1, v5
	v_and_b32_e32 v5, 0xff, v5
	s_and_b32 vcc_lo, s3, vcc_lo
	s_and_not1_b32 s3, s3, exec_lo
	v_dual_cndmask_b32 v2, v4, v2 :: v_dual_cndmask_b32 v1, v3, v1
	v_cmp_eq_u32_e64 s2, 1, v6
	s_delay_alu instid0(VALU_DEP_1) | instskip(NEXT) | instid1(SALU_CYCLE_1)
	s_and_b32 s2, s2, exec_lo
	s_or_b32 s3, s3, s2
; %bb.6:
	s_or_b32 exec_lo, exec_lo, s4
	v_mov_b32_dpp v6, v5 quad_perm:[2,3,0,1] row_mask:0xf bank_mask:0xf
	v_mov_b32_dpp v3, v1 quad_perm:[2,3,0,1] row_mask:0xf bank_mask:0xf
	;; [unrolled: 1-line block ×3, first 2 shown]
	s_mov_b32 s4, exec_lo
	s_delay_alu instid0(VALU_DEP_3) | instskip(NEXT) | instid1(VALU_DEP_1)
	v_and_b32_e32 v7, 1, v6
	v_cmpx_eq_u32_e32 1, v7
; %bb.7:
	v_cndmask_b32_e64 v5, v6, 1, s3
	v_cmp_lt_i64_e32 vcc_lo, v[1:2], v[3:4]
	s_delay_alu instid0(VALU_DEP_2)
	v_and_b32_e32 v6, 1, v5
	v_and_b32_e32 v5, 0xff, v5
	s_and_b32 vcc_lo, s3, vcc_lo
	s_and_not1_b32 s3, s3, exec_lo
	v_dual_cndmask_b32 v2, v4, v2 :: v_dual_cndmask_b32 v1, v3, v1
	v_cmp_eq_u32_e64 s2, 1, v6
	s_delay_alu instid0(VALU_DEP_1) | instskip(NEXT) | instid1(SALU_CYCLE_1)
	s_and_b32 s2, s2, exec_lo
	s_or_b32 s3, s3, s2
; %bb.8:
	s_or_b32 exec_lo, exec_lo, s4
	v_mov_b32_dpp v6, v5 row_ror:4 row_mask:0xf bank_mask:0xf
	v_mov_b32_dpp v3, v1 row_ror:4 row_mask:0xf bank_mask:0xf
	v_mov_b32_dpp v4, v2 row_ror:4 row_mask:0xf bank_mask:0xf
	s_mov_b32 s4, exec_lo
	s_delay_alu instid0(VALU_DEP_3) | instskip(NEXT) | instid1(VALU_DEP_1)
	v_and_b32_e32 v7, 1, v6
	v_cmpx_eq_u32_e32 1, v7
; %bb.9:
	v_cndmask_b32_e64 v5, v6, 1, s3
	v_cmp_lt_i64_e32 vcc_lo, v[1:2], v[3:4]
	s_delay_alu instid0(VALU_DEP_2)
	v_and_b32_e32 v6, 1, v5
	v_and_b32_e32 v5, 0xff, v5
	s_and_b32 vcc_lo, s3, vcc_lo
	s_and_not1_b32 s3, s3, exec_lo
	v_dual_cndmask_b32 v2, v4, v2 :: v_dual_cndmask_b32 v1, v3, v1
	v_cmp_eq_u32_e64 s2, 1, v6
	s_delay_alu instid0(VALU_DEP_1) | instskip(NEXT) | instid1(SALU_CYCLE_1)
	s_and_b32 s2, s2, exec_lo
	s_or_b32 s3, s3, s2
; %bb.10:
	s_or_b32 exec_lo, exec_lo, s4
	v_mov_b32_dpp v6, v5 row_ror:8 row_mask:0xf bank_mask:0xf
	v_mov_b32_dpp v3, v1 row_ror:8 row_mask:0xf bank_mask:0xf
	;; [unrolled: 1-line block ×3, first 2 shown]
	s_mov_b32 s4, exec_lo
	s_delay_alu instid0(VALU_DEP_3) | instskip(NEXT) | instid1(VALU_DEP_1)
	v_and_b32_e32 v7, 1, v6
	v_cmpx_eq_u32_e32 1, v7
; %bb.11:
	v_cndmask_b32_e64 v5, v6, 1, s3
	v_cmp_lt_i64_e32 vcc_lo, v[1:2], v[3:4]
	s_delay_alu instid0(VALU_DEP_2)
	v_and_b32_e32 v6, 1, v5
	v_and_b32_e32 v5, 0xff, v5
	s_and_b32 vcc_lo, s3, vcc_lo
	s_and_not1_b32 s3, s3, exec_lo
	v_dual_cndmask_b32 v2, v4, v2 :: v_dual_cndmask_b32 v1, v3, v1
	v_cmp_eq_u32_e64 s2, 1, v6
	s_delay_alu instid0(VALU_DEP_1) | instskip(NEXT) | instid1(SALU_CYCLE_1)
	s_and_b32 s2, s2, exec_lo
	s_or_b32 s3, s3, s2
; %bb.12:
	s_or_b32 exec_lo, exec_lo, s4
	ds_swizzle_b32 v6, v5 offset:swizzle(BROADCAST,32,15)
	ds_swizzle_b32 v3, v1 offset:swizzle(BROADCAST,32,15)
	;; [unrolled: 1-line block ×3, first 2 shown]
	s_mov_b32 s2, exec_lo
	s_waitcnt lgkmcnt(2)
	v_and_b32_e32 v7, 1, v6
	s_delay_alu instid0(VALU_DEP_1)
	v_cmpx_eq_u32_e32 1, v7
	s_cbranch_execz .LBB553_14
; %bb.13:
	s_waitcnt lgkmcnt(0)
	v_cmp_lt_i64_e32 vcc_lo, v[1:2], v[3:4]
	v_and_b32_e32 v5, 0xff, v6
	s_delay_alu instid0(VALU_DEP_1)
	v_cndmask_b32_e64 v5, v5, 1, s3
	s_and_b32 vcc_lo, s3, vcc_lo
	v_dual_cndmask_b32 v1, v3, v1 :: v_dual_cndmask_b32 v2, v4, v2
.LBB553_14:
	s_or_b32 exec_lo, exec_lo, s2
	s_waitcnt lgkmcnt(1)
	v_mov_b32_e32 v3, 0
	s_mov_b32 s2, exec_lo
	ds_bpermute_b32 v6, v3, v5 offset:124
	ds_bpermute_b32 v1, v3, v1 offset:124
	ds_bpermute_b32 v2, v3, v2 offset:124
	v_mbcnt_lo_u32_b32 v3, -1, 0
	s_delay_alu instid0(VALU_DEP_1)
	v_cmpx_eq_u32_e32 0, v3
	s_cbranch_execz .LBB553_16
; %bb.15:
	s_waitcnt lgkmcnt(3)
	v_lshrrev_b32_e32 v4, 1, v0
	s_delay_alu instid0(VALU_DEP_1)
	v_and_b32_e32 v4, 0x70, v4
	s_waitcnt lgkmcnt(2)
	ds_store_b8 v4, v6 offset:384
	s_waitcnt lgkmcnt(1)
	ds_store_b64 v4, v[1:2] offset:392
.LBB553_16:
	s_or_b32 exec_lo, exec_lo, s2
	s_delay_alu instid0(SALU_CYCLE_1)
	s_mov_b32 s4, exec_lo
	s_waitcnt lgkmcnt(0)
	s_barrier
	buffer_gl0_inv
	v_cmpx_gt_u32_e32 32, v0
	s_cbranch_execz .LBB553_18
; %bb.17:
	v_and_b32_e32 v6, 7, v3
	s_delay_alu instid0(VALU_DEP_1)
	v_lshlrev_b32_e32 v1, 4, v6
	v_cmp_ne_u32_e32 vcc_lo, 7, v6
	ds_load_u8 v7, v1 offset:384
	ds_load_b64 v[1:2], v1 offset:392
	v_add_co_ci_u32_e32 v4, vcc_lo, 0, v3, vcc_lo
	v_cmp_gt_u32_e32 vcc_lo, 6, v6
	s_delay_alu instid0(VALU_DEP_2)
	v_lshlrev_b32_e32 v5, 2, v4
	v_cndmask_b32_e64 v10, 0, 1, vcc_lo
	s_waitcnt lgkmcnt(1)
	v_and_b32_e32 v4, 0xff, v7
	v_and_b32_e32 v11, 1, v7
	ds_bpermute_b32 v8, v5, v4
	s_waitcnt lgkmcnt(1)
	ds_bpermute_b32 v4, v5, v1
	ds_bpermute_b32 v5, v5, v2
	v_cmp_eq_u32_e64 s3, 1, v11
	s_waitcnt lgkmcnt(2)
	v_and_b32_e32 v9, 1, v8
	s_waitcnt lgkmcnt(0)
	v_cmp_lt_i64_e64 s2, v[4:5], v[1:2]
	s_delay_alu instid0(VALU_DEP_2) | instskip(SKIP_2) | instid1(VALU_DEP_4)
	v_cmp_eq_u32_e32 vcc_lo, 1, v9
	v_lshlrev_b32_e32 v9, 1, v10
	v_cndmask_b32_e64 v7, v7, 1, vcc_lo
	s_and_b32 vcc_lo, vcc_lo, s2
	v_dual_cndmask_b32 v1, v1, v4 :: v_dual_cndmask_b32 v2, v2, v5
	s_delay_alu instid0(VALU_DEP_2) | instskip(SKIP_2) | instid1(VALU_DEP_4)
	v_cndmask_b32_e64 v7, v8, v7, s3
	v_add_lshl_u32 v8, v9, v3, 2
	v_cmp_gt_u32_e32 vcc_lo, 4, v6
	v_cndmask_b32_e64 v1, v4, v1, s3
	v_cndmask_b32_e64 v2, v5, v2, s3
	v_and_b32_e32 v9, 0xff, v7
	v_and_b32_e32 v10, 1, v7
	v_cndmask_b32_e64 v6, 0, 1, vcc_lo
	ds_bpermute_b32 v4, v8, v1
	ds_bpermute_b32 v5, v8, v2
	;; [unrolled: 1-line block ×3, first 2 shown]
	v_cmp_eq_u32_e64 s3, 1, v10
	s_waitcnt lgkmcnt(1)
	v_cmp_lt_i64_e64 s2, v[4:5], v[1:2]
	s_waitcnt lgkmcnt(0)
	v_and_b32_e32 v8, 1, v9
	s_delay_alu instid0(VALU_DEP_1) | instskip(SKIP_1) | instid1(VALU_DEP_4)
	v_cmp_eq_u32_e32 vcc_lo, 1, v8
	v_cndmask_b32_e64 v7, v7, 1, vcc_lo
	s_and_b32 vcc_lo, vcc_lo, s2
	v_dual_cndmask_b32 v1, v1, v4 :: v_dual_cndmask_b32 v2, v2, v5
	s_delay_alu instid0(VALU_DEP_2) | instskip(NEXT) | instid1(VALU_DEP_2)
	v_cndmask_b32_e64 v7, v9, v7, s3
	v_cndmask_b32_e64 v1, v4, v1, s3
	v_lshlrev_b32_e32 v6, 2, v6
	s_delay_alu instid0(VALU_DEP_4) | instskip(NEXT) | instid1(VALU_DEP_2)
	v_cndmask_b32_e64 v2, v5, v2, s3
	v_add_lshl_u32 v6, v6, v3, 2
	v_and_b32_e32 v3, 0xff, v7
	ds_bpermute_b32 v4, v6, v2
	ds_bpermute_b32 v5, v6, v3
	;; [unrolled: 1-line block ×3, first 2 shown]
	s_waitcnt lgkmcnt(1)
	v_and_b32_e32 v6, 1, v5
	s_waitcnt lgkmcnt(0)
	v_cmp_lt_i64_e32 vcc_lo, v[3:4], v[1:2]
	s_delay_alu instid0(VALU_DEP_2) | instskip(SKIP_1) | instid1(VALU_DEP_2)
	v_cmp_eq_u32_e64 s2, 1, v6
	v_and_b32_e32 v6, 1, v7
	v_cndmask_b32_e64 v7, v7, 1, s2
	s_and_b32 vcc_lo, s2, vcc_lo
	s_delay_alu instid0(VALU_DEP_2) | instskip(SKIP_1) | instid1(VALU_DEP_2)
	v_cmp_eq_u32_e64 s2, 1, v6
	v_dual_cndmask_b32 v1, v1, v3 :: v_dual_cndmask_b32 v2, v2, v4
	v_cndmask_b32_e64 v5, v5, v7, s2
	s_delay_alu instid0(VALU_DEP_2) | instskip(NEXT) | instid1(VALU_DEP_3)
	v_cndmask_b32_e64 v1, v3, v1, s2
	v_cndmask_b32_e64 v2, v4, v2, s2
	s_delay_alu instid0(VALU_DEP_3)
	v_and_b32_e32 v6, 0xff, v5
.LBB553_18:
	s_or_b32 exec_lo, exec_lo, s4
	s_branch .LBB553_85
.LBB553_19:
	s_mov_b32 s26, 0
                                        ; implicit-def: $vgpr3_vgpr4
                                        ; implicit-def: $vgpr5
	s_cbranch_execnz .LBB553_129
	s_branch .LBB553_200
.LBB553_20:
	s_mov_b32 s27, -1
.LBB553_21:
	s_mov_b32 s26, 0
                                        ; implicit-def: $vgpr3_vgpr4
                                        ; implicit-def: $vgpr5
	s_and_b32 vcc_lo, exec_lo, s27
	s_cbranch_vccz .LBB553_90
.LBB553_22:
	s_cmp_eq_u32 s25, 4
	s_cbranch_scc0 .LBB553_39
; %bb.23:
	s_mov_b32 s11, 0
	s_lshl_b32 s22, s10, 10
	s_mov_b32 s23, s11
	s_lshr_b64 s[28:29], s[14:15], 10
	s_lshl_b64 s[2:3], s[22:23], 2
	s_delay_alu instid0(SALU_CYCLE_1)
	s_add_u32 s6, s16, s2
	s_addc_u32 s7, s17, s3
	s_add_u32 s8, s18, s2
	s_addc_u32 s9, s19, s3
	;; [unrolled: 2-line block ×3, first 2 shown]
	s_cmp_lg_u64 s[28:29], s[10:11]
	s_cbranch_scc0 .LBB553_91
; %bb.24:
	v_mov_b32_e32 v9, 0x100
	v_lshlrev_b32_e32 v1, 2, v0
	global_load_b32 v2, v1, s[8:9] offset:1024
	s_waitcnt lgkmcnt(1)
	global_load_b32 v3, v1, s[6:7] offset:1024
	s_waitcnt lgkmcnt(0)
	s_clause 0x5
	global_load_b32 v4, v1, s[6:7]
	global_load_b32 v5, v1, s[8:9]
	global_load_b32 v6, v1, s[6:7] offset:2048
	global_load_b32 v7, v1, s[8:9] offset:2048
	;; [unrolled: 1-line block ×4, first 2 shown]
	s_waitcnt vmcnt(6)
	v_cmp_ne_u32_e32 vcc_lo, v3, v2
	s_waitcnt vmcnt(4)
	v_cmp_ne_u32_e64 s2, v4, v5
	s_waitcnt vmcnt(2)
	v_cmp_ne_u32_e64 s3, v6, v7
	v_cndmask_b32_e32 v2, 0x200, v9, vcc_lo
	s_waitcnt vmcnt(0)
	v_cmp_ne_u32_e64 s4, v1, v8
	s_delay_alu instid0(VALU_DEP_2) | instskip(SKIP_1) | instid1(SALU_CYCLE_1)
	v_cndmask_b32_e64 v2, v2, 0, s2
	s_or_b32 s2, s2, vcc_lo
	s_or_b32 vcc_lo, s2, s3
	s_delay_alu instid0(VALU_DEP_1) | instskip(SKIP_4) | instid1(VALU_DEP_3)
	v_cndmask_b32_e32 v1, 0x300, v2, vcc_lo
	s_or_b32 s3, vcc_lo, s4
	v_add_co_u32 v2, s2, s5, v0
	v_cndmask_b32_e64 v5, 0, 1, s3
	v_add_co_ci_u32_e64 v3, null, s23, 0, s2
	v_add_co_u32 v1, vcc_lo, v2, v1
	s_delay_alu instid0(VALU_DEP_3) | instskip(NEXT) | instid1(VALU_DEP_3)
	v_mov_b32_dpp v6, v5 quad_perm:[1,0,3,2] row_mask:0xf bank_mask:0xf
	v_add_co_ci_u32_e32 v2, vcc_lo, 0, v3, vcc_lo
	s_delay_alu instid0(VALU_DEP_3) | instskip(SKIP_1) | instid1(VALU_DEP_3)
	v_mov_b32_dpp v3, v1 quad_perm:[1,0,3,2] row_mask:0xf bank_mask:0xf
	s_mov_b32 s4, exec_lo
	v_and_b32_e32 v7, 1, v6
	s_delay_alu instid0(VALU_DEP_3) | instskip(NEXT) | instid1(VALU_DEP_2)
	v_mov_b32_dpp v4, v2 quad_perm:[1,0,3,2] row_mask:0xf bank_mask:0xf
	v_cmpx_eq_u32_e32 1, v7
; %bb.25:
	v_cndmask_b32_e64 v5, v6, 1, s3
	s_delay_alu instid0(VALU_DEP_3) | instskip(NEXT) | instid1(VALU_DEP_2)
	v_cmp_lt_i64_e32 vcc_lo, v[1:2], v[3:4]
	v_and_b32_e32 v6, 1, v5
	v_and_b32_e32 v5, 0xff, v5
	s_and_b32 vcc_lo, s3, vcc_lo
	s_and_not1_b32 s3, s3, exec_lo
	v_dual_cndmask_b32 v2, v4, v2 :: v_dual_cndmask_b32 v1, v3, v1
	v_cmp_eq_u32_e64 s2, 1, v6
	s_delay_alu instid0(VALU_DEP_1) | instskip(NEXT) | instid1(SALU_CYCLE_1)
	s_and_b32 s2, s2, exec_lo
	s_or_b32 s3, s3, s2
; %bb.26:
	s_or_b32 exec_lo, exec_lo, s4
	v_mov_b32_dpp v6, v5 quad_perm:[2,3,0,1] row_mask:0xf bank_mask:0xf
	v_mov_b32_dpp v3, v1 quad_perm:[2,3,0,1] row_mask:0xf bank_mask:0xf
	;; [unrolled: 1-line block ×3, first 2 shown]
	s_mov_b32 s4, exec_lo
	s_delay_alu instid0(VALU_DEP_3) | instskip(NEXT) | instid1(VALU_DEP_1)
	v_and_b32_e32 v7, 1, v6
	v_cmpx_eq_u32_e32 1, v7
; %bb.27:
	v_cndmask_b32_e64 v5, v6, 1, s3
	v_cmp_lt_i64_e32 vcc_lo, v[1:2], v[3:4]
	s_delay_alu instid0(VALU_DEP_2)
	v_and_b32_e32 v6, 1, v5
	v_and_b32_e32 v5, 0xff, v5
	s_and_b32 vcc_lo, s3, vcc_lo
	s_and_not1_b32 s3, s3, exec_lo
	v_dual_cndmask_b32 v2, v4, v2 :: v_dual_cndmask_b32 v1, v3, v1
	v_cmp_eq_u32_e64 s2, 1, v6
	s_delay_alu instid0(VALU_DEP_1) | instskip(NEXT) | instid1(SALU_CYCLE_1)
	s_and_b32 s2, s2, exec_lo
	s_or_b32 s3, s3, s2
; %bb.28:
	s_or_b32 exec_lo, exec_lo, s4
	v_mov_b32_dpp v6, v5 row_ror:4 row_mask:0xf bank_mask:0xf
	v_mov_b32_dpp v3, v1 row_ror:4 row_mask:0xf bank_mask:0xf
	;; [unrolled: 1-line block ×3, first 2 shown]
	s_mov_b32 s4, exec_lo
	s_delay_alu instid0(VALU_DEP_3) | instskip(NEXT) | instid1(VALU_DEP_1)
	v_and_b32_e32 v7, 1, v6
	v_cmpx_eq_u32_e32 1, v7
; %bb.29:
	v_cndmask_b32_e64 v5, v6, 1, s3
	v_cmp_lt_i64_e32 vcc_lo, v[1:2], v[3:4]
	s_delay_alu instid0(VALU_DEP_2)
	v_and_b32_e32 v6, 1, v5
	v_and_b32_e32 v5, 0xff, v5
	s_and_b32 vcc_lo, s3, vcc_lo
	s_and_not1_b32 s3, s3, exec_lo
	v_dual_cndmask_b32 v2, v4, v2 :: v_dual_cndmask_b32 v1, v3, v1
	v_cmp_eq_u32_e64 s2, 1, v6
	s_delay_alu instid0(VALU_DEP_1) | instskip(NEXT) | instid1(SALU_CYCLE_1)
	s_and_b32 s2, s2, exec_lo
	s_or_b32 s3, s3, s2
; %bb.30:
	s_or_b32 exec_lo, exec_lo, s4
	v_mov_b32_dpp v6, v5 row_ror:8 row_mask:0xf bank_mask:0xf
	v_mov_b32_dpp v3, v1 row_ror:8 row_mask:0xf bank_mask:0xf
	;; [unrolled: 1-line block ×3, first 2 shown]
	s_mov_b32 s4, exec_lo
	s_delay_alu instid0(VALU_DEP_3) | instskip(NEXT) | instid1(VALU_DEP_1)
	v_and_b32_e32 v7, 1, v6
	v_cmpx_eq_u32_e32 1, v7
; %bb.31:
	v_cndmask_b32_e64 v5, v6, 1, s3
	v_cmp_lt_i64_e32 vcc_lo, v[1:2], v[3:4]
	s_delay_alu instid0(VALU_DEP_2)
	v_and_b32_e32 v6, 1, v5
	v_and_b32_e32 v5, 0xff, v5
	s_and_b32 vcc_lo, s3, vcc_lo
	s_and_not1_b32 s3, s3, exec_lo
	v_dual_cndmask_b32 v2, v4, v2 :: v_dual_cndmask_b32 v1, v3, v1
	v_cmp_eq_u32_e64 s2, 1, v6
	s_delay_alu instid0(VALU_DEP_1) | instskip(NEXT) | instid1(SALU_CYCLE_1)
	s_and_b32 s2, s2, exec_lo
	s_or_b32 s3, s3, s2
; %bb.32:
	s_or_b32 exec_lo, exec_lo, s4
	ds_swizzle_b32 v6, v5 offset:swizzle(BROADCAST,32,15)
	ds_swizzle_b32 v3, v1 offset:swizzle(BROADCAST,32,15)
	ds_swizzle_b32 v4, v2 offset:swizzle(BROADCAST,32,15)
	s_mov_b32 s2, exec_lo
	s_waitcnt lgkmcnt(2)
	v_and_b32_e32 v7, 1, v6
	s_delay_alu instid0(VALU_DEP_1)
	v_cmpx_eq_u32_e32 1, v7
	s_cbranch_execz .LBB553_34
; %bb.33:
	s_waitcnt lgkmcnt(0)
	v_cmp_lt_i64_e32 vcc_lo, v[1:2], v[3:4]
	v_and_b32_e32 v5, 0xff, v6
	s_delay_alu instid0(VALU_DEP_1)
	v_cndmask_b32_e64 v5, v5, 1, s3
	s_and_b32 vcc_lo, s3, vcc_lo
	v_dual_cndmask_b32 v1, v3, v1 :: v_dual_cndmask_b32 v2, v4, v2
.LBB553_34:
	s_or_b32 exec_lo, exec_lo, s2
	s_waitcnt lgkmcnt(1)
	v_mov_b32_e32 v3, 0
	s_mov_b32 s2, exec_lo
	ds_bpermute_b32 v6, v3, v5 offset:124
	ds_bpermute_b32 v1, v3, v1 offset:124
	;; [unrolled: 1-line block ×3, first 2 shown]
	v_mbcnt_lo_u32_b32 v3, -1, 0
	s_delay_alu instid0(VALU_DEP_1)
	v_cmpx_eq_u32_e32 0, v3
	s_cbranch_execz .LBB553_36
; %bb.35:
	s_waitcnt lgkmcnt(3)
	v_lshrrev_b32_e32 v4, 1, v0
	s_delay_alu instid0(VALU_DEP_1)
	v_and_b32_e32 v4, 0x70, v4
	s_waitcnt lgkmcnt(2)
	ds_store_b8 v4, v6 offset:256
	s_waitcnt lgkmcnt(1)
	ds_store_b64 v4, v[1:2] offset:264
.LBB553_36:
	s_or_b32 exec_lo, exec_lo, s2
	s_delay_alu instid0(SALU_CYCLE_1)
	s_mov_b32 s4, exec_lo
	s_waitcnt lgkmcnt(0)
	s_barrier
	buffer_gl0_inv
	v_cmpx_gt_u32_e32 32, v0
	s_cbranch_execz .LBB553_38
; %bb.37:
	v_and_b32_e32 v6, 7, v3
	s_delay_alu instid0(VALU_DEP_1)
	v_lshlrev_b32_e32 v1, 4, v6
	v_cmp_ne_u32_e32 vcc_lo, 7, v6
	ds_load_u8 v7, v1 offset:256
	ds_load_b64 v[1:2], v1 offset:264
	v_add_co_ci_u32_e32 v4, vcc_lo, 0, v3, vcc_lo
	v_cmp_gt_u32_e32 vcc_lo, 6, v6
	s_delay_alu instid0(VALU_DEP_2)
	v_lshlrev_b32_e32 v5, 2, v4
	v_cndmask_b32_e64 v10, 0, 1, vcc_lo
	s_waitcnt lgkmcnt(1)
	v_and_b32_e32 v4, 0xff, v7
	v_and_b32_e32 v11, 1, v7
	ds_bpermute_b32 v8, v5, v4
	s_waitcnt lgkmcnt(1)
	ds_bpermute_b32 v4, v5, v1
	ds_bpermute_b32 v5, v5, v2
	v_cmp_eq_u32_e64 s3, 1, v11
	s_waitcnt lgkmcnt(2)
	v_and_b32_e32 v9, 1, v8
	s_waitcnt lgkmcnt(0)
	v_cmp_lt_i64_e64 s2, v[4:5], v[1:2]
	s_delay_alu instid0(VALU_DEP_2) | instskip(SKIP_2) | instid1(VALU_DEP_4)
	v_cmp_eq_u32_e32 vcc_lo, 1, v9
	v_lshlrev_b32_e32 v9, 1, v10
	v_cndmask_b32_e64 v7, v7, 1, vcc_lo
	s_and_b32 vcc_lo, vcc_lo, s2
	v_dual_cndmask_b32 v1, v1, v4 :: v_dual_cndmask_b32 v2, v2, v5
	s_delay_alu instid0(VALU_DEP_2) | instskip(SKIP_2) | instid1(VALU_DEP_4)
	v_cndmask_b32_e64 v7, v8, v7, s3
	v_add_lshl_u32 v8, v9, v3, 2
	v_cmp_gt_u32_e32 vcc_lo, 4, v6
	v_cndmask_b32_e64 v1, v4, v1, s3
	v_cndmask_b32_e64 v2, v5, v2, s3
	v_and_b32_e32 v9, 0xff, v7
	v_and_b32_e32 v10, 1, v7
	v_cndmask_b32_e64 v6, 0, 1, vcc_lo
	ds_bpermute_b32 v4, v8, v1
	ds_bpermute_b32 v5, v8, v2
	;; [unrolled: 1-line block ×3, first 2 shown]
	v_cmp_eq_u32_e64 s3, 1, v10
	s_waitcnt lgkmcnt(1)
	v_cmp_lt_i64_e64 s2, v[4:5], v[1:2]
	s_waitcnt lgkmcnt(0)
	v_and_b32_e32 v8, 1, v9
	s_delay_alu instid0(VALU_DEP_1) | instskip(SKIP_1) | instid1(VALU_DEP_4)
	v_cmp_eq_u32_e32 vcc_lo, 1, v8
	v_cndmask_b32_e64 v7, v7, 1, vcc_lo
	s_and_b32 vcc_lo, vcc_lo, s2
	v_dual_cndmask_b32 v1, v1, v4 :: v_dual_cndmask_b32 v2, v2, v5
	s_delay_alu instid0(VALU_DEP_2) | instskip(NEXT) | instid1(VALU_DEP_2)
	v_cndmask_b32_e64 v7, v9, v7, s3
	v_cndmask_b32_e64 v1, v4, v1, s3
	v_lshlrev_b32_e32 v6, 2, v6
	s_delay_alu instid0(VALU_DEP_4) | instskip(NEXT) | instid1(VALU_DEP_2)
	v_cndmask_b32_e64 v2, v5, v2, s3
	v_add_lshl_u32 v6, v6, v3, 2
	v_and_b32_e32 v3, 0xff, v7
	ds_bpermute_b32 v4, v6, v2
	ds_bpermute_b32 v5, v6, v3
	;; [unrolled: 1-line block ×3, first 2 shown]
	s_waitcnt lgkmcnt(1)
	v_and_b32_e32 v6, 1, v5
	s_waitcnt lgkmcnt(0)
	v_cmp_lt_i64_e32 vcc_lo, v[3:4], v[1:2]
	s_delay_alu instid0(VALU_DEP_2) | instskip(SKIP_1) | instid1(VALU_DEP_2)
	v_cmp_eq_u32_e64 s2, 1, v6
	v_and_b32_e32 v6, 1, v7
	v_cndmask_b32_e64 v7, v7, 1, s2
	s_and_b32 vcc_lo, s2, vcc_lo
	s_delay_alu instid0(VALU_DEP_2) | instskip(SKIP_1) | instid1(VALU_DEP_2)
	v_cmp_eq_u32_e64 s2, 1, v6
	v_dual_cndmask_b32 v1, v1, v3 :: v_dual_cndmask_b32 v2, v2, v4
	v_cndmask_b32_e64 v5, v5, v7, s2
	s_delay_alu instid0(VALU_DEP_2) | instskip(NEXT) | instid1(VALU_DEP_3)
	v_cndmask_b32_e64 v1, v3, v1, s2
	v_cndmask_b32_e64 v2, v4, v2, s2
	s_delay_alu instid0(VALU_DEP_3)
	v_and_b32_e32 v6, 0xff, v5
.LBB553_38:
	s_or_b32 exec_lo, exec_lo, s4
	s_branch .LBB553_124
.LBB553_39:
                                        ; implicit-def: $vgpr3_vgpr4
                                        ; implicit-def: $vgpr5
	s_branch .LBB553_200
.LBB553_40:
                                        ; implicit-def: $vgpr1_vgpr2
                                        ; implicit-def: $vgpr6
	s_cbranch_execz .LBB553_85
; %bb.41:
	v_mov_b32_e32 v9, 0
	v_dual_mov_b32 v10, 0 :: v_dual_mov_b32 v21, 0
	s_delay_alu instid0(VALU_DEP_2) | instskip(SKIP_2) | instid1(VALU_DEP_3)
	v_mov_b32_e32 v1, v9
	v_mov_b32_e32 v17, 0
	s_sub_i32 s29, s14, s6
	v_mov_b32_e32 v2, v10
	s_mov_b32 s2, exec_lo
	v_cmpx_gt_u32_e64 s29, v0
	s_cbranch_execz .LBB553_43
; %bb.42:
	v_lshlrev_b32_e32 v1, 2, v0
	s_clause 0x1
	global_load_b32 v3, v1, s[8:9]
	global_load_b32 v4, v1, s[22:23]
	v_add_co_u32 v1, s3, s26, v0
	s_delay_alu instid0(VALU_DEP_1)
	v_add_co_ci_u32_e64 v2, null, s28, 0, s3
	s_waitcnt vmcnt(0)
	v_cmp_ne_u32_e32 vcc_lo, v3, v4
	v_cndmask_b32_e64 v17, 0, 1, vcc_lo
.LBB553_43:
	s_or_b32 exec_lo, exec_lo, s2
	v_or_b32_e32 v3, 0x100, v0
	s_delay_alu instid0(VALU_DEP_1) | instskip(NEXT) | instid1(VALU_DEP_1)
	v_cmp_gt_u32_e64 s7, s29, v3
	s_and_saveexec_b32 s2, s7
	s_cbranch_execz .LBB553_45
; %bb.44:
	v_lshlrev_b32_e32 v4, 2, v0
	v_add_co_u32 v9, s3, s26, v3
	s_delay_alu instid0(VALU_DEP_1)
	v_add_co_ci_u32_e64 v10, null, s28, 0, s3
	s_clause 0x1
	global_load_b32 v5, v4, s[8:9] offset:1024
	global_load_b32 v4, v4, s[22:23] offset:1024
	s_waitcnt vmcnt(0)
	v_cmp_ne_u32_e32 vcc_lo, v5, v4
	v_cndmask_b32_e64 v21, 0, 1, vcc_lo
.LBB553_45:
	s_or_b32 exec_lo, exec_lo, s2
	v_dual_mov_b32 v7, 0 :: v_dual_mov_b32 v20, 0
	v_mov_b32_e32 v8, 0
	v_or_b32_e32 v3, 0x200, v0
	v_mov_b32_e32 v24, 0
	s_delay_alu instid0(VALU_DEP_3) | instskip(NEXT) | instid1(VALU_DEP_3)
	v_dual_mov_b32 v16, v8 :: v_dual_mov_b32 v15, v7
	v_cmp_gt_u32_e64 s6, s29, v3
	s_delay_alu instid0(VALU_DEP_1)
	s_and_saveexec_b32 s2, s6
	s_cbranch_execz .LBB553_47
; %bb.46:
	v_lshlrev_b32_e32 v4, 2, v0
	v_add_co_u32 v15, s3, s26, v3
	s_delay_alu instid0(VALU_DEP_1)
	v_add_co_ci_u32_e64 v16, null, s28, 0, s3
	s_clause 0x1
	global_load_b32 v5, v4, s[8:9] offset:2048
	global_load_b32 v4, v4, s[22:23] offset:2048
	s_waitcnt vmcnt(0)
	v_cmp_ne_u32_e32 vcc_lo, v5, v4
	v_cndmask_b32_e64 v24, 0, 1, vcc_lo
.LBB553_47:
	s_or_b32 exec_lo, exec_lo, s2
	v_or_b32_e32 v3, 0x300, v0
	s_delay_alu instid0(VALU_DEP_1) | instskip(NEXT) | instid1(VALU_DEP_1)
	v_cmp_gt_u32_e64 s5, s29, v3
	s_and_saveexec_b32 s2, s5
	s_cbranch_execz .LBB553_49
; %bb.48:
	v_lshlrev_b32_e32 v4, 2, v0
	v_add_co_u32 v7, s3, s26, v3
	s_delay_alu instid0(VALU_DEP_1)
	v_add_co_ci_u32_e64 v8, null, s28, 0, s3
	s_clause 0x1
	global_load_b32 v5, v4, s[8:9] offset:3072
	global_load_b32 v4, v4, s[22:23] offset:3072
	s_waitcnt vmcnt(0)
	v_cmp_ne_u32_e32 vcc_lo, v5, v4
	v_cndmask_b32_e64 v20, 0, 1, vcc_lo
.LBB553_49:
	s_or_b32 exec_lo, exec_lo, s2
	v_mov_b32_e32 v5, 0
	v_dual_mov_b32 v6, 0 :: v_dual_mov_b32 v19, 0
	v_or_b32_e32 v3, 0x400, v0
	s_delay_alu instid0(VALU_DEP_2) | instskip(NEXT) | instid1(VALU_DEP_4)
	v_dual_mov_b32 v23, 0 :: v_dual_mov_b32 v14, v6
	v_mov_b32_e32 v13, v5
	s_delay_alu instid0(VALU_DEP_3) | instskip(NEXT) | instid1(VALU_DEP_1)
	v_cmp_gt_u32_e64 s4, s29, v3
	s_and_saveexec_b32 s2, s4
	s_cbranch_execz .LBB553_51
; %bb.50:
	v_lshlrev_b32_e32 v4, 2, v3
	v_add_co_u32 v13, s3, s26, v3
	s_delay_alu instid0(VALU_DEP_1)
	v_add_co_ci_u32_e64 v14, null, s28, 0, s3
	s_clause 0x1
	global_load_b32 v11, v4, s[8:9]
	global_load_b32 v4, v4, s[22:23]
	s_waitcnt vmcnt(0)
	v_cmp_ne_u32_e32 vcc_lo, v11, v4
	v_cndmask_b32_e64 v23, 0, 1, vcc_lo
.LBB553_51:
	s_or_b32 exec_lo, exec_lo, s2
	v_or_b32_e32 v3, 0x500, v0
	s_delay_alu instid0(VALU_DEP_1) | instskip(NEXT) | instid1(VALU_DEP_1)
	v_cmp_gt_u32_e64 s3, s29, v3
	s_and_saveexec_b32 s2, s3
	s_cbranch_execz .LBB553_53
; %bb.52:
	v_lshlrev_b32_e32 v4, 2, v3
	v_add_co_u32 v5, s30, s26, v3
	s_delay_alu instid0(VALU_DEP_1)
	v_add_co_ci_u32_e64 v6, null, s28, 0, s30
	s_clause 0x1
	global_load_b32 v11, v4, s[8:9]
	global_load_b32 v4, v4, s[22:23]
	s_waitcnt vmcnt(0)
	v_cmp_ne_u32_e32 vcc_lo, v11, v4
	v_cndmask_b32_e64 v19, 0, 1, vcc_lo
.LBB553_53:
	s_or_b32 exec_lo, exec_lo, s2
	v_dual_mov_b32 v3, 0 :: v_dual_mov_b32 v18, 0
	v_mov_b32_e32 v4, 0
	v_or_b32_e32 v25, 0x600, v0
	v_mov_b32_e32 v22, 0
	s_delay_alu instid0(VALU_DEP_3) | instskip(NEXT) | instid1(VALU_DEP_3)
	v_dual_mov_b32 v12, v4 :: v_dual_mov_b32 v11, v3
	v_cmp_gt_u32_e64 s2, s29, v25
	s_delay_alu instid0(VALU_DEP_1)
	s_and_saveexec_b32 s30, s2
	s_cbranch_execz .LBB553_55
; %bb.54:
	v_lshlrev_b32_e32 v11, 2, v25
	s_clause 0x1
	global_load_b32 v22, v11, s[8:9]
	global_load_b32 v26, v11, s[22:23]
	v_add_co_u32 v11, s31, s26, v25
	s_delay_alu instid0(VALU_DEP_1)
	v_add_co_ci_u32_e64 v12, null, s28, 0, s31
	s_waitcnt vmcnt(0)
	v_cmp_ne_u32_e32 vcc_lo, v22, v26
	v_cndmask_b32_e64 v22, 0, 1, vcc_lo
.LBB553_55:
	s_or_b32 exec_lo, exec_lo, s30
	v_or_b32_e32 v25, 0x700, v0
	s_delay_alu instid0(VALU_DEP_1)
	v_cmp_gt_u32_e32 vcc_lo, s29, v25
	s_and_saveexec_b32 s30, vcc_lo
	s_cbranch_execnz .LBB553_232
; %bb.56:
	s_or_b32 exec_lo, exec_lo, s30
	s_and_saveexec_b32 s9, s7
	s_cbranch_execnz .LBB553_233
.LBB553_57:
	s_or_b32 exec_lo, exec_lo, s9
	s_and_saveexec_b32 s8, s6
	s_cbranch_execnz .LBB553_234
.LBB553_58:
	s_or_b32 exec_lo, exec_lo, s8
	s_and_saveexec_b32 s7, s5
	s_cbranch_execnz .LBB553_235
.LBB553_59:
	s_or_b32 exec_lo, exec_lo, s7
	s_and_saveexec_b32 s6, s4
	s_cbranch_execnz .LBB553_236
.LBB553_60:
	s_or_b32 exec_lo, exec_lo, s6
	s_and_saveexec_b32 s5, s3
	s_cbranch_execnz .LBB553_237
.LBB553_61:
	s_or_b32 exec_lo, exec_lo, s5
	s_and_saveexec_b32 s4, s2
	s_cbranch_execnz .LBB553_238
.LBB553_62:
	s_or_b32 exec_lo, exec_lo, s4
	s_and_saveexec_b32 s3, vcc_lo
.LBB553_63:
	v_and_b32_e32 v5, 1, v18
	v_cmp_lt_i64_e32 vcc_lo, v[3:4], v[1:2]
	s_delay_alu instid0(VALU_DEP_2) | instskip(NEXT) | instid1(VALU_DEP_1)
	v_cmp_eq_u32_e64 s2, 1, v5
	s_and_b32 vcc_lo, s2, vcc_lo
	v_cndmask_b32_e64 v6, v17, 1, s2
	v_dual_cndmask_b32 v2, v2, v4 :: v_dual_and_b32 v5, 1, v17
	v_cndmask_b32_e32 v1, v1, v3, vcc_lo
	s_delay_alu instid0(VALU_DEP_2) | instskip(NEXT) | instid1(VALU_DEP_3)
	v_cmp_eq_u32_e32 vcc_lo, 1, v5
	v_cndmask_b32_e32 v2, v4, v2, vcc_lo
	v_cndmask_b32_e32 v17, v18, v6, vcc_lo
	s_delay_alu instid0(VALU_DEP_4)
	v_cndmask_b32_e32 v1, v3, v1, vcc_lo
.LBB553_64:
	s_or_b32 exec_lo, exec_lo, s3
	v_mbcnt_lo_u32_b32 v5, -1, 0
	v_and_b32_e32 v7, 0xe0, v0
	s_min_u32 s3, s29, 0x100
	v_and_b32_e32 v6, 0xffff, v17
	s_delay_alu instid0(VALU_DEP_3) | instskip(NEXT) | instid1(VALU_DEP_3)
	v_cmp_ne_u32_e32 vcc_lo, 31, v5
	v_sub_nc_u32_e64 v8, s3, v7 clamp
	v_add_nc_u32_e32 v7, 1, v5
	v_add_co_ci_u32_e32 v3, vcc_lo, 0, v5, vcc_lo
	s_delay_alu instid0(VALU_DEP_2) | instskip(NEXT) | instid1(VALU_DEP_2)
	v_cmp_lt_u32_e32 vcc_lo, v7, v8
	v_dual_mov_b32 v7, v6 :: v_dual_lshlrev_b32 v4, 2, v3
	ds_bpermute_b32 v9, v4, v6
	ds_bpermute_b32 v3, v4, v1
	;; [unrolled: 1-line block ×3, first 2 shown]
	s_and_saveexec_b32 s2, vcc_lo
	s_delay_alu instid0(SALU_CYCLE_1)
	s_xor_b32 s4, exec_lo, s2
	s_cbranch_execz .LBB553_66
; %bb.65:
	s_waitcnt lgkmcnt(2)
	v_and_b32_e32 v7, 1, v9
	s_waitcnt lgkmcnt(0)
	v_cmp_lt_i64_e32 vcc_lo, v[3:4], v[1:2]
	s_delay_alu instid0(VALU_DEP_2) | instskip(SKIP_1) | instid1(VALU_DEP_2)
	v_cmp_eq_u32_e64 s2, 1, v7
	v_and_b32_e32 v7, 1, v17
	v_cndmask_b32_e64 v6, v6, 1, s2
	s_and_b32 vcc_lo, s2, vcc_lo
	s_delay_alu instid0(VALU_DEP_2) | instskip(SKIP_1) | instid1(VALU_DEP_2)
	v_cmp_eq_u32_e64 s2, 1, v7
	v_dual_cndmask_b32 v2, v2, v4 :: v_dual_cndmask_b32 v1, v1, v3
	v_cndmask_b32_e64 v7, v9, v6, s2
	s_delay_alu instid0(VALU_DEP_2) | instskip(NEXT) | instid1(VALU_DEP_3)
	v_cndmask_b32_e64 v2, v4, v2, s2
	v_cndmask_b32_e64 v1, v3, v1, s2
	s_delay_alu instid0(VALU_DEP_3)
	v_and_b32_e32 v6, 0xff, v7
.LBB553_66:
	s_or_b32 exec_lo, exec_lo, s4
	v_cmp_gt_u32_e32 vcc_lo, 30, v5
	v_add_nc_u32_e32 v10, 2, v5
	s_mov_b32 s4, exec_lo
	s_waitcnt lgkmcnt(1)
	v_cndmask_b32_e64 v3, 0, 1, vcc_lo
	s_delay_alu instid0(VALU_DEP_1) | instskip(SKIP_1) | instid1(VALU_DEP_1)
	v_lshlrev_b32_e32 v3, 1, v3
	s_waitcnt lgkmcnt(0)
	v_add_lshl_u32 v4, v3, v5, 2
	ds_bpermute_b32 v9, v4, v6
	ds_bpermute_b32 v3, v4, v1
	ds_bpermute_b32 v4, v4, v2
	v_cmpx_lt_u32_e64 v10, v8
	s_cbranch_execz .LBB553_68
; %bb.67:
	s_waitcnt lgkmcnt(2)
	v_and_b32_e32 v6, 1, v9
	s_waitcnt lgkmcnt(0)
	v_cmp_lt_i64_e32 vcc_lo, v[3:4], v[1:2]
	s_delay_alu instid0(VALU_DEP_2) | instskip(SKIP_1) | instid1(VALU_DEP_2)
	v_cmp_eq_u32_e64 s2, 1, v6
	v_and_b32_e32 v6, 1, v7
	v_cndmask_b32_e64 v7, v7, 1, s2
	s_and_b32 vcc_lo, s2, vcc_lo
	s_delay_alu instid0(VALU_DEP_2) | instskip(SKIP_1) | instid1(VALU_DEP_2)
	v_cmp_eq_u32_e64 s2, 1, v6
	v_dual_cndmask_b32 v1, v1, v3 :: v_dual_cndmask_b32 v2, v2, v4
	v_cndmask_b32_e64 v7, v9, v7, s2
	s_delay_alu instid0(VALU_DEP_2) | instskip(NEXT) | instid1(VALU_DEP_3)
	v_cndmask_b32_e64 v1, v3, v1, s2
	v_cndmask_b32_e64 v2, v4, v2, s2
	s_delay_alu instid0(VALU_DEP_3)
	v_and_b32_e32 v6, 0xff, v7
.LBB553_68:
	s_or_b32 exec_lo, exec_lo, s4
	v_cmp_gt_u32_e32 vcc_lo, 28, v5
	v_add_nc_u32_e32 v10, 4, v5
	s_mov_b32 s4, exec_lo
	s_waitcnt lgkmcnt(1)
	v_cndmask_b32_e64 v3, 0, 1, vcc_lo
	s_delay_alu instid0(VALU_DEP_1) | instskip(SKIP_1) | instid1(VALU_DEP_1)
	v_lshlrev_b32_e32 v3, 2, v3
	s_waitcnt lgkmcnt(0)
	v_add_lshl_u32 v4, v3, v5, 2
	ds_bpermute_b32 v9, v4, v6
	ds_bpermute_b32 v3, v4, v1
	ds_bpermute_b32 v4, v4, v2
	v_cmpx_lt_u32_e64 v10, v8
	;; [unrolled: 35-line block ×4, first 2 shown]
	s_cbranch_execz .LBB553_74
; %bb.73:
	s_waitcnt lgkmcnt(2)
	v_and_b32_e32 v6, 1, v9
	s_waitcnt lgkmcnt(0)
	v_cmp_lt_i64_e32 vcc_lo, v[3:4], v[1:2]
	s_delay_alu instid0(VALU_DEP_2) | instskip(SKIP_1) | instid1(VALU_DEP_2)
	v_cmp_eq_u32_e64 s2, 1, v6
	v_and_b32_e32 v6, 1, v7
	v_cndmask_b32_e64 v7, v7, 1, s2
	s_and_b32 vcc_lo, s2, vcc_lo
	s_delay_alu instid0(VALU_DEP_2) | instskip(SKIP_1) | instid1(VALU_DEP_2)
	v_cmp_eq_u32_e64 s2, 1, v6
	v_dual_cndmask_b32 v1, v1, v3 :: v_dual_cndmask_b32 v2, v2, v4
	v_cndmask_b32_e64 v7, v9, v7, s2
	s_delay_alu instid0(VALU_DEP_2) | instskip(NEXT) | instid1(VALU_DEP_3)
	v_cndmask_b32_e64 v1, v3, v1, s2
	v_cndmask_b32_e64 v2, v4, v2, s2
	s_delay_alu instid0(VALU_DEP_3)
	v_and_b32_e32 v6, 0xff, v7
.LBB553_74:
	s_or_b32 exec_lo, exec_lo, s4
	s_delay_alu instid0(SALU_CYCLE_1)
	s_mov_b32 s2, exec_lo
	v_cmpx_eq_u32_e32 0, v5
	s_cbranch_execz .LBB553_76
; %bb.75:
	s_waitcnt lgkmcnt(1)
	v_lshrrev_b32_e32 v3, 1, v0
	s_delay_alu instid0(VALU_DEP_1)
	v_and_b32_e32 v3, 0x70, v3
	ds_store_b8 v3, v7 offset:512
	ds_store_b64 v3, v[1:2] offset:520
.LBB553_76:
	s_or_b32 exec_lo, exec_lo, s2
	s_delay_alu instid0(SALU_CYCLE_1)
	s_mov_b32 s4, exec_lo
	s_waitcnt lgkmcnt(0)
	s_barrier
	buffer_gl0_inv
	v_cmpx_gt_u32_e32 8, v0
	s_cbranch_execz .LBB553_84
; %bb.77:
	v_lshlrev_b32_e32 v1, 4, v5
	v_and_b32_e32 v8, 7, v5
	s_add_i32 s3, s3, 31
	s_mov_b32 s5, exec_lo
	s_lshr_b32 s3, s3, 5
	ds_load_u8 v7, v1 offset:512
	ds_load_b64 v[1:2], v1 offset:520
	v_cmp_ne_u32_e32 vcc_lo, 7, v8
	v_add_nc_u32_e32 v10, 1, v8
	v_add_co_ci_u32_e32 v3, vcc_lo, 0, v5, vcc_lo
	s_delay_alu instid0(VALU_DEP_1)
	v_lshlrev_b32_e32 v4, 2, v3
	s_waitcnt lgkmcnt(1)
	v_and_b32_e32 v6, 0xff, v7
	s_waitcnt lgkmcnt(0)
	ds_bpermute_b32 v3, v4, v1
	ds_bpermute_b32 v9, v4, v6
	;; [unrolled: 1-line block ×3, first 2 shown]
	v_cmpx_gt_u32_e64 s3, v10
	s_cbranch_execz .LBB553_79
; %bb.78:
	s_waitcnt lgkmcnt(1)
	v_and_b32_e32 v6, 1, v9
	s_waitcnt lgkmcnt(0)
	v_cmp_lt_i64_e32 vcc_lo, v[3:4], v[1:2]
	s_delay_alu instid0(VALU_DEP_2) | instskip(SKIP_1) | instid1(VALU_DEP_2)
	v_cmp_eq_u32_e64 s2, 1, v6
	v_and_b32_e32 v6, 1, v7
	v_cndmask_b32_e64 v7, v7, 1, s2
	s_and_b32 vcc_lo, s2, vcc_lo
	s_delay_alu instid0(VALU_DEP_2) | instskip(SKIP_1) | instid1(VALU_DEP_2)
	v_cmp_eq_u32_e64 s2, 1, v6
	v_dual_cndmask_b32 v1, v1, v3 :: v_dual_cndmask_b32 v2, v2, v4
	v_cndmask_b32_e64 v7, v9, v7, s2
	s_delay_alu instid0(VALU_DEP_2) | instskip(NEXT) | instid1(VALU_DEP_3)
	v_cndmask_b32_e64 v1, v3, v1, s2
	v_cndmask_b32_e64 v2, v4, v2, s2
	s_delay_alu instid0(VALU_DEP_3)
	v_and_b32_e32 v6, 0xff, v7
.LBB553_79:
	s_or_b32 exec_lo, exec_lo, s5
	v_cmp_gt_u32_e32 vcc_lo, 6, v8
	v_add_nc_u32_e32 v10, 2, v8
	s_mov_b32 s5, exec_lo
	s_waitcnt lgkmcnt(2)
	v_cndmask_b32_e64 v3, 0, 1, vcc_lo
	s_delay_alu instid0(VALU_DEP_1) | instskip(SKIP_1) | instid1(VALU_DEP_1)
	v_lshlrev_b32_e32 v3, 1, v3
	s_waitcnt lgkmcnt(0)
	v_add_lshl_u32 v4, v3, v5, 2
	ds_bpermute_b32 v9, v4, v6
	ds_bpermute_b32 v3, v4, v1
	;; [unrolled: 1-line block ×3, first 2 shown]
	v_cmpx_gt_u32_e64 s3, v10
	s_cbranch_execz .LBB553_81
; %bb.80:
	s_waitcnt lgkmcnt(2)
	v_and_b32_e32 v6, 1, v9
	s_waitcnt lgkmcnt(0)
	v_cmp_lt_i64_e32 vcc_lo, v[3:4], v[1:2]
	s_delay_alu instid0(VALU_DEP_2) | instskip(SKIP_1) | instid1(VALU_DEP_2)
	v_cmp_eq_u32_e64 s2, 1, v6
	v_and_b32_e32 v6, 1, v7
	v_cndmask_b32_e64 v7, v7, 1, s2
	s_and_b32 vcc_lo, s2, vcc_lo
	s_delay_alu instid0(VALU_DEP_2) | instskip(SKIP_1) | instid1(VALU_DEP_2)
	v_cmp_eq_u32_e64 s2, 1, v6
	v_dual_cndmask_b32 v1, v1, v3 :: v_dual_cndmask_b32 v2, v2, v4
	v_cndmask_b32_e64 v7, v9, v7, s2
	s_delay_alu instid0(VALU_DEP_2) | instskip(NEXT) | instid1(VALU_DEP_3)
	v_cndmask_b32_e64 v1, v3, v1, s2
	v_cndmask_b32_e64 v2, v4, v2, s2
	s_delay_alu instid0(VALU_DEP_3)
	v_and_b32_e32 v6, 0xff, v7
.LBB553_81:
	s_or_b32 exec_lo, exec_lo, s5
	v_cmp_gt_u32_e32 vcc_lo, 4, v8
	v_add_nc_u32_e32 v8, 4, v8
	s_waitcnt lgkmcnt(1)
	v_cndmask_b32_e64 v3, 0, 1, vcc_lo
	s_delay_alu instid0(VALU_DEP_2) | instskip(NEXT) | instid1(VALU_DEP_2)
	v_cmp_gt_u32_e32 vcc_lo, s3, v8
	v_lshlrev_b32_e32 v3, 2, v3
	s_waitcnt lgkmcnt(0)
	s_delay_alu instid0(VALU_DEP_1)
	v_add_lshl_u32 v4, v3, v5, 2
	ds_bpermute_b32 v5, v4, v6
	ds_bpermute_b32 v3, v4, v1
	;; [unrolled: 1-line block ×3, first 2 shown]
	s_and_saveexec_b32 s3, vcc_lo
	s_cbranch_execz .LBB553_83
; %bb.82:
	s_waitcnt lgkmcnt(2)
	v_and_b32_e32 v6, 1, v5
	s_waitcnt lgkmcnt(0)
	v_cmp_lt_i64_e32 vcc_lo, v[3:4], v[1:2]
	s_delay_alu instid0(VALU_DEP_2) | instskip(SKIP_1) | instid1(VALU_DEP_2)
	v_cmp_eq_u32_e64 s2, 1, v6
	v_and_b32_e32 v6, 1, v7
	v_cndmask_b32_e64 v7, v7, 1, s2
	s_and_b32 vcc_lo, s2, vcc_lo
	s_delay_alu instid0(VALU_DEP_2) | instskip(SKIP_1) | instid1(VALU_DEP_2)
	v_cmp_eq_u32_e64 s2, 1, v6
	v_dual_cndmask_b32 v1, v1, v3 :: v_dual_cndmask_b32 v2, v2, v4
	v_cndmask_b32_e64 v5, v5, v7, s2
	s_delay_alu instid0(VALU_DEP_2) | instskip(NEXT) | instid1(VALU_DEP_3)
	v_cndmask_b32_e64 v1, v3, v1, s2
	v_cndmask_b32_e64 v2, v4, v2, s2
	s_delay_alu instid0(VALU_DEP_3)
	v_and_b32_e32 v6, 0xff, v5
.LBB553_83:
	s_or_b32 exec_lo, exec_lo, s3
.LBB553_84:
	s_delay_alu instid0(SALU_CYCLE_1)
	s_or_b32 exec_lo, exec_lo, s4
.LBB553_85:
	s_mov_b32 s26, 0
                                        ; implicit-def: $vgpr3_vgpr4
                                        ; implicit-def: $vgpr5
	s_mov_b32 s2, exec_lo
	v_cmpx_eq_u32_e32 0, v0
	s_xor_b32 s4, exec_lo, s2
	s_cbranch_execz .LBB553_89
; %bb.86:
	s_waitcnt lgkmcnt(0)
	v_dual_mov_b32 v3, s20 :: v_dual_mov_b32 v4, s21
	v_mov_b32_e32 v5, s24
	s_cmp_eq_u64 s[14:15], 0
	s_cbranch_scc1 .LBB553_88
; %bb.87:
	v_and_b32_e32 v3, 1, v6
	v_cmp_gt_i64_e32 vcc_lo, s[20:21], v[1:2]
	s_bitcmp1_b32 s24, 0
	s_cselect_b32 s3, -1, 0
	s_delay_alu instid0(VALU_DEP_2) | instskip(NEXT) | instid1(VALU_DEP_1)
	v_cmp_eq_u32_e64 s2, 1, v3
	s_and_b32 vcc_lo, s2, vcc_lo
	v_cndmask_b32_e64 v3, s24, 1, s2
	v_cndmask_b32_e32 v7, s20, v1, vcc_lo
	v_cndmask_b32_e32 v4, s21, v2, vcc_lo
	s_delay_alu instid0(VALU_DEP_3) | instskip(NEXT) | instid1(VALU_DEP_3)
	v_cndmask_b32_e64 v5, v6, v3, s3
	v_cndmask_b32_e64 v3, v1, v7, s3
	s_delay_alu instid0(VALU_DEP_3)
	v_cndmask_b32_e64 v4, v2, v4, s3
.LBB553_88:
	s_mov_b32 s26, exec_lo
.LBB553_89:
	s_or_b32 exec_lo, exec_lo, s4
	s_delay_alu instid0(SALU_CYCLE_1)
	s_and_b32 vcc_lo, exec_lo, s27
	s_cbranch_vccnz .LBB553_22
.LBB553_90:
	s_branch .LBB553_200
.LBB553_91:
                                        ; implicit-def: $vgpr1_vgpr2
                                        ; implicit-def: $vgpr6
	s_cbranch_execz .LBB553_124
; %bb.92:
	s_waitcnt lgkmcnt(2)
	v_mov_b32_e32 v5, 0
	v_dual_mov_b32 v6, 0 :: v_dual_mov_b32 v11, 0
	s_delay_alu instid0(VALU_DEP_2) | instskip(SKIP_2) | instid1(VALU_DEP_3)
	v_mov_b32_e32 v1, v5
	v_mov_b32_e32 v9, 0
	s_sub_i32 s22, s14, s22
	v_mov_b32_e32 v2, v6
	s_mov_b32 s2, exec_lo
	v_cmpx_gt_u32_e64 s22, v0
	s_cbranch_execz .LBB553_94
; %bb.93:
	v_lshlrev_b32_e32 v1, 2, v0
	s_waitcnt lgkmcnt(1)
	global_load_b32 v3, v1, s[6:7]
	s_waitcnt lgkmcnt(0)
	global_load_b32 v4, v1, s[8:9]
	v_add_co_u32 v1, s3, s5, v0
	s_delay_alu instid0(VALU_DEP_1)
	v_add_co_ci_u32_e64 v2, null, s23, 0, s3
	s_waitcnt vmcnt(0)
	v_cmp_ne_u32_e32 vcc_lo, v3, v4
	v_cndmask_b32_e64 v9, 0, 1, vcc_lo
.LBB553_94:
	s_or_b32 exec_lo, exec_lo, s2
	s_waitcnt lgkmcnt(1)
	v_or_b32_e32 v3, 0x100, v0
	s_delay_alu instid0(VALU_DEP_1) | instskip(NEXT) | instid1(VALU_DEP_1)
	v_cmp_gt_u32_e64 s3, s22, v3
	s_and_saveexec_b32 s2, s3
	s_cbranch_execz .LBB553_96
; %bb.95:
	s_waitcnt lgkmcnt(0)
	v_lshlrev_b32_e32 v4, 2, v0
	v_add_co_u32 v5, s4, s5, v3
	s_delay_alu instid0(VALU_DEP_1)
	v_add_co_ci_u32_e64 v6, null, s23, 0, s4
	s_clause 0x1
	global_load_b32 v7, v4, s[6:7] offset:1024
	global_load_b32 v4, v4, s[8:9] offset:1024
	s_waitcnt vmcnt(0)
	v_cmp_ne_u32_e32 vcc_lo, v7, v4
	v_cndmask_b32_e64 v11, 0, 1, vcc_lo
.LBB553_96:
	s_or_b32 exec_lo, exec_lo, s2
	s_waitcnt lgkmcnt(0)
	v_dual_mov_b32 v3, 0 :: v_dual_mov_b32 v10, 0
	v_mov_b32_e32 v4, 0
	v_or_b32_e32 v13, 0x200, v0
	v_mov_b32_e32 v12, 0
	s_delay_alu instid0(VALU_DEP_3) | instskip(NEXT) | instid1(VALU_DEP_3)
	v_dual_mov_b32 v8, v4 :: v_dual_mov_b32 v7, v3
	v_cmp_gt_u32_e64 s2, s22, v13
	s_delay_alu instid0(VALU_DEP_1)
	s_and_saveexec_b32 s4, s2
	s_cbranch_execz .LBB553_98
; %bb.97:
	v_lshlrev_b32_e32 v7, 2, v0
	s_clause 0x1
	global_load_b32 v12, v7, s[6:7] offset:2048
	global_load_b32 v14, v7, s[8:9] offset:2048
	v_add_co_u32 v7, s27, s5, v13
	s_delay_alu instid0(VALU_DEP_1)
	v_add_co_ci_u32_e64 v8, null, s23, 0, s27
	s_waitcnt vmcnt(0)
	v_cmp_ne_u32_e32 vcc_lo, v12, v14
	v_cndmask_b32_e64 v12, 0, 1, vcc_lo
.LBB553_98:
	s_or_b32 exec_lo, exec_lo, s4
	v_or_b32_e32 v13, 0x300, v0
	s_delay_alu instid0(VALU_DEP_1)
	v_cmp_gt_u32_e32 vcc_lo, s22, v13
	s_and_saveexec_b32 s27, vcc_lo
	s_cbranch_execnz .LBB553_239
; %bb.99:
	s_or_b32 exec_lo, exec_lo, s27
	s_and_saveexec_b32 s5, s3
	s_cbranch_execnz .LBB553_240
.LBB553_100:
	s_or_b32 exec_lo, exec_lo, s5
	s_and_saveexec_b32 s4, s2
	s_cbranch_execnz .LBB553_241
.LBB553_101:
	s_or_b32 exec_lo, exec_lo, s4
	s_and_saveexec_b32 s3, vcc_lo
.LBB553_102:
	v_and_b32_e32 v5, 1, v10
	v_cmp_lt_i64_e32 vcc_lo, v[3:4], v[1:2]
	s_delay_alu instid0(VALU_DEP_2) | instskip(NEXT) | instid1(VALU_DEP_1)
	v_cmp_eq_u32_e64 s2, 1, v5
	s_and_b32 vcc_lo, s2, vcc_lo
	v_cndmask_b32_e64 v6, v9, 1, s2
	v_dual_cndmask_b32 v2, v2, v4 :: v_dual_and_b32 v5, 1, v9
	v_cndmask_b32_e32 v1, v1, v3, vcc_lo
	s_delay_alu instid0(VALU_DEP_2) | instskip(NEXT) | instid1(VALU_DEP_3)
	v_cmp_eq_u32_e32 vcc_lo, 1, v5
	v_cndmask_b32_e32 v2, v4, v2, vcc_lo
	v_cndmask_b32_e32 v9, v10, v6, vcc_lo
	s_delay_alu instid0(VALU_DEP_4)
	v_cndmask_b32_e32 v1, v3, v1, vcc_lo
.LBB553_103:
	s_or_b32 exec_lo, exec_lo, s3
	v_mbcnt_lo_u32_b32 v5, -1, 0
	v_and_b32_e32 v7, 0xe0, v0
	s_min_u32 s3, s22, 0x100
	v_and_b32_e32 v6, 0xffff, v9
	s_delay_alu instid0(VALU_DEP_3) | instskip(NEXT) | instid1(VALU_DEP_3)
	v_cmp_ne_u32_e32 vcc_lo, 31, v5
	v_sub_nc_u32_e64 v8, s3, v7 clamp
	v_add_nc_u32_e32 v7, 1, v5
	v_add_co_ci_u32_e32 v3, vcc_lo, 0, v5, vcc_lo
	s_delay_alu instid0(VALU_DEP_2) | instskip(NEXT) | instid1(VALU_DEP_2)
	v_cmp_lt_u32_e32 vcc_lo, v7, v8
	v_dual_mov_b32 v7, v6 :: v_dual_lshlrev_b32 v4, 2, v3
	ds_bpermute_b32 v10, v4, v6
	ds_bpermute_b32 v3, v4, v1
	;; [unrolled: 1-line block ×3, first 2 shown]
	s_and_saveexec_b32 s2, vcc_lo
	s_delay_alu instid0(SALU_CYCLE_1)
	s_xor_b32 s4, exec_lo, s2
	s_cbranch_execz .LBB553_105
; %bb.104:
	s_waitcnt lgkmcnt(2)
	v_and_b32_e32 v7, 1, v10
	s_waitcnt lgkmcnt(0)
	v_cmp_lt_i64_e32 vcc_lo, v[3:4], v[1:2]
	s_delay_alu instid0(VALU_DEP_2) | instskip(SKIP_1) | instid1(VALU_DEP_2)
	v_cmp_eq_u32_e64 s2, 1, v7
	v_and_b32_e32 v7, 1, v9
	v_cndmask_b32_e64 v6, v6, 1, s2
	s_and_b32 vcc_lo, s2, vcc_lo
	s_delay_alu instid0(VALU_DEP_2) | instskip(SKIP_1) | instid1(VALU_DEP_2)
	v_cmp_eq_u32_e64 s2, 1, v7
	v_dual_cndmask_b32 v2, v2, v4 :: v_dual_cndmask_b32 v1, v1, v3
	v_cndmask_b32_e64 v7, v10, v6, s2
	s_delay_alu instid0(VALU_DEP_2) | instskip(NEXT) | instid1(VALU_DEP_3)
	v_cndmask_b32_e64 v2, v4, v2, s2
	v_cndmask_b32_e64 v1, v3, v1, s2
	s_delay_alu instid0(VALU_DEP_3)
	v_and_b32_e32 v6, 0xff, v7
.LBB553_105:
	s_or_b32 exec_lo, exec_lo, s4
	v_cmp_gt_u32_e32 vcc_lo, 30, v5
	s_waitcnt lgkmcnt(2)
	v_add_nc_u32_e32 v10, 2, v5
	s_mov_b32 s4, exec_lo
	s_waitcnt lgkmcnt(1)
	v_cndmask_b32_e64 v3, 0, 1, vcc_lo
	s_delay_alu instid0(VALU_DEP_1) | instskip(SKIP_1) | instid1(VALU_DEP_1)
	v_lshlrev_b32_e32 v3, 1, v3
	s_waitcnt lgkmcnt(0)
	v_add_lshl_u32 v4, v3, v5, 2
	ds_bpermute_b32 v9, v4, v6
	ds_bpermute_b32 v3, v4, v1
	ds_bpermute_b32 v4, v4, v2
	v_cmpx_lt_u32_e64 v10, v8
	s_cbranch_execz .LBB553_107
; %bb.106:
	s_waitcnt lgkmcnt(2)
	v_and_b32_e32 v6, 1, v9
	s_waitcnt lgkmcnt(0)
	v_cmp_lt_i64_e32 vcc_lo, v[3:4], v[1:2]
	s_delay_alu instid0(VALU_DEP_2) | instskip(SKIP_1) | instid1(VALU_DEP_2)
	v_cmp_eq_u32_e64 s2, 1, v6
	v_and_b32_e32 v6, 1, v7
	v_cndmask_b32_e64 v7, v7, 1, s2
	s_and_b32 vcc_lo, s2, vcc_lo
	s_delay_alu instid0(VALU_DEP_2) | instskip(SKIP_1) | instid1(VALU_DEP_2)
	v_cmp_eq_u32_e64 s2, 1, v6
	v_dual_cndmask_b32 v1, v1, v3 :: v_dual_cndmask_b32 v2, v2, v4
	v_cndmask_b32_e64 v7, v9, v7, s2
	s_delay_alu instid0(VALU_DEP_2) | instskip(NEXT) | instid1(VALU_DEP_3)
	v_cndmask_b32_e64 v1, v3, v1, s2
	v_cndmask_b32_e64 v2, v4, v2, s2
	s_delay_alu instid0(VALU_DEP_3)
	v_and_b32_e32 v6, 0xff, v7
.LBB553_107:
	s_or_b32 exec_lo, exec_lo, s4
	v_cmp_gt_u32_e32 vcc_lo, 28, v5
	v_add_nc_u32_e32 v10, 4, v5
	s_mov_b32 s4, exec_lo
	s_waitcnt lgkmcnt(1)
	v_cndmask_b32_e64 v3, 0, 1, vcc_lo
	s_delay_alu instid0(VALU_DEP_1) | instskip(SKIP_1) | instid1(VALU_DEP_1)
	v_lshlrev_b32_e32 v3, 2, v3
	s_waitcnt lgkmcnt(0)
	v_add_lshl_u32 v4, v3, v5, 2
	ds_bpermute_b32 v9, v4, v6
	ds_bpermute_b32 v3, v4, v1
	ds_bpermute_b32 v4, v4, v2
	v_cmpx_lt_u32_e64 v10, v8
	s_cbranch_execz .LBB553_109
; %bb.108:
	s_waitcnt lgkmcnt(2)
	v_and_b32_e32 v6, 1, v9
	s_waitcnt lgkmcnt(0)
	v_cmp_lt_i64_e32 vcc_lo, v[3:4], v[1:2]
	s_delay_alu instid0(VALU_DEP_2) | instskip(SKIP_1) | instid1(VALU_DEP_2)
	v_cmp_eq_u32_e64 s2, 1, v6
	v_and_b32_e32 v6, 1, v7
	v_cndmask_b32_e64 v7, v7, 1, s2
	s_and_b32 vcc_lo, s2, vcc_lo
	s_delay_alu instid0(VALU_DEP_2) | instskip(SKIP_1) | instid1(VALU_DEP_2)
	v_cmp_eq_u32_e64 s2, 1, v6
	v_dual_cndmask_b32 v1, v1, v3 :: v_dual_cndmask_b32 v2, v2, v4
	v_cndmask_b32_e64 v7, v9, v7, s2
	s_delay_alu instid0(VALU_DEP_2) | instskip(NEXT) | instid1(VALU_DEP_3)
	v_cndmask_b32_e64 v1, v3, v1, s2
	v_cndmask_b32_e64 v2, v4, v2, s2
	s_delay_alu instid0(VALU_DEP_3)
	v_and_b32_e32 v6, 0xff, v7
.LBB553_109:
	s_or_b32 exec_lo, exec_lo, s4
	v_cmp_gt_u32_e32 vcc_lo, 24, v5
	;; [unrolled: 35-line block ×3, first 2 shown]
	v_add_nc_u32_e32 v10, 16, v5
	s_mov_b32 s4, exec_lo
	s_waitcnt lgkmcnt(1)
	v_cndmask_b32_e64 v3, 0, 1, vcc_lo
	s_delay_alu instid0(VALU_DEP_1) | instskip(SKIP_1) | instid1(VALU_DEP_1)
	v_lshlrev_b32_e32 v3, 4, v3
	s_waitcnt lgkmcnt(0)
	v_add_lshl_u32 v4, v3, v5, 2
	ds_bpermute_b32 v9, v4, v6
	ds_bpermute_b32 v3, v4, v1
	;; [unrolled: 1-line block ×3, first 2 shown]
	v_cmpx_lt_u32_e64 v10, v8
	s_cbranch_execz .LBB553_113
; %bb.112:
	s_waitcnt lgkmcnt(2)
	v_and_b32_e32 v6, 1, v9
	s_waitcnt lgkmcnt(0)
	v_cmp_lt_i64_e32 vcc_lo, v[3:4], v[1:2]
	s_delay_alu instid0(VALU_DEP_2) | instskip(SKIP_1) | instid1(VALU_DEP_2)
	v_cmp_eq_u32_e64 s2, 1, v6
	v_and_b32_e32 v6, 1, v7
	v_cndmask_b32_e64 v7, v7, 1, s2
	s_and_b32 vcc_lo, s2, vcc_lo
	s_delay_alu instid0(VALU_DEP_2) | instskip(SKIP_1) | instid1(VALU_DEP_2)
	v_cmp_eq_u32_e64 s2, 1, v6
	v_dual_cndmask_b32 v1, v1, v3 :: v_dual_cndmask_b32 v2, v2, v4
	v_cndmask_b32_e64 v7, v9, v7, s2
	s_delay_alu instid0(VALU_DEP_2) | instskip(NEXT) | instid1(VALU_DEP_3)
	v_cndmask_b32_e64 v1, v3, v1, s2
	v_cndmask_b32_e64 v2, v4, v2, s2
	s_delay_alu instid0(VALU_DEP_3)
	v_and_b32_e32 v6, 0xff, v7
.LBB553_113:
	s_or_b32 exec_lo, exec_lo, s4
	s_delay_alu instid0(SALU_CYCLE_1)
	s_mov_b32 s2, exec_lo
	v_cmpx_eq_u32_e32 0, v5
	s_cbranch_execz .LBB553_115
; %bb.114:
	s_waitcnt lgkmcnt(1)
	v_lshrrev_b32_e32 v3, 1, v0
	s_delay_alu instid0(VALU_DEP_1)
	v_and_b32_e32 v3, 0x70, v3
	ds_store_b8 v3, v7 offset:512
	ds_store_b64 v3, v[1:2] offset:520
.LBB553_115:
	s_or_b32 exec_lo, exec_lo, s2
	s_delay_alu instid0(SALU_CYCLE_1)
	s_mov_b32 s4, exec_lo
	s_waitcnt lgkmcnt(0)
	s_barrier
	buffer_gl0_inv
	v_cmpx_gt_u32_e32 8, v0
	s_cbranch_execz .LBB553_123
; %bb.116:
	v_lshlrev_b32_e32 v1, 4, v5
	v_and_b32_e32 v8, 7, v5
	s_add_i32 s3, s3, 31
	s_mov_b32 s5, exec_lo
	s_lshr_b32 s3, s3, 5
	ds_load_u8 v7, v1 offset:512
	ds_load_b64 v[1:2], v1 offset:520
	v_cmp_ne_u32_e32 vcc_lo, 7, v8
	v_add_nc_u32_e32 v10, 1, v8
	v_add_co_ci_u32_e32 v3, vcc_lo, 0, v5, vcc_lo
	s_delay_alu instid0(VALU_DEP_1)
	v_lshlrev_b32_e32 v4, 2, v3
	s_waitcnt lgkmcnt(1)
	v_and_b32_e32 v6, 0xff, v7
	s_waitcnt lgkmcnt(0)
	ds_bpermute_b32 v3, v4, v1
	ds_bpermute_b32 v9, v4, v6
	ds_bpermute_b32 v4, v4, v2
	v_cmpx_gt_u32_e64 s3, v10
	s_cbranch_execz .LBB553_118
; %bb.117:
	s_waitcnt lgkmcnt(1)
	v_and_b32_e32 v6, 1, v9
	s_waitcnt lgkmcnt(0)
	v_cmp_lt_i64_e32 vcc_lo, v[3:4], v[1:2]
	s_delay_alu instid0(VALU_DEP_2) | instskip(SKIP_1) | instid1(VALU_DEP_2)
	v_cmp_eq_u32_e64 s2, 1, v6
	v_and_b32_e32 v6, 1, v7
	v_cndmask_b32_e64 v7, v7, 1, s2
	s_and_b32 vcc_lo, s2, vcc_lo
	s_delay_alu instid0(VALU_DEP_2) | instskip(SKIP_1) | instid1(VALU_DEP_2)
	v_cmp_eq_u32_e64 s2, 1, v6
	v_dual_cndmask_b32 v1, v1, v3 :: v_dual_cndmask_b32 v2, v2, v4
	v_cndmask_b32_e64 v7, v9, v7, s2
	s_delay_alu instid0(VALU_DEP_2) | instskip(NEXT) | instid1(VALU_DEP_3)
	v_cndmask_b32_e64 v1, v3, v1, s2
	v_cndmask_b32_e64 v2, v4, v2, s2
	s_delay_alu instid0(VALU_DEP_3)
	v_and_b32_e32 v6, 0xff, v7
.LBB553_118:
	s_or_b32 exec_lo, exec_lo, s5
	v_cmp_gt_u32_e32 vcc_lo, 6, v8
	v_add_nc_u32_e32 v10, 2, v8
	s_mov_b32 s5, exec_lo
	s_waitcnt lgkmcnt(2)
	v_cndmask_b32_e64 v3, 0, 1, vcc_lo
	s_delay_alu instid0(VALU_DEP_1) | instskip(SKIP_1) | instid1(VALU_DEP_1)
	v_lshlrev_b32_e32 v3, 1, v3
	s_waitcnt lgkmcnt(0)
	v_add_lshl_u32 v4, v3, v5, 2
	ds_bpermute_b32 v9, v4, v6
	ds_bpermute_b32 v3, v4, v1
	;; [unrolled: 1-line block ×3, first 2 shown]
	v_cmpx_gt_u32_e64 s3, v10
	s_cbranch_execz .LBB553_120
; %bb.119:
	s_waitcnt lgkmcnt(2)
	v_and_b32_e32 v6, 1, v9
	s_waitcnt lgkmcnt(0)
	v_cmp_lt_i64_e32 vcc_lo, v[3:4], v[1:2]
	s_delay_alu instid0(VALU_DEP_2) | instskip(SKIP_1) | instid1(VALU_DEP_2)
	v_cmp_eq_u32_e64 s2, 1, v6
	v_and_b32_e32 v6, 1, v7
	v_cndmask_b32_e64 v7, v7, 1, s2
	s_and_b32 vcc_lo, s2, vcc_lo
	s_delay_alu instid0(VALU_DEP_2) | instskip(SKIP_1) | instid1(VALU_DEP_2)
	v_cmp_eq_u32_e64 s2, 1, v6
	v_dual_cndmask_b32 v1, v1, v3 :: v_dual_cndmask_b32 v2, v2, v4
	v_cndmask_b32_e64 v7, v9, v7, s2
	s_delay_alu instid0(VALU_DEP_2) | instskip(NEXT) | instid1(VALU_DEP_3)
	v_cndmask_b32_e64 v1, v3, v1, s2
	v_cndmask_b32_e64 v2, v4, v2, s2
	s_delay_alu instid0(VALU_DEP_3)
	v_and_b32_e32 v6, 0xff, v7
.LBB553_120:
	s_or_b32 exec_lo, exec_lo, s5
	v_cmp_gt_u32_e32 vcc_lo, 4, v8
	v_add_nc_u32_e32 v8, 4, v8
	s_waitcnt lgkmcnt(1)
	v_cndmask_b32_e64 v3, 0, 1, vcc_lo
	s_delay_alu instid0(VALU_DEP_2) | instskip(NEXT) | instid1(VALU_DEP_2)
	v_cmp_gt_u32_e32 vcc_lo, s3, v8
	v_lshlrev_b32_e32 v3, 2, v3
	s_waitcnt lgkmcnt(0)
	s_delay_alu instid0(VALU_DEP_1)
	v_add_lshl_u32 v4, v3, v5, 2
	ds_bpermute_b32 v5, v4, v6
	ds_bpermute_b32 v3, v4, v1
	;; [unrolled: 1-line block ×3, first 2 shown]
	s_and_saveexec_b32 s3, vcc_lo
	s_cbranch_execz .LBB553_122
; %bb.121:
	s_waitcnt lgkmcnt(2)
	v_and_b32_e32 v6, 1, v5
	s_waitcnt lgkmcnt(0)
	v_cmp_lt_i64_e32 vcc_lo, v[3:4], v[1:2]
	s_delay_alu instid0(VALU_DEP_2) | instskip(SKIP_1) | instid1(VALU_DEP_2)
	v_cmp_eq_u32_e64 s2, 1, v6
	v_and_b32_e32 v6, 1, v7
	v_cndmask_b32_e64 v7, v7, 1, s2
	s_and_b32 vcc_lo, s2, vcc_lo
	s_delay_alu instid0(VALU_DEP_2) | instskip(SKIP_1) | instid1(VALU_DEP_2)
	v_cmp_eq_u32_e64 s2, 1, v6
	v_dual_cndmask_b32 v1, v1, v3 :: v_dual_cndmask_b32 v2, v2, v4
	v_cndmask_b32_e64 v5, v5, v7, s2
	s_delay_alu instid0(VALU_DEP_2) | instskip(NEXT) | instid1(VALU_DEP_3)
	v_cndmask_b32_e64 v1, v3, v1, s2
	v_cndmask_b32_e64 v2, v4, v2, s2
	s_delay_alu instid0(VALU_DEP_3)
	v_and_b32_e32 v6, 0xff, v5
.LBB553_122:
	s_or_b32 exec_lo, exec_lo, s3
.LBB553_123:
	s_delay_alu instid0(SALU_CYCLE_1)
	s_or_b32 exec_lo, exec_lo, s4
.LBB553_124:
                                        ; implicit-def: $vgpr3_vgpr4
                                        ; implicit-def: $vgpr5
	s_delay_alu instid0(SALU_CYCLE_1)
	s_mov_b32 s2, exec_lo
	v_cmpx_eq_u32_e32 0, v0
	s_xor_b32 s4, exec_lo, s2
	s_cbranch_execz .LBB553_128
; %bb.125:
	s_waitcnt lgkmcnt(0)
	v_dual_mov_b32 v3, s20 :: v_dual_mov_b32 v4, s21
	v_mov_b32_e32 v5, s24
	s_cmp_eq_u64 s[14:15], 0
	s_cbranch_scc1 .LBB553_127
; %bb.126:
	v_and_b32_e32 v3, 1, v6
	v_cmp_gt_i64_e32 vcc_lo, s[20:21], v[1:2]
	s_bitcmp1_b32 s24, 0
	s_cselect_b32 s3, -1, 0
	s_delay_alu instid0(VALU_DEP_2) | instskip(NEXT) | instid1(VALU_DEP_1)
	v_cmp_eq_u32_e64 s2, 1, v3
	s_and_b32 vcc_lo, s2, vcc_lo
	v_cndmask_b32_e64 v3, s24, 1, s2
	v_cndmask_b32_e32 v7, s20, v1, vcc_lo
	v_cndmask_b32_e32 v4, s21, v2, vcc_lo
	s_delay_alu instid0(VALU_DEP_3) | instskip(NEXT) | instid1(VALU_DEP_3)
	v_cndmask_b32_e64 v5, v6, v3, s3
	v_cndmask_b32_e64 v3, v1, v7, s3
	s_delay_alu instid0(VALU_DEP_3)
	v_cndmask_b32_e64 v4, v2, v4, s3
.LBB553_127:
	s_or_b32 s26, s26, exec_lo
.LBB553_128:
	s_or_b32 exec_lo, exec_lo, s4
	s_branch .LBB553_200
.LBB553_129:
	s_cmp_gt_i32 s25, 1
	s_cbranch_scc0 .LBB553_147
; %bb.130:
	s_cmp_eq_u32 s25, 2
	s_cbranch_scc0 .LBB553_148
; %bb.131:
	s_mov_b32 s11, 0
	s_lshl_b32 s8, s10, 9
	s_mov_b32 s9, s11
	s_lshr_b64 s[28:29], s[14:15], 9
	s_lshl_b64 s[2:3], s[8:9], 2
	s_delay_alu instid0(SALU_CYCLE_1)
	s_add_u32 s4, s16, s2
	s_addc_u32 s5, s17, s3
	s_add_u32 s6, s18, s2
	s_addc_u32 s7, s19, s3
	;; [unrolled: 2-line block ×3, first 2 shown]
	s_cmp_lg_u64 s[28:29], s[10:11]
	s_cbranch_scc0 .LBB553_149
; %bb.132:
	v_lshlrev_b32_e32 v1, 2, v0
	v_add_co_u32 v7, s2, s9, v0
	s_waitcnt lgkmcnt(2)
	v_add_co_ci_u32_e64 v5, null, s22, 0, s2
	global_load_b32 v2, v1, s[6:7] offset:1024
	s_waitcnt lgkmcnt(1)
	global_load_b32 v3, v1, s[6:7]
	s_waitcnt lgkmcnt(0)
	s_clause 0x1
	global_load_b32 v4, v1, s[4:5] offset:1024
	global_load_b32 v1, v1, s[4:5]
	v_add_co_u32 v8, vcc_lo, 0x100, v7
	v_add_co_ci_u32_e32 v6, vcc_lo, 0, v5, vcc_lo
	s_mov_b32 s23, exec_lo
	s_waitcnt vmcnt(1)
	v_cmp_ne_u32_e32 vcc_lo, v4, v2
	s_waitcnt vmcnt(0)
	v_cmp_ne_u32_e64 s2, v1, v3
	s_delay_alu instid0(VALU_DEP_1) | instskip(SKIP_3) | instid1(VALU_DEP_3)
	s_or_b32 s3, s2, vcc_lo
	v_cndmask_b32_e64 v2, v6, v5, s2
	v_cndmask_b32_e64 v5, 0, 1, s3
	;; [unrolled: 1-line block ×3, first 2 shown]
	v_mov_b32_dpp v4, v2 quad_perm:[1,0,3,2] row_mask:0xf bank_mask:0xf
	s_delay_alu instid0(VALU_DEP_3) | instskip(NEXT) | instid1(VALU_DEP_3)
	v_mov_b32_dpp v6, v5 quad_perm:[1,0,3,2] row_mask:0xf bank_mask:0xf
	v_mov_b32_dpp v3, v1 quad_perm:[1,0,3,2] row_mask:0xf bank_mask:0xf
	s_delay_alu instid0(VALU_DEP_2) | instskip(NEXT) | instid1(VALU_DEP_1)
	v_and_b32_e32 v7, 1, v6
	v_cmpx_eq_u32_e32 1, v7
; %bb.133:
	v_cndmask_b32_e64 v5, v6, 1, s3
	s_delay_alu instid0(VALU_DEP_4) | instskip(NEXT) | instid1(VALU_DEP_2)
	v_cmp_lt_i64_e32 vcc_lo, v[1:2], v[3:4]
	v_and_b32_e32 v6, 1, v5
	v_and_b32_e32 v5, 0xff, v5
	s_and_b32 vcc_lo, s3, vcc_lo
	s_and_not1_b32 s3, s3, exec_lo
	v_dual_cndmask_b32 v2, v4, v2 :: v_dual_cndmask_b32 v1, v3, v1
	v_cmp_eq_u32_e64 s2, 1, v6
	s_delay_alu instid0(VALU_DEP_1) | instskip(NEXT) | instid1(SALU_CYCLE_1)
	s_and_b32 s2, s2, exec_lo
	s_or_b32 s3, s3, s2
; %bb.134:
	s_or_b32 exec_lo, exec_lo, s23
	v_mov_b32_dpp v6, v5 quad_perm:[2,3,0,1] row_mask:0xf bank_mask:0xf
	v_mov_b32_dpp v3, v1 quad_perm:[2,3,0,1] row_mask:0xf bank_mask:0xf
	;; [unrolled: 1-line block ×3, first 2 shown]
	s_mov_b32 s23, exec_lo
	s_delay_alu instid0(VALU_DEP_3) | instskip(NEXT) | instid1(VALU_DEP_1)
	v_and_b32_e32 v7, 1, v6
	v_cmpx_eq_u32_e32 1, v7
; %bb.135:
	v_cndmask_b32_e64 v5, v6, 1, s3
	v_cmp_lt_i64_e32 vcc_lo, v[1:2], v[3:4]
	s_delay_alu instid0(VALU_DEP_2)
	v_and_b32_e32 v6, 1, v5
	v_and_b32_e32 v5, 0xff, v5
	s_and_b32 vcc_lo, s3, vcc_lo
	s_and_not1_b32 s3, s3, exec_lo
	v_dual_cndmask_b32 v2, v4, v2 :: v_dual_cndmask_b32 v1, v3, v1
	v_cmp_eq_u32_e64 s2, 1, v6
	s_delay_alu instid0(VALU_DEP_1) | instskip(NEXT) | instid1(SALU_CYCLE_1)
	s_and_b32 s2, s2, exec_lo
	s_or_b32 s3, s3, s2
; %bb.136:
	s_or_b32 exec_lo, exec_lo, s23
	v_mov_b32_dpp v6, v5 row_ror:4 row_mask:0xf bank_mask:0xf
	v_mov_b32_dpp v3, v1 row_ror:4 row_mask:0xf bank_mask:0xf
	;; [unrolled: 1-line block ×3, first 2 shown]
	s_mov_b32 s23, exec_lo
	s_delay_alu instid0(VALU_DEP_3) | instskip(NEXT) | instid1(VALU_DEP_1)
	v_and_b32_e32 v7, 1, v6
	v_cmpx_eq_u32_e32 1, v7
; %bb.137:
	v_cndmask_b32_e64 v5, v6, 1, s3
	v_cmp_lt_i64_e32 vcc_lo, v[1:2], v[3:4]
	s_delay_alu instid0(VALU_DEP_2)
	v_and_b32_e32 v6, 1, v5
	v_and_b32_e32 v5, 0xff, v5
	s_and_b32 vcc_lo, s3, vcc_lo
	s_and_not1_b32 s3, s3, exec_lo
	v_dual_cndmask_b32 v2, v4, v2 :: v_dual_cndmask_b32 v1, v3, v1
	v_cmp_eq_u32_e64 s2, 1, v6
	s_delay_alu instid0(VALU_DEP_1) | instskip(NEXT) | instid1(SALU_CYCLE_1)
	s_and_b32 s2, s2, exec_lo
	s_or_b32 s3, s3, s2
; %bb.138:
	s_or_b32 exec_lo, exec_lo, s23
	v_mov_b32_dpp v6, v5 row_ror:8 row_mask:0xf bank_mask:0xf
	v_mov_b32_dpp v3, v1 row_ror:8 row_mask:0xf bank_mask:0xf
	;; [unrolled: 1-line block ×3, first 2 shown]
	s_mov_b32 s23, exec_lo
	s_delay_alu instid0(VALU_DEP_3) | instskip(NEXT) | instid1(VALU_DEP_1)
	v_and_b32_e32 v7, 1, v6
	v_cmpx_eq_u32_e32 1, v7
; %bb.139:
	v_cndmask_b32_e64 v5, v6, 1, s3
	v_cmp_lt_i64_e32 vcc_lo, v[1:2], v[3:4]
	s_delay_alu instid0(VALU_DEP_2)
	v_and_b32_e32 v6, 1, v5
	v_and_b32_e32 v5, 0xff, v5
	s_and_b32 vcc_lo, s3, vcc_lo
	s_and_not1_b32 s3, s3, exec_lo
	v_dual_cndmask_b32 v2, v4, v2 :: v_dual_cndmask_b32 v1, v3, v1
	v_cmp_eq_u32_e64 s2, 1, v6
	s_delay_alu instid0(VALU_DEP_1) | instskip(NEXT) | instid1(SALU_CYCLE_1)
	s_and_b32 s2, s2, exec_lo
	s_or_b32 s3, s3, s2
; %bb.140:
	s_or_b32 exec_lo, exec_lo, s23
	ds_swizzle_b32 v6, v5 offset:swizzle(BROADCAST,32,15)
	ds_swizzle_b32 v3, v1 offset:swizzle(BROADCAST,32,15)
	;; [unrolled: 1-line block ×3, first 2 shown]
	s_mov_b32 s2, exec_lo
	s_waitcnt lgkmcnt(2)
	v_and_b32_e32 v7, 1, v6
	s_delay_alu instid0(VALU_DEP_1)
	v_cmpx_eq_u32_e32 1, v7
	s_cbranch_execz .LBB553_142
; %bb.141:
	s_waitcnt lgkmcnt(0)
	v_cmp_lt_i64_e32 vcc_lo, v[1:2], v[3:4]
	v_and_b32_e32 v5, 0xff, v6
	s_delay_alu instid0(VALU_DEP_1)
	v_cndmask_b32_e64 v5, v5, 1, s3
	s_and_b32 vcc_lo, s3, vcc_lo
	v_dual_cndmask_b32 v1, v3, v1 :: v_dual_cndmask_b32 v2, v4, v2
.LBB553_142:
	s_or_b32 exec_lo, exec_lo, s2
	s_waitcnt lgkmcnt(1)
	v_mov_b32_e32 v3, 0
	s_mov_b32 s2, exec_lo
	ds_bpermute_b32 v6, v3, v5 offset:124
	ds_bpermute_b32 v1, v3, v1 offset:124
	;; [unrolled: 1-line block ×3, first 2 shown]
	v_mbcnt_lo_u32_b32 v3, -1, 0
	s_delay_alu instid0(VALU_DEP_1)
	v_cmpx_eq_u32_e32 0, v3
	s_cbranch_execz .LBB553_144
; %bb.143:
	s_waitcnt lgkmcnt(3)
	v_lshrrev_b32_e32 v4, 1, v0
	s_delay_alu instid0(VALU_DEP_1)
	v_and_b32_e32 v4, 0x70, v4
	s_waitcnt lgkmcnt(2)
	ds_store_b8 v4, v6 offset:128
	s_waitcnt lgkmcnt(1)
	ds_store_b64 v4, v[1:2] offset:136
.LBB553_144:
	s_or_b32 exec_lo, exec_lo, s2
	s_delay_alu instid0(SALU_CYCLE_1)
	s_mov_b32 s23, exec_lo
	s_waitcnt lgkmcnt(0)
	s_barrier
	buffer_gl0_inv
	v_cmpx_gt_u32_e32 32, v0
	s_cbranch_execz .LBB553_146
; %bb.145:
	v_and_b32_e32 v6, 7, v3
	s_delay_alu instid0(VALU_DEP_1)
	v_lshlrev_b32_e32 v1, 4, v6
	v_cmp_ne_u32_e32 vcc_lo, 7, v6
	ds_load_u8 v7, v1 offset:128
	ds_load_b64 v[1:2], v1 offset:136
	v_add_co_ci_u32_e32 v4, vcc_lo, 0, v3, vcc_lo
	v_cmp_gt_u32_e32 vcc_lo, 6, v6
	s_delay_alu instid0(VALU_DEP_2)
	v_lshlrev_b32_e32 v5, 2, v4
	v_cndmask_b32_e64 v10, 0, 1, vcc_lo
	s_waitcnt lgkmcnt(1)
	v_and_b32_e32 v4, 0xff, v7
	v_and_b32_e32 v11, 1, v7
	ds_bpermute_b32 v8, v5, v4
	s_waitcnt lgkmcnt(1)
	ds_bpermute_b32 v4, v5, v1
	ds_bpermute_b32 v5, v5, v2
	v_cmp_eq_u32_e64 s3, 1, v11
	s_waitcnt lgkmcnt(2)
	v_and_b32_e32 v9, 1, v8
	s_waitcnt lgkmcnt(0)
	v_cmp_lt_i64_e64 s2, v[4:5], v[1:2]
	s_delay_alu instid0(VALU_DEP_2) | instskip(SKIP_2) | instid1(VALU_DEP_4)
	v_cmp_eq_u32_e32 vcc_lo, 1, v9
	v_lshlrev_b32_e32 v9, 1, v10
	v_cndmask_b32_e64 v7, v7, 1, vcc_lo
	s_and_b32 vcc_lo, vcc_lo, s2
	v_dual_cndmask_b32 v1, v1, v4 :: v_dual_cndmask_b32 v2, v2, v5
	s_delay_alu instid0(VALU_DEP_2) | instskip(SKIP_2) | instid1(VALU_DEP_4)
	v_cndmask_b32_e64 v7, v8, v7, s3
	v_add_lshl_u32 v8, v9, v3, 2
	v_cmp_gt_u32_e32 vcc_lo, 4, v6
	v_cndmask_b32_e64 v1, v4, v1, s3
	v_cndmask_b32_e64 v2, v5, v2, s3
	v_and_b32_e32 v9, 0xff, v7
	v_and_b32_e32 v10, 1, v7
	v_cndmask_b32_e64 v6, 0, 1, vcc_lo
	ds_bpermute_b32 v4, v8, v1
	ds_bpermute_b32 v5, v8, v2
	;; [unrolled: 1-line block ×3, first 2 shown]
	v_cmp_eq_u32_e64 s3, 1, v10
	s_waitcnt lgkmcnt(1)
	v_cmp_lt_i64_e64 s2, v[4:5], v[1:2]
	s_waitcnt lgkmcnt(0)
	v_and_b32_e32 v8, 1, v9
	s_delay_alu instid0(VALU_DEP_1) | instskip(SKIP_1) | instid1(VALU_DEP_4)
	v_cmp_eq_u32_e32 vcc_lo, 1, v8
	v_cndmask_b32_e64 v7, v7, 1, vcc_lo
	s_and_b32 vcc_lo, vcc_lo, s2
	v_dual_cndmask_b32 v1, v1, v4 :: v_dual_cndmask_b32 v2, v2, v5
	s_delay_alu instid0(VALU_DEP_2) | instskip(NEXT) | instid1(VALU_DEP_2)
	v_cndmask_b32_e64 v7, v9, v7, s3
	v_cndmask_b32_e64 v1, v4, v1, s3
	v_lshlrev_b32_e32 v6, 2, v6
	s_delay_alu instid0(VALU_DEP_4) | instskip(NEXT) | instid1(VALU_DEP_2)
	v_cndmask_b32_e64 v2, v5, v2, s3
	v_add_lshl_u32 v6, v6, v3, 2
	v_and_b32_e32 v3, 0xff, v7
	ds_bpermute_b32 v4, v6, v2
	ds_bpermute_b32 v5, v6, v3
	;; [unrolled: 1-line block ×3, first 2 shown]
	s_waitcnt lgkmcnt(1)
	v_and_b32_e32 v6, 1, v5
	s_waitcnt lgkmcnt(0)
	v_cmp_lt_i64_e32 vcc_lo, v[3:4], v[1:2]
	s_delay_alu instid0(VALU_DEP_2) | instskip(SKIP_1) | instid1(VALU_DEP_2)
	v_cmp_eq_u32_e64 s2, 1, v6
	v_and_b32_e32 v6, 1, v7
	v_cndmask_b32_e64 v7, v7, 1, s2
	s_and_b32 vcc_lo, s2, vcc_lo
	s_delay_alu instid0(VALU_DEP_2) | instskip(SKIP_1) | instid1(VALU_DEP_2)
	v_cmp_eq_u32_e64 s2, 1, v6
	v_dual_cndmask_b32 v1, v1, v3 :: v_dual_cndmask_b32 v2, v2, v4
	v_cndmask_b32_e64 v5, v5, v7, s2
	s_delay_alu instid0(VALU_DEP_2) | instskip(NEXT) | instid1(VALU_DEP_3)
	v_cndmask_b32_e64 v1, v3, v1, s2
	v_cndmask_b32_e64 v2, v4, v2, s2
	s_delay_alu instid0(VALU_DEP_3)
	v_and_b32_e32 v6, 0xff, v5
.LBB553_146:
	s_or_b32 exec_lo, exec_lo, s23
	s_branch .LBB553_177
.LBB553_147:
                                        ; implicit-def: $vgpr3_vgpr4
                                        ; implicit-def: $vgpr5
	s_cbranch_execnz .LBB553_182
	s_branch .LBB553_200
.LBB553_148:
                                        ; implicit-def: $vgpr3_vgpr4
                                        ; implicit-def: $vgpr5
	s_branch .LBB553_200
.LBB553_149:
                                        ; implicit-def: $vgpr1_vgpr2
                                        ; implicit-def: $vgpr6
	s_cbranch_execz .LBB553_177
; %bb.150:
	s_waitcnt lgkmcnt(0)
	v_mov_b32_e32 v3, 0
	v_dual_mov_b32 v4, 0 :: v_dual_mov_b32 v5, 0
	s_delay_alu instid0(VALU_DEP_2) | instskip(SKIP_2) | instid1(VALU_DEP_3)
	v_mov_b32_e32 v1, v3
	v_mov_b32_e32 v7, 0
	s_sub_i32 s3, s14, s8
	v_mov_b32_e32 v2, v4
	s_mov_b32 s2, exec_lo
	v_cmpx_gt_u32_e64 s3, v0
	s_cbranch_execz .LBB553_152
; %bb.151:
	v_lshlrev_b32_e32 v1, 2, v0
	s_clause 0x1
	global_load_b32 v6, v1, s[4:5]
	global_load_b32 v7, v1, s[6:7]
	v_add_co_u32 v1, s8, s9, v0
	s_delay_alu instid0(VALU_DEP_1)
	v_add_co_ci_u32_e64 v2, null, s22, 0, s8
	s_waitcnt vmcnt(0)
	v_cmp_ne_u32_e32 vcc_lo, v6, v7
	v_cndmask_b32_e64 v7, 0, 1, vcc_lo
.LBB553_152:
	s_or_b32 exec_lo, exec_lo, s2
	v_or_b32_e32 v6, 0x100, v0
	s_delay_alu instid0(VALU_DEP_1)
	v_cmp_gt_u32_e32 vcc_lo, s3, v6
	s_and_saveexec_b32 s8, vcc_lo
	s_cbranch_execz .LBB553_154
; %bb.153:
	v_lshlrev_b32_e32 v3, 2, v0
	s_clause 0x1
	global_load_b32 v5, v3, s[4:5] offset:1024
	global_load_b32 v8, v3, s[6:7] offset:1024
	v_add_co_u32 v3, s2, s9, v6
	s_delay_alu instid0(VALU_DEP_1) | instskip(SKIP_2) | instid1(VALU_DEP_1)
	v_add_co_ci_u32_e64 v4, null, s22, 0, s2
	s_waitcnt vmcnt(0)
	v_cmp_ne_u32_e64 s2, v5, v8
	v_cndmask_b32_e64 v5, 0, 1, s2
.LBB553_154:
	s_or_b32 exec_lo, exec_lo, s8
	s_and_saveexec_b32 s4, vcc_lo
; %bb.155:
	s_delay_alu instid0(VALU_DEP_1) | instskip(SKIP_1) | instid1(VALU_DEP_2)
	v_and_b32_e32 v6, 1, v5
	v_cmp_lt_i64_e32 vcc_lo, v[3:4], v[1:2]
	v_cmp_eq_u32_e64 s2, 1, v6
	s_delay_alu instid0(VALU_DEP_1) | instskip(SKIP_4) | instid1(VALU_DEP_3)
	s_and_b32 vcc_lo, s2, vcc_lo
	v_cndmask_b32_e32 v1, v1, v3, vcc_lo
	v_and_b32_e32 v6, 1, v7
	v_cndmask_b32_e64 v7, v7, 1, s2
	v_cndmask_b32_e32 v2, v2, v4, vcc_lo
	v_cmp_eq_u32_e32 vcc_lo, 1, v6
	s_delay_alu instid0(VALU_DEP_2)
	v_dual_cndmask_b32 v7, v5, v7 :: v_dual_cndmask_b32 v2, v4, v2
	v_cndmask_b32_e32 v1, v3, v1, vcc_lo
; %bb.156:
	s_or_b32 exec_lo, exec_lo, s4
	v_mbcnt_lo_u32_b32 v5, -1, 0
	s_delay_alu instid0(VALU_DEP_3)
	v_and_b32_e32 v6, 0xffff, v7
	v_and_b32_e32 v8, 0xe0, v0
	s_min_u32 s3, s3, 0x100
	s_mov_b32 s4, exec_lo
	v_cmp_ne_u32_e32 vcc_lo, 31, v5
	v_add_nc_u32_e32 v10, 1, v5
	v_sub_nc_u32_e64 v8, s3, v8 clamp
	v_add_co_ci_u32_e32 v3, vcc_lo, 0, v5, vcc_lo
	s_delay_alu instid0(VALU_DEP_1)
	v_lshlrev_b32_e32 v4, 2, v3
	ds_bpermute_b32 v9, v4, v6
	ds_bpermute_b32 v3, v4, v1
	ds_bpermute_b32 v4, v4, v2
	v_cmpx_lt_u32_e64 v10, v8
	s_cbranch_execz .LBB553_158
; %bb.157:
	s_waitcnt lgkmcnt(2)
	v_and_b32_e32 v6, 1, v9
	s_waitcnt lgkmcnt(0)
	v_cmp_lt_i64_e32 vcc_lo, v[3:4], v[1:2]
	s_delay_alu instid0(VALU_DEP_2) | instskip(SKIP_1) | instid1(VALU_DEP_2)
	v_cmp_eq_u32_e64 s2, 1, v6
	v_and_b32_e32 v6, 1, v7
	v_cndmask_b32_e64 v7, v7, 1, s2
	s_and_b32 vcc_lo, s2, vcc_lo
	s_delay_alu instid0(VALU_DEP_2) | instskip(SKIP_1) | instid1(VALU_DEP_2)
	v_cmp_eq_u32_e64 s2, 1, v6
	v_dual_cndmask_b32 v1, v1, v3 :: v_dual_cndmask_b32 v2, v2, v4
	v_cndmask_b32_e64 v7, v9, v7, s2
	s_delay_alu instid0(VALU_DEP_2) | instskip(NEXT) | instid1(VALU_DEP_3)
	v_cndmask_b32_e64 v1, v3, v1, s2
	v_cndmask_b32_e64 v2, v4, v2, s2
	s_delay_alu instid0(VALU_DEP_3)
	v_and_b32_e32 v6, 0xff, v7
.LBB553_158:
	s_or_b32 exec_lo, exec_lo, s4
	v_cmp_gt_u32_e32 vcc_lo, 30, v5
	v_add_nc_u32_e32 v10, 2, v5
	s_mov_b32 s4, exec_lo
	s_waitcnt lgkmcnt(1)
	v_cndmask_b32_e64 v3, 0, 1, vcc_lo
	s_delay_alu instid0(VALU_DEP_1) | instskip(SKIP_1) | instid1(VALU_DEP_1)
	v_lshlrev_b32_e32 v3, 1, v3
	s_waitcnt lgkmcnt(0)
	v_add_lshl_u32 v4, v3, v5, 2
	ds_bpermute_b32 v9, v4, v6
	ds_bpermute_b32 v3, v4, v1
	ds_bpermute_b32 v4, v4, v2
	v_cmpx_lt_u32_e64 v10, v8
	s_cbranch_execz .LBB553_160
; %bb.159:
	s_waitcnt lgkmcnt(2)
	v_and_b32_e32 v6, 1, v9
	s_waitcnt lgkmcnt(0)
	v_cmp_lt_i64_e32 vcc_lo, v[3:4], v[1:2]
	s_delay_alu instid0(VALU_DEP_2) | instskip(SKIP_1) | instid1(VALU_DEP_2)
	v_cmp_eq_u32_e64 s2, 1, v6
	v_and_b32_e32 v6, 1, v7
	v_cndmask_b32_e64 v7, v7, 1, s2
	s_and_b32 vcc_lo, s2, vcc_lo
	s_delay_alu instid0(VALU_DEP_2) | instskip(SKIP_1) | instid1(VALU_DEP_2)
	v_cmp_eq_u32_e64 s2, 1, v6
	v_dual_cndmask_b32 v1, v1, v3 :: v_dual_cndmask_b32 v2, v2, v4
	v_cndmask_b32_e64 v7, v9, v7, s2
	s_delay_alu instid0(VALU_DEP_2) | instskip(NEXT) | instid1(VALU_DEP_3)
	v_cndmask_b32_e64 v1, v3, v1, s2
	v_cndmask_b32_e64 v2, v4, v2, s2
	s_delay_alu instid0(VALU_DEP_3)
	v_and_b32_e32 v6, 0xff, v7
.LBB553_160:
	s_or_b32 exec_lo, exec_lo, s4
	v_cmp_gt_u32_e32 vcc_lo, 28, v5
	v_add_nc_u32_e32 v10, 4, v5
	s_mov_b32 s4, exec_lo
	s_waitcnt lgkmcnt(1)
	v_cndmask_b32_e64 v3, 0, 1, vcc_lo
	s_delay_alu instid0(VALU_DEP_1) | instskip(SKIP_1) | instid1(VALU_DEP_1)
	v_lshlrev_b32_e32 v3, 2, v3
	s_waitcnt lgkmcnt(0)
	v_add_lshl_u32 v4, v3, v5, 2
	;; [unrolled: 35-line block ×4, first 2 shown]
	ds_bpermute_b32 v9, v4, v6
	ds_bpermute_b32 v3, v4, v1
	;; [unrolled: 1-line block ×3, first 2 shown]
	v_cmpx_lt_u32_e64 v10, v8
	s_cbranch_execz .LBB553_166
; %bb.165:
	s_waitcnt lgkmcnt(2)
	v_and_b32_e32 v6, 1, v9
	s_waitcnt lgkmcnt(0)
	v_cmp_lt_i64_e32 vcc_lo, v[3:4], v[1:2]
	s_delay_alu instid0(VALU_DEP_2) | instskip(SKIP_1) | instid1(VALU_DEP_2)
	v_cmp_eq_u32_e64 s2, 1, v6
	v_and_b32_e32 v6, 1, v7
	v_cndmask_b32_e64 v7, v7, 1, s2
	s_and_b32 vcc_lo, s2, vcc_lo
	s_delay_alu instid0(VALU_DEP_2) | instskip(SKIP_1) | instid1(VALU_DEP_2)
	v_cmp_eq_u32_e64 s2, 1, v6
	v_dual_cndmask_b32 v1, v1, v3 :: v_dual_cndmask_b32 v2, v2, v4
	v_cndmask_b32_e64 v7, v9, v7, s2
	s_delay_alu instid0(VALU_DEP_2) | instskip(NEXT) | instid1(VALU_DEP_3)
	v_cndmask_b32_e64 v1, v3, v1, s2
	v_cndmask_b32_e64 v2, v4, v2, s2
	s_delay_alu instid0(VALU_DEP_3)
	v_and_b32_e32 v6, 0xff, v7
.LBB553_166:
	s_or_b32 exec_lo, exec_lo, s4
	s_delay_alu instid0(SALU_CYCLE_1)
	s_mov_b32 s2, exec_lo
	v_cmpx_eq_u32_e32 0, v5
	s_cbranch_execz .LBB553_168
; %bb.167:
	s_waitcnt lgkmcnt(1)
	v_lshrrev_b32_e32 v3, 1, v0
	s_delay_alu instid0(VALU_DEP_1)
	v_and_b32_e32 v3, 0x70, v3
	ds_store_b8 v3, v7 offset:512
	ds_store_b64 v3, v[1:2] offset:520
.LBB553_168:
	s_or_b32 exec_lo, exec_lo, s2
	s_delay_alu instid0(SALU_CYCLE_1)
	s_mov_b32 s4, exec_lo
	s_waitcnt lgkmcnt(0)
	s_barrier
	buffer_gl0_inv
	v_cmpx_gt_u32_e32 8, v0
	s_cbranch_execz .LBB553_176
; %bb.169:
	v_lshlrev_b32_e32 v1, 4, v5
	v_and_b32_e32 v8, 7, v5
	s_add_i32 s3, s3, 31
	s_mov_b32 s5, exec_lo
	s_lshr_b32 s3, s3, 5
	ds_load_u8 v7, v1 offset:512
	ds_load_b64 v[1:2], v1 offset:520
	v_cmp_ne_u32_e32 vcc_lo, 7, v8
	v_add_nc_u32_e32 v10, 1, v8
	v_add_co_ci_u32_e32 v3, vcc_lo, 0, v5, vcc_lo
	s_delay_alu instid0(VALU_DEP_1)
	v_lshlrev_b32_e32 v4, 2, v3
	s_waitcnt lgkmcnt(1)
	v_and_b32_e32 v6, 0xff, v7
	s_waitcnt lgkmcnt(0)
	ds_bpermute_b32 v3, v4, v1
	ds_bpermute_b32 v9, v4, v6
	ds_bpermute_b32 v4, v4, v2
	v_cmpx_gt_u32_e64 s3, v10
	s_cbranch_execz .LBB553_171
; %bb.170:
	s_waitcnt lgkmcnt(1)
	v_and_b32_e32 v6, 1, v9
	s_waitcnt lgkmcnt(0)
	v_cmp_lt_i64_e32 vcc_lo, v[3:4], v[1:2]
	s_delay_alu instid0(VALU_DEP_2) | instskip(SKIP_1) | instid1(VALU_DEP_2)
	v_cmp_eq_u32_e64 s2, 1, v6
	v_and_b32_e32 v6, 1, v7
	v_cndmask_b32_e64 v7, v7, 1, s2
	s_and_b32 vcc_lo, s2, vcc_lo
	s_delay_alu instid0(VALU_DEP_2) | instskip(SKIP_1) | instid1(VALU_DEP_2)
	v_cmp_eq_u32_e64 s2, 1, v6
	v_dual_cndmask_b32 v1, v1, v3 :: v_dual_cndmask_b32 v2, v2, v4
	v_cndmask_b32_e64 v7, v9, v7, s2
	s_delay_alu instid0(VALU_DEP_2) | instskip(NEXT) | instid1(VALU_DEP_3)
	v_cndmask_b32_e64 v1, v3, v1, s2
	v_cndmask_b32_e64 v2, v4, v2, s2
	s_delay_alu instid0(VALU_DEP_3)
	v_and_b32_e32 v6, 0xff, v7
.LBB553_171:
	s_or_b32 exec_lo, exec_lo, s5
	v_cmp_gt_u32_e32 vcc_lo, 6, v8
	v_add_nc_u32_e32 v10, 2, v8
	s_mov_b32 s5, exec_lo
	s_waitcnt lgkmcnt(2)
	v_cndmask_b32_e64 v3, 0, 1, vcc_lo
	s_delay_alu instid0(VALU_DEP_1) | instskip(SKIP_1) | instid1(VALU_DEP_1)
	v_lshlrev_b32_e32 v3, 1, v3
	s_waitcnt lgkmcnt(0)
	v_add_lshl_u32 v4, v3, v5, 2
	ds_bpermute_b32 v9, v4, v6
	ds_bpermute_b32 v3, v4, v1
	;; [unrolled: 1-line block ×3, first 2 shown]
	v_cmpx_gt_u32_e64 s3, v10
	s_cbranch_execz .LBB553_173
; %bb.172:
	s_waitcnt lgkmcnt(2)
	v_and_b32_e32 v6, 1, v9
	s_waitcnt lgkmcnt(0)
	v_cmp_lt_i64_e32 vcc_lo, v[3:4], v[1:2]
	s_delay_alu instid0(VALU_DEP_2) | instskip(SKIP_1) | instid1(VALU_DEP_2)
	v_cmp_eq_u32_e64 s2, 1, v6
	v_and_b32_e32 v6, 1, v7
	v_cndmask_b32_e64 v7, v7, 1, s2
	s_and_b32 vcc_lo, s2, vcc_lo
	s_delay_alu instid0(VALU_DEP_2) | instskip(SKIP_1) | instid1(VALU_DEP_2)
	v_cmp_eq_u32_e64 s2, 1, v6
	v_dual_cndmask_b32 v1, v1, v3 :: v_dual_cndmask_b32 v2, v2, v4
	v_cndmask_b32_e64 v7, v9, v7, s2
	s_delay_alu instid0(VALU_DEP_2) | instskip(NEXT) | instid1(VALU_DEP_3)
	v_cndmask_b32_e64 v1, v3, v1, s2
	v_cndmask_b32_e64 v2, v4, v2, s2
	s_delay_alu instid0(VALU_DEP_3)
	v_and_b32_e32 v6, 0xff, v7
.LBB553_173:
	s_or_b32 exec_lo, exec_lo, s5
	v_cmp_gt_u32_e32 vcc_lo, 4, v8
	v_add_nc_u32_e32 v8, 4, v8
	s_waitcnt lgkmcnt(1)
	v_cndmask_b32_e64 v3, 0, 1, vcc_lo
	s_delay_alu instid0(VALU_DEP_2) | instskip(NEXT) | instid1(VALU_DEP_2)
	v_cmp_gt_u32_e32 vcc_lo, s3, v8
	v_lshlrev_b32_e32 v3, 2, v3
	s_waitcnt lgkmcnt(0)
	s_delay_alu instid0(VALU_DEP_1)
	v_add_lshl_u32 v4, v3, v5, 2
	ds_bpermute_b32 v5, v4, v6
	ds_bpermute_b32 v3, v4, v1
	;; [unrolled: 1-line block ×3, first 2 shown]
	s_and_saveexec_b32 s3, vcc_lo
	s_cbranch_execz .LBB553_175
; %bb.174:
	s_waitcnt lgkmcnt(2)
	v_and_b32_e32 v6, 1, v5
	s_waitcnt lgkmcnt(0)
	v_cmp_lt_i64_e32 vcc_lo, v[3:4], v[1:2]
	s_delay_alu instid0(VALU_DEP_2) | instskip(SKIP_1) | instid1(VALU_DEP_2)
	v_cmp_eq_u32_e64 s2, 1, v6
	v_and_b32_e32 v6, 1, v7
	v_cndmask_b32_e64 v7, v7, 1, s2
	s_and_b32 vcc_lo, s2, vcc_lo
	s_delay_alu instid0(VALU_DEP_2) | instskip(SKIP_1) | instid1(VALU_DEP_2)
	v_cmp_eq_u32_e64 s2, 1, v6
	v_dual_cndmask_b32 v1, v1, v3 :: v_dual_cndmask_b32 v2, v2, v4
	v_cndmask_b32_e64 v5, v5, v7, s2
	s_delay_alu instid0(VALU_DEP_2) | instskip(NEXT) | instid1(VALU_DEP_3)
	v_cndmask_b32_e64 v1, v3, v1, s2
	v_cndmask_b32_e64 v2, v4, v2, s2
	s_delay_alu instid0(VALU_DEP_3)
	v_and_b32_e32 v6, 0xff, v5
.LBB553_175:
	s_or_b32 exec_lo, exec_lo, s3
.LBB553_176:
	s_delay_alu instid0(SALU_CYCLE_1)
	s_or_b32 exec_lo, exec_lo, s4
.LBB553_177:
                                        ; implicit-def: $vgpr3_vgpr4
                                        ; implicit-def: $vgpr5
	s_delay_alu instid0(SALU_CYCLE_1)
	s_mov_b32 s2, exec_lo
	v_cmpx_eq_u32_e32 0, v0
	s_xor_b32 s4, exec_lo, s2
	s_cbranch_execz .LBB553_181
; %bb.178:
	s_waitcnt lgkmcnt(0)
	v_dual_mov_b32 v3, s20 :: v_dual_mov_b32 v4, s21
	v_mov_b32_e32 v5, s24
	s_cmp_eq_u64 s[14:15], 0
	s_cbranch_scc1 .LBB553_180
; %bb.179:
	v_and_b32_e32 v3, 1, v6
	v_cmp_gt_i64_e32 vcc_lo, s[20:21], v[1:2]
	s_bitcmp1_b32 s24, 0
	s_cselect_b32 s3, -1, 0
	s_delay_alu instid0(VALU_DEP_2) | instskip(NEXT) | instid1(VALU_DEP_1)
	v_cmp_eq_u32_e64 s2, 1, v3
	s_and_b32 vcc_lo, s2, vcc_lo
	v_cndmask_b32_e64 v3, s24, 1, s2
	v_cndmask_b32_e32 v7, s20, v1, vcc_lo
	v_cndmask_b32_e32 v4, s21, v2, vcc_lo
	s_delay_alu instid0(VALU_DEP_3) | instskip(NEXT) | instid1(VALU_DEP_3)
	v_cndmask_b32_e64 v5, v6, v3, s3
	v_cndmask_b32_e64 v3, v1, v7, s3
	s_delay_alu instid0(VALU_DEP_3)
	v_cndmask_b32_e64 v4, v2, v4, s3
.LBB553_180:
	s_or_b32 s26, s26, exec_lo
.LBB553_181:
	s_or_b32 exec_lo, exec_lo, s4
	s_branch .LBB553_200
.LBB553_182:
	s_cmp_eq_u32 s25, 1
	s_cbranch_scc0 .LBB553_199
; %bb.183:
	s_mov_b32 s5, 0
	s_lshr_b64 s[2:3], s[14:15], 8
	s_mov_b32 s11, s5
	s_lshl_b32 s4, s10, 8
	s_cmp_lg_u64 s[2:3], s[10:11]
	s_cbranch_scc0 .LBB553_203
; %bb.184:
	s_lshl_b64 s[2:3], s[4:5], 2
	v_lshlrev_b32_e32 v1, 2, v0
	s_add_u32 s6, s16, s2
	s_addc_u32 s7, s17, s3
	s_add_u32 s2, s18, s2
	s_addc_u32 s3, s19, s3
	s_clause 0x1
	global_load_b32 v2, v1, s[6:7]
	global_load_b32 v1, v1, s[2:3]
	s_add_u32 s2, s12, s4
	s_addc_u32 s3, s13, 0
	s_waitcnt vmcnt(0)
	v_cmp_ne_u32_e32 vcc_lo, v2, v1
	v_cndmask_b32_e64 v1, 0, 1, vcc_lo
	v_cndmask_b32_e64 v6, 0, 1, vcc_lo
	s_waitcnt lgkmcnt(2)
	s_delay_alu instid0(VALU_DEP_2) | instskip(SKIP_1) | instid1(VALU_DEP_1)
	v_mov_b32_dpp v5, v1 quad_perm:[1,0,3,2] row_mask:0xf bank_mask:0xf
	v_add_co_u32 v1, s2, s2, v0
	v_add_co_ci_u32_e64 v2, null, s3, 0, s2
	s_delay_alu instid0(VALU_DEP_3) | instskip(SKIP_1) | instid1(VALU_DEP_3)
	v_and_b32_e32 v7, 1, v5
	s_waitcnt lgkmcnt(1)
	v_mov_b32_dpp v3, v1 quad_perm:[1,0,3,2] row_mask:0xf bank_mask:0xf
	s_mov_b32 s3, exec_lo
	s_waitcnt lgkmcnt(0)
	v_mov_b32_dpp v4, v2 quad_perm:[1,0,3,2] row_mask:0xf bank_mask:0xf
	v_cmpx_eq_u32_e32 1, v7
; %bb.185:
	s_delay_alu instid0(VALU_DEP_2) | instskip(SKIP_1) | instid1(VALU_DEP_2)
	v_cmp_lt_i64_e64 s2, v[1:2], v[3:4]
	v_cndmask_b32_e64 v6, v5, 1, vcc_lo
	s_and_b32 vcc_lo, vcc_lo, s2
	v_dual_cndmask_b32 v2, v4, v2 :: v_dual_cndmask_b32 v1, v3, v1
; %bb.186:
	s_or_b32 exec_lo, exec_lo, s3
	s_delay_alu instid0(VALU_DEP_2) | instskip(SKIP_1) | instid1(VALU_DEP_3)
	v_and_b32_e32 v5, 0xff, v6
	v_and_b32_e32 v6, 1, v6
	v_mov_b32_dpp v3, v1 quad_perm:[2,3,0,1] row_mask:0xf bank_mask:0xf
	v_mov_b32_dpp v4, v2 quad_perm:[2,3,0,1] row_mask:0xf bank_mask:0xf
	s_mov_b32 s6, exec_lo
	v_mov_b32_dpp v7, v5 quad_perm:[2,3,0,1] row_mask:0xf bank_mask:0xf
	v_cmp_eq_u32_e64 s3, 1, v6
	s_delay_alu instid0(VALU_DEP_2) | instskip(NEXT) | instid1(VALU_DEP_1)
	v_and_b32_e32 v8, 1, v7
	v_cmpx_eq_u32_e32 1, v8
; %bb.187:
	s_delay_alu instid0(VALU_DEP_3) | instskip(SKIP_1) | instid1(VALU_DEP_2)
	v_cndmask_b32_e64 v5, v7, 1, s3
	v_cmp_lt_i64_e32 vcc_lo, v[1:2], v[3:4]
	v_and_b32_e32 v6, 1, v5
	v_and_b32_e32 v5, 0xff, v5
	s_and_b32 vcc_lo, s3, vcc_lo
	s_and_not1_b32 s3, s3, exec_lo
	v_dual_cndmask_b32 v2, v4, v2 :: v_dual_cndmask_b32 v1, v3, v1
	v_cmp_eq_u32_e64 s2, 1, v6
	s_delay_alu instid0(VALU_DEP_1) | instskip(NEXT) | instid1(SALU_CYCLE_1)
	s_and_b32 s2, s2, exec_lo
	s_or_b32 s3, s3, s2
; %bb.188:
	s_or_b32 exec_lo, exec_lo, s6
	v_mov_b32_dpp v6, v5 row_ror:4 row_mask:0xf bank_mask:0xf
	v_mov_b32_dpp v3, v1 row_ror:4 row_mask:0xf bank_mask:0xf
	v_mov_b32_dpp v4, v2 row_ror:4 row_mask:0xf bank_mask:0xf
	s_mov_b32 s6, exec_lo
	s_delay_alu instid0(VALU_DEP_3) | instskip(NEXT) | instid1(VALU_DEP_1)
	v_and_b32_e32 v7, 1, v6
	v_cmpx_eq_u32_e32 1, v7
; %bb.189:
	v_cndmask_b32_e64 v5, v6, 1, s3
	v_cmp_lt_i64_e32 vcc_lo, v[1:2], v[3:4]
	s_delay_alu instid0(VALU_DEP_2)
	v_and_b32_e32 v6, 1, v5
	v_and_b32_e32 v5, 0xff, v5
	s_and_b32 vcc_lo, s3, vcc_lo
	s_and_not1_b32 s3, s3, exec_lo
	v_dual_cndmask_b32 v2, v4, v2 :: v_dual_cndmask_b32 v1, v3, v1
	v_cmp_eq_u32_e64 s2, 1, v6
	s_delay_alu instid0(VALU_DEP_1) | instskip(NEXT) | instid1(SALU_CYCLE_1)
	s_and_b32 s2, s2, exec_lo
	s_or_b32 s3, s3, s2
; %bb.190:
	s_or_b32 exec_lo, exec_lo, s6
	v_mov_b32_dpp v6, v5 row_ror:8 row_mask:0xf bank_mask:0xf
	v_mov_b32_dpp v3, v1 row_ror:8 row_mask:0xf bank_mask:0xf
	;; [unrolled: 1-line block ×3, first 2 shown]
	s_mov_b32 s6, exec_lo
	s_delay_alu instid0(VALU_DEP_3) | instskip(NEXT) | instid1(VALU_DEP_1)
	v_and_b32_e32 v7, 1, v6
	v_cmpx_eq_u32_e32 1, v7
; %bb.191:
	v_cndmask_b32_e64 v5, v6, 1, s3
	v_cmp_lt_i64_e32 vcc_lo, v[1:2], v[3:4]
	s_delay_alu instid0(VALU_DEP_2)
	v_and_b32_e32 v6, 1, v5
	v_and_b32_e32 v5, 0xff, v5
	s_and_b32 vcc_lo, s3, vcc_lo
	s_and_not1_b32 s3, s3, exec_lo
	v_dual_cndmask_b32 v2, v4, v2 :: v_dual_cndmask_b32 v1, v3, v1
	v_cmp_eq_u32_e64 s2, 1, v6
	s_delay_alu instid0(VALU_DEP_1) | instskip(NEXT) | instid1(SALU_CYCLE_1)
	s_and_b32 s2, s2, exec_lo
	s_or_b32 s3, s3, s2
; %bb.192:
	s_or_b32 exec_lo, exec_lo, s6
	ds_swizzle_b32 v6, v5 offset:swizzle(BROADCAST,32,15)
	ds_swizzle_b32 v3, v1 offset:swizzle(BROADCAST,32,15)
	;; [unrolled: 1-line block ×3, first 2 shown]
	s_mov_b32 s2, exec_lo
	s_waitcnt lgkmcnt(2)
	v_and_b32_e32 v7, 1, v6
	s_delay_alu instid0(VALU_DEP_1)
	v_cmpx_eq_u32_e32 1, v7
	s_cbranch_execz .LBB553_194
; %bb.193:
	s_waitcnt lgkmcnt(0)
	v_cmp_lt_i64_e32 vcc_lo, v[1:2], v[3:4]
	v_and_b32_e32 v5, 0xff, v6
	s_delay_alu instid0(VALU_DEP_1)
	v_cndmask_b32_e64 v5, v5, 1, s3
	s_and_b32 vcc_lo, s3, vcc_lo
	v_dual_cndmask_b32 v1, v3, v1 :: v_dual_cndmask_b32 v2, v4, v2
.LBB553_194:
	s_or_b32 exec_lo, exec_lo, s2
	s_waitcnt lgkmcnt(1)
	v_mov_b32_e32 v3, 0
	s_mov_b32 s2, exec_lo
	ds_bpermute_b32 v6, v3, v5 offset:124
	ds_bpermute_b32 v1, v3, v1 offset:124
	;; [unrolled: 1-line block ×3, first 2 shown]
	v_mbcnt_lo_u32_b32 v3, -1, 0
	s_delay_alu instid0(VALU_DEP_1)
	v_cmpx_eq_u32_e32 0, v3
	s_cbranch_execz .LBB553_196
; %bb.195:
	s_waitcnt lgkmcnt(3)
	v_lshrrev_b32_e32 v4, 1, v0
	s_delay_alu instid0(VALU_DEP_1)
	v_and_b32_e32 v4, 0x70, v4
	s_waitcnt lgkmcnt(2)
	ds_store_b8 v4, v6
	s_waitcnt lgkmcnt(1)
	ds_store_b64 v4, v[1:2] offset:8
.LBB553_196:
	s_or_b32 exec_lo, exec_lo, s2
	s_delay_alu instid0(SALU_CYCLE_1)
	s_mov_b32 s6, exec_lo
	s_waitcnt lgkmcnt(0)
	s_barrier
	buffer_gl0_inv
	v_cmpx_gt_u32_e32 32, v0
	s_cbranch_execz .LBB553_198
; %bb.197:
	v_and_b32_e32 v6, 7, v3
	s_delay_alu instid0(VALU_DEP_1)
	v_lshlrev_b32_e32 v1, 4, v6
	v_cmp_ne_u32_e32 vcc_lo, 7, v6
	ds_load_u8 v7, v1
	ds_load_b64 v[1:2], v1 offset:8
	v_add_co_ci_u32_e32 v4, vcc_lo, 0, v3, vcc_lo
	v_cmp_gt_u32_e32 vcc_lo, 6, v6
	s_delay_alu instid0(VALU_DEP_2)
	v_lshlrev_b32_e32 v5, 2, v4
	v_cndmask_b32_e64 v10, 0, 1, vcc_lo
	s_waitcnt lgkmcnt(1)
	v_and_b32_e32 v4, 0xff, v7
	v_and_b32_e32 v11, 1, v7
	ds_bpermute_b32 v8, v5, v4
	s_waitcnt lgkmcnt(1)
	ds_bpermute_b32 v4, v5, v1
	ds_bpermute_b32 v5, v5, v2
	v_cmp_eq_u32_e64 s3, 1, v11
	s_waitcnt lgkmcnt(2)
	v_and_b32_e32 v9, 1, v8
	s_waitcnt lgkmcnt(0)
	v_cmp_lt_i64_e64 s2, v[4:5], v[1:2]
	s_delay_alu instid0(VALU_DEP_2) | instskip(SKIP_2) | instid1(VALU_DEP_4)
	v_cmp_eq_u32_e32 vcc_lo, 1, v9
	v_lshlrev_b32_e32 v9, 1, v10
	v_cndmask_b32_e64 v7, v7, 1, vcc_lo
	s_and_b32 vcc_lo, vcc_lo, s2
	v_dual_cndmask_b32 v1, v1, v4 :: v_dual_cndmask_b32 v2, v2, v5
	s_delay_alu instid0(VALU_DEP_2) | instskip(SKIP_2) | instid1(VALU_DEP_4)
	v_cndmask_b32_e64 v7, v8, v7, s3
	v_add_lshl_u32 v8, v9, v3, 2
	v_cmp_gt_u32_e32 vcc_lo, 4, v6
	v_cndmask_b32_e64 v1, v4, v1, s3
	v_cndmask_b32_e64 v2, v5, v2, s3
	v_and_b32_e32 v9, 0xff, v7
	v_and_b32_e32 v10, 1, v7
	v_cndmask_b32_e64 v6, 0, 1, vcc_lo
	ds_bpermute_b32 v4, v8, v1
	ds_bpermute_b32 v5, v8, v2
	;; [unrolled: 1-line block ×3, first 2 shown]
	v_cmp_eq_u32_e64 s3, 1, v10
	s_waitcnt lgkmcnt(1)
	v_cmp_lt_i64_e64 s2, v[4:5], v[1:2]
	s_waitcnt lgkmcnt(0)
	v_and_b32_e32 v8, 1, v9
	s_delay_alu instid0(VALU_DEP_1) | instskip(SKIP_1) | instid1(VALU_DEP_4)
	v_cmp_eq_u32_e32 vcc_lo, 1, v8
	v_cndmask_b32_e64 v7, v7, 1, vcc_lo
	s_and_b32 vcc_lo, vcc_lo, s2
	v_dual_cndmask_b32 v1, v1, v4 :: v_dual_cndmask_b32 v2, v2, v5
	s_delay_alu instid0(VALU_DEP_2) | instskip(NEXT) | instid1(VALU_DEP_2)
	v_cndmask_b32_e64 v7, v9, v7, s3
	v_cndmask_b32_e64 v1, v4, v1, s3
	v_lshlrev_b32_e32 v6, 2, v6
	s_delay_alu instid0(VALU_DEP_4) | instskip(NEXT) | instid1(VALU_DEP_2)
	v_cndmask_b32_e64 v2, v5, v2, s3
	v_add_lshl_u32 v6, v6, v3, 2
	v_and_b32_e32 v3, 0xff, v7
	ds_bpermute_b32 v4, v6, v2
	ds_bpermute_b32 v5, v6, v3
	ds_bpermute_b32 v3, v6, v1
	s_waitcnt lgkmcnt(1)
	v_and_b32_e32 v6, 1, v5
	s_waitcnt lgkmcnt(0)
	v_cmp_lt_i64_e32 vcc_lo, v[3:4], v[1:2]
	s_delay_alu instid0(VALU_DEP_2) | instskip(SKIP_1) | instid1(VALU_DEP_2)
	v_cmp_eq_u32_e64 s2, 1, v6
	v_and_b32_e32 v6, 1, v7
	v_cndmask_b32_e64 v7, v7, 1, s2
	s_and_b32 vcc_lo, s2, vcc_lo
	s_delay_alu instid0(VALU_DEP_2) | instskip(SKIP_1) | instid1(VALU_DEP_2)
	v_cmp_eq_u32_e64 s2, 1, v6
	v_dual_cndmask_b32 v1, v1, v3 :: v_dual_cndmask_b32 v2, v2, v4
	v_cndmask_b32_e64 v5, v5, v7, s2
	s_delay_alu instid0(VALU_DEP_2) | instskip(NEXT) | instid1(VALU_DEP_3)
	v_cndmask_b32_e64 v1, v3, v1, s2
	v_cndmask_b32_e64 v2, v4, v2, s2
	s_delay_alu instid0(VALU_DEP_3)
	v_and_b32_e32 v6, 0xff, v5
.LBB553_198:
	s_or_b32 exec_lo, exec_lo, s6
	s_branch .LBB553_227
.LBB553_199:
                                        ; implicit-def: $vgpr3_vgpr4
                                        ; implicit-def: $vgpr5
                                        ; implicit-def: $sgpr10_sgpr11
.LBB553_200:
	s_and_saveexec_b32 s2, s26
	s_cbranch_execz .LBB553_202
.LBB553_201:
	s_load_b64 s[0:1], s[0:1], 0x38
	s_lshl_b64 s[2:3], s[10:11], 4
	v_mov_b32_e32 v0, 0
	s_waitcnt lgkmcnt(0)
	s_add_u32 s0, s0, s2
	s_addc_u32 s1, s1, s3
	s_clause 0x1
	global_store_b8 v0, v5, s[0:1]
	global_store_b64 v0, v[3:4], s[0:1] offset:8
.LBB553_202:
	s_nop 0
	s_sendmsg sendmsg(MSG_DEALLOC_VGPRS)
	s_endpgm
.LBB553_203:
                                        ; implicit-def: $vgpr1_vgpr2
                                        ; implicit-def: $vgpr6
	s_cbranch_execz .LBB553_227
; %bb.204:
	v_mov_b32_e32 v1, 0
	v_dual_mov_b32 v2, 0 :: v_dual_mov_b32 v7, 0
	s_sub_i32 s2, s14, s4
	s_mov_b32 s3, exec_lo
	v_cmpx_gt_u32_e64 s2, v0
	s_cbranch_execz .LBB553_206
; %bb.205:
	s_lshl_b64 s[6:7], s[4:5], 2
	v_lshlrev_b32_e32 v1, 2, v0
	s_add_u32 s8, s18, s6
	s_addc_u32 s9, s19, s7
	s_add_u32 s6, s16, s6
	s_addc_u32 s7, s17, s7
	s_add_u32 s4, s12, s4
	s_waitcnt lgkmcnt(1)
	global_load_b32 v3, v1, s[6:7]
	s_waitcnt lgkmcnt(0)
	global_load_b32 v4, v1, s[8:9]
	s_addc_u32 s5, s13, 0
	v_add_co_u32 v1, s4, s4, v0
	s_delay_alu instid0(VALU_DEP_1)
	v_add_co_ci_u32_e64 v2, null, s5, 0, s4
	s_waitcnt vmcnt(0)
	v_cmp_ne_u32_e32 vcc_lo, v3, v4
	v_cndmask_b32_e64 v7, 0, 1, vcc_lo
.LBB553_206:
	s_or_b32 exec_lo, exec_lo, s3
	s_waitcnt lgkmcnt(2)
	v_mbcnt_lo_u32_b32 v5, -1, 0
	s_delay_alu instid0(VALU_DEP_2)
	v_and_b32_e32 v6, 0xffff, v7
	v_and_b32_e32 v8, 0xe0, v0
	s_min_u32 s3, s2, 0x100
	s_mov_b32 s4, exec_lo
	v_cmp_ne_u32_e32 vcc_lo, 31, v5
	v_add_nc_u32_e32 v10, 1, v5
	v_sub_nc_u32_e64 v8, s3, v8 clamp
	s_waitcnt lgkmcnt(1)
	v_add_co_ci_u32_e32 v3, vcc_lo, 0, v5, vcc_lo
	s_waitcnt lgkmcnt(0)
	s_delay_alu instid0(VALU_DEP_1)
	v_lshlrev_b32_e32 v4, 2, v3
	ds_bpermute_b32 v9, v4, v6
	ds_bpermute_b32 v3, v4, v1
	ds_bpermute_b32 v4, v4, v2
	v_cmpx_lt_u32_e64 v10, v8
	s_cbranch_execz .LBB553_208
; %bb.207:
	s_waitcnt lgkmcnt(2)
	v_and_b32_e32 v6, 1, v9
	s_waitcnt lgkmcnt(0)
	v_cmp_lt_i64_e32 vcc_lo, v[3:4], v[1:2]
	s_delay_alu instid0(VALU_DEP_2) | instskip(SKIP_1) | instid1(VALU_DEP_2)
	v_cmp_eq_u32_e64 s2, 1, v6
	v_and_b32_e32 v6, 1, v7
	v_cndmask_b32_e64 v7, v7, 1, s2
	s_and_b32 vcc_lo, s2, vcc_lo
	s_delay_alu instid0(VALU_DEP_2) | instskip(SKIP_1) | instid1(VALU_DEP_2)
	v_cmp_eq_u32_e64 s2, 1, v6
	v_dual_cndmask_b32 v1, v1, v3 :: v_dual_cndmask_b32 v2, v2, v4
	v_cndmask_b32_e64 v7, v9, v7, s2
	s_delay_alu instid0(VALU_DEP_2) | instskip(NEXT) | instid1(VALU_DEP_3)
	v_cndmask_b32_e64 v1, v3, v1, s2
	v_cndmask_b32_e64 v2, v4, v2, s2
	s_delay_alu instid0(VALU_DEP_3)
	v_and_b32_e32 v6, 0xff, v7
.LBB553_208:
	s_or_b32 exec_lo, exec_lo, s4
	v_cmp_gt_u32_e32 vcc_lo, 30, v5
	v_add_nc_u32_e32 v10, 2, v5
	s_mov_b32 s4, exec_lo
	s_waitcnt lgkmcnt(1)
	v_cndmask_b32_e64 v3, 0, 1, vcc_lo
	s_delay_alu instid0(VALU_DEP_1) | instskip(SKIP_1) | instid1(VALU_DEP_1)
	v_lshlrev_b32_e32 v3, 1, v3
	s_waitcnt lgkmcnt(0)
	v_add_lshl_u32 v4, v3, v5, 2
	ds_bpermute_b32 v9, v4, v6
	ds_bpermute_b32 v3, v4, v1
	ds_bpermute_b32 v4, v4, v2
	v_cmpx_lt_u32_e64 v10, v8
	s_cbranch_execz .LBB553_210
; %bb.209:
	s_waitcnt lgkmcnt(2)
	v_and_b32_e32 v6, 1, v9
	s_waitcnt lgkmcnt(0)
	v_cmp_lt_i64_e32 vcc_lo, v[3:4], v[1:2]
	s_delay_alu instid0(VALU_DEP_2) | instskip(SKIP_1) | instid1(VALU_DEP_2)
	v_cmp_eq_u32_e64 s2, 1, v6
	v_and_b32_e32 v6, 1, v7
	v_cndmask_b32_e64 v7, v7, 1, s2
	s_and_b32 vcc_lo, s2, vcc_lo
	s_delay_alu instid0(VALU_DEP_2) | instskip(SKIP_1) | instid1(VALU_DEP_2)
	v_cmp_eq_u32_e64 s2, 1, v6
	v_dual_cndmask_b32 v1, v1, v3 :: v_dual_cndmask_b32 v2, v2, v4
	v_cndmask_b32_e64 v7, v9, v7, s2
	s_delay_alu instid0(VALU_DEP_2) | instskip(NEXT) | instid1(VALU_DEP_3)
	v_cndmask_b32_e64 v1, v3, v1, s2
	v_cndmask_b32_e64 v2, v4, v2, s2
	s_delay_alu instid0(VALU_DEP_3)
	v_and_b32_e32 v6, 0xff, v7
.LBB553_210:
	s_or_b32 exec_lo, exec_lo, s4
	v_cmp_gt_u32_e32 vcc_lo, 28, v5
	v_add_nc_u32_e32 v10, 4, v5
	s_mov_b32 s4, exec_lo
	s_waitcnt lgkmcnt(1)
	v_cndmask_b32_e64 v3, 0, 1, vcc_lo
	s_delay_alu instid0(VALU_DEP_1) | instskip(SKIP_1) | instid1(VALU_DEP_1)
	v_lshlrev_b32_e32 v3, 2, v3
	s_waitcnt lgkmcnt(0)
	v_add_lshl_u32 v4, v3, v5, 2
	;; [unrolled: 35-line block ×4, first 2 shown]
	ds_bpermute_b32 v9, v4, v6
	ds_bpermute_b32 v3, v4, v1
	;; [unrolled: 1-line block ×3, first 2 shown]
	v_cmpx_lt_u32_e64 v10, v8
	s_cbranch_execz .LBB553_216
; %bb.215:
	s_waitcnt lgkmcnt(2)
	v_and_b32_e32 v6, 1, v9
	s_waitcnt lgkmcnt(0)
	v_cmp_lt_i64_e32 vcc_lo, v[3:4], v[1:2]
	s_delay_alu instid0(VALU_DEP_2) | instskip(SKIP_1) | instid1(VALU_DEP_2)
	v_cmp_eq_u32_e64 s2, 1, v6
	v_and_b32_e32 v6, 1, v7
	v_cndmask_b32_e64 v7, v7, 1, s2
	s_and_b32 vcc_lo, s2, vcc_lo
	s_delay_alu instid0(VALU_DEP_2) | instskip(SKIP_1) | instid1(VALU_DEP_2)
	v_cmp_eq_u32_e64 s2, 1, v6
	v_dual_cndmask_b32 v1, v1, v3 :: v_dual_cndmask_b32 v2, v2, v4
	v_cndmask_b32_e64 v7, v9, v7, s2
	s_delay_alu instid0(VALU_DEP_2) | instskip(NEXT) | instid1(VALU_DEP_3)
	v_cndmask_b32_e64 v1, v3, v1, s2
	v_cndmask_b32_e64 v2, v4, v2, s2
	s_delay_alu instid0(VALU_DEP_3)
	v_and_b32_e32 v6, 0xff, v7
.LBB553_216:
	s_or_b32 exec_lo, exec_lo, s4
	s_delay_alu instid0(SALU_CYCLE_1)
	s_mov_b32 s2, exec_lo
	v_cmpx_eq_u32_e32 0, v5
	s_cbranch_execz .LBB553_218
; %bb.217:
	s_waitcnt lgkmcnt(1)
	v_lshrrev_b32_e32 v3, 1, v0
	s_delay_alu instid0(VALU_DEP_1)
	v_and_b32_e32 v3, 0x70, v3
	ds_store_b8 v3, v7 offset:512
	ds_store_b64 v3, v[1:2] offset:520
.LBB553_218:
	s_or_b32 exec_lo, exec_lo, s2
	s_delay_alu instid0(SALU_CYCLE_1)
	s_mov_b32 s4, exec_lo
	s_waitcnt lgkmcnt(0)
	s_barrier
	buffer_gl0_inv
	v_cmpx_gt_u32_e32 8, v0
	s_cbranch_execz .LBB553_226
; %bb.219:
	v_lshlrev_b32_e32 v1, 4, v5
	v_and_b32_e32 v8, 7, v5
	s_add_i32 s3, s3, 31
	s_mov_b32 s5, exec_lo
	s_lshr_b32 s3, s3, 5
	ds_load_u8 v7, v1 offset:512
	ds_load_b64 v[1:2], v1 offset:520
	v_cmp_ne_u32_e32 vcc_lo, 7, v8
	v_add_nc_u32_e32 v10, 1, v8
	v_add_co_ci_u32_e32 v3, vcc_lo, 0, v5, vcc_lo
	s_delay_alu instid0(VALU_DEP_1)
	v_lshlrev_b32_e32 v4, 2, v3
	s_waitcnt lgkmcnt(1)
	v_and_b32_e32 v6, 0xff, v7
	s_waitcnt lgkmcnt(0)
	ds_bpermute_b32 v3, v4, v1
	ds_bpermute_b32 v9, v4, v6
	;; [unrolled: 1-line block ×3, first 2 shown]
	v_cmpx_gt_u32_e64 s3, v10
	s_cbranch_execz .LBB553_221
; %bb.220:
	s_waitcnt lgkmcnt(1)
	v_and_b32_e32 v6, 1, v9
	s_waitcnt lgkmcnt(0)
	v_cmp_lt_i64_e32 vcc_lo, v[3:4], v[1:2]
	s_delay_alu instid0(VALU_DEP_2) | instskip(SKIP_1) | instid1(VALU_DEP_2)
	v_cmp_eq_u32_e64 s2, 1, v6
	v_and_b32_e32 v6, 1, v7
	v_cndmask_b32_e64 v7, v7, 1, s2
	s_and_b32 vcc_lo, s2, vcc_lo
	s_delay_alu instid0(VALU_DEP_2) | instskip(SKIP_1) | instid1(VALU_DEP_2)
	v_cmp_eq_u32_e64 s2, 1, v6
	v_dual_cndmask_b32 v1, v1, v3 :: v_dual_cndmask_b32 v2, v2, v4
	v_cndmask_b32_e64 v7, v9, v7, s2
	s_delay_alu instid0(VALU_DEP_2) | instskip(NEXT) | instid1(VALU_DEP_3)
	v_cndmask_b32_e64 v1, v3, v1, s2
	v_cndmask_b32_e64 v2, v4, v2, s2
	s_delay_alu instid0(VALU_DEP_3)
	v_and_b32_e32 v6, 0xff, v7
.LBB553_221:
	s_or_b32 exec_lo, exec_lo, s5
	v_cmp_gt_u32_e32 vcc_lo, 6, v8
	v_add_nc_u32_e32 v10, 2, v8
	s_mov_b32 s5, exec_lo
	s_waitcnt lgkmcnt(2)
	v_cndmask_b32_e64 v3, 0, 1, vcc_lo
	s_delay_alu instid0(VALU_DEP_1) | instskip(SKIP_1) | instid1(VALU_DEP_1)
	v_lshlrev_b32_e32 v3, 1, v3
	s_waitcnt lgkmcnt(0)
	v_add_lshl_u32 v4, v3, v5, 2
	ds_bpermute_b32 v9, v4, v6
	ds_bpermute_b32 v3, v4, v1
	;; [unrolled: 1-line block ×3, first 2 shown]
	v_cmpx_gt_u32_e64 s3, v10
	s_cbranch_execz .LBB553_223
; %bb.222:
	s_waitcnt lgkmcnt(2)
	v_and_b32_e32 v6, 1, v9
	s_waitcnt lgkmcnt(0)
	v_cmp_lt_i64_e32 vcc_lo, v[3:4], v[1:2]
	s_delay_alu instid0(VALU_DEP_2) | instskip(SKIP_1) | instid1(VALU_DEP_2)
	v_cmp_eq_u32_e64 s2, 1, v6
	v_and_b32_e32 v6, 1, v7
	v_cndmask_b32_e64 v7, v7, 1, s2
	s_and_b32 vcc_lo, s2, vcc_lo
	s_delay_alu instid0(VALU_DEP_2) | instskip(SKIP_1) | instid1(VALU_DEP_2)
	v_cmp_eq_u32_e64 s2, 1, v6
	v_dual_cndmask_b32 v1, v1, v3 :: v_dual_cndmask_b32 v2, v2, v4
	v_cndmask_b32_e64 v7, v9, v7, s2
	s_delay_alu instid0(VALU_DEP_2) | instskip(NEXT) | instid1(VALU_DEP_3)
	v_cndmask_b32_e64 v1, v3, v1, s2
	v_cndmask_b32_e64 v2, v4, v2, s2
	s_delay_alu instid0(VALU_DEP_3)
	v_and_b32_e32 v6, 0xff, v7
.LBB553_223:
	s_or_b32 exec_lo, exec_lo, s5
	v_cmp_gt_u32_e32 vcc_lo, 4, v8
	v_add_nc_u32_e32 v8, 4, v8
	s_waitcnt lgkmcnt(1)
	v_cndmask_b32_e64 v3, 0, 1, vcc_lo
	s_delay_alu instid0(VALU_DEP_2) | instskip(NEXT) | instid1(VALU_DEP_2)
	v_cmp_gt_u32_e32 vcc_lo, s3, v8
	v_lshlrev_b32_e32 v3, 2, v3
	s_waitcnt lgkmcnt(0)
	s_delay_alu instid0(VALU_DEP_1)
	v_add_lshl_u32 v4, v3, v5, 2
	ds_bpermute_b32 v5, v4, v6
	ds_bpermute_b32 v3, v4, v1
	;; [unrolled: 1-line block ×3, first 2 shown]
	s_and_saveexec_b32 s3, vcc_lo
	s_cbranch_execz .LBB553_225
; %bb.224:
	s_waitcnt lgkmcnt(2)
	v_and_b32_e32 v6, 1, v5
	s_waitcnt lgkmcnt(0)
	v_cmp_lt_i64_e32 vcc_lo, v[3:4], v[1:2]
	s_delay_alu instid0(VALU_DEP_2) | instskip(SKIP_1) | instid1(VALU_DEP_2)
	v_cmp_eq_u32_e64 s2, 1, v6
	v_and_b32_e32 v6, 1, v7
	v_cndmask_b32_e64 v7, v7, 1, s2
	s_and_b32 vcc_lo, s2, vcc_lo
	s_delay_alu instid0(VALU_DEP_2) | instskip(SKIP_1) | instid1(VALU_DEP_2)
	v_cmp_eq_u32_e64 s2, 1, v6
	v_dual_cndmask_b32 v1, v1, v3 :: v_dual_cndmask_b32 v2, v2, v4
	v_cndmask_b32_e64 v5, v5, v7, s2
	s_delay_alu instid0(VALU_DEP_2) | instskip(NEXT) | instid1(VALU_DEP_3)
	v_cndmask_b32_e64 v1, v3, v1, s2
	v_cndmask_b32_e64 v2, v4, v2, s2
	s_delay_alu instid0(VALU_DEP_3)
	v_and_b32_e32 v6, 0xff, v5
.LBB553_225:
	s_or_b32 exec_lo, exec_lo, s3
.LBB553_226:
	s_delay_alu instid0(SALU_CYCLE_1)
	s_or_b32 exec_lo, exec_lo, s4
.LBB553_227:
	s_delay_alu instid0(SALU_CYCLE_1)
	s_mov_b32 s4, exec_lo
                                        ; implicit-def: $vgpr3_vgpr4
                                        ; implicit-def: $vgpr5
	v_cmpx_eq_u32_e32 0, v0
	s_cbranch_execz .LBB553_231
; %bb.228:
	s_waitcnt lgkmcnt(0)
	v_dual_mov_b32 v3, s20 :: v_dual_mov_b32 v4, s21
	v_mov_b32_e32 v5, s24
	s_cmp_eq_u64 s[14:15], 0
	s_cbranch_scc1 .LBB553_230
; %bb.229:
	v_and_b32_e32 v0, 1, v6
	v_cmp_gt_i64_e32 vcc_lo, s[20:21], v[1:2]
	s_bitcmp1_b32 s24, 0
	s_cselect_b32 s3, -1, 0
	s_delay_alu instid0(VALU_DEP_2) | instskip(NEXT) | instid1(VALU_DEP_1)
	v_cmp_eq_u32_e64 s2, 1, v0
	s_and_b32 vcc_lo, s2, vcc_lo
	v_cndmask_b32_e64 v0, s24, 1, s2
	v_cndmask_b32_e32 v3, s20, v1, vcc_lo
	v_cndmask_b32_e32 v4, s21, v2, vcc_lo
	s_delay_alu instid0(VALU_DEP_3) | instskip(NEXT) | instid1(VALU_DEP_3)
	v_cndmask_b32_e64 v5, v6, v0, s3
	v_cndmask_b32_e64 v3, v1, v3, s3
	s_delay_alu instid0(VALU_DEP_3)
	v_cndmask_b32_e64 v4, v2, v4, s3
.LBB553_230:
	s_or_b32 s26, s26, exec_lo
.LBB553_231:
	s_or_b32 exec_lo, exec_lo, s4
	s_and_saveexec_b32 s2, s26
	s_cbranch_execnz .LBB553_201
	s_branch .LBB553_202
.LBB553_232:
	v_lshlrev_b32_e32 v3, 2, v25
	s_clause 0x1
	global_load_b32 v18, v3, s[8:9]
	global_load_b32 v26, v3, s[22:23]
	v_add_co_u32 v3, s8, s26, v25
	s_delay_alu instid0(VALU_DEP_1) | instskip(SKIP_2) | instid1(VALU_DEP_1)
	v_add_co_ci_u32_e64 v4, null, s28, 0, s8
	s_waitcnt vmcnt(0)
	v_cmp_ne_u32_e64 s8, v18, v26
	v_cndmask_b32_e64 v18, 0, 1, s8
	s_or_b32 exec_lo, exec_lo, s30
	s_and_saveexec_b32 s9, s7
	s_cbranch_execz .LBB553_57
.LBB553_233:
	v_and_b32_e32 v25, 1, v21
	v_cmp_lt_i64_e64 s7, v[9:10], v[1:2]
	s_delay_alu instid0(VALU_DEP_2) | instskip(SKIP_1) | instid1(VALU_DEP_2)
	v_cmp_eq_u32_e64 s8, 1, v25
	v_and_b32_e32 v25, 1, v17
	s_and_b32 s7, s8, s7
	v_cndmask_b32_e64 v17, v17, 1, s8
	v_cndmask_b32_e64 v1, v1, v9, s7
	;; [unrolled: 1-line block ×3, first 2 shown]
	v_cmp_eq_u32_e64 s7, 1, v25
	s_delay_alu instid0(VALU_DEP_1) | instskip(NEXT) | instid1(VALU_DEP_3)
	v_cndmask_b32_e64 v17, v21, v17, s7
	v_cndmask_b32_e64 v2, v10, v2, s7
	;; [unrolled: 1-line block ×3, first 2 shown]
	s_or_b32 exec_lo, exec_lo, s9
	s_and_saveexec_b32 s8, s6
	s_cbranch_execz .LBB553_58
.LBB553_234:
	v_and_b32_e32 v9, 1, v24
	v_cmp_lt_i64_e64 s6, v[15:16], v[1:2]
	s_delay_alu instid0(VALU_DEP_2) | instskip(SKIP_1) | instid1(VALU_DEP_2)
	v_cmp_eq_u32_e64 s7, 1, v9
	v_and_b32_e32 v9, 1, v17
	s_and_b32 s6, s7, s6
	v_cndmask_b32_e64 v10, v17, 1, s7
	v_cndmask_b32_e64 v1, v1, v15, s6
	;; [unrolled: 1-line block ×3, first 2 shown]
	v_cmp_eq_u32_e64 s6, 1, v9
	s_delay_alu instid0(VALU_DEP_1) | instskip(NEXT) | instid1(VALU_DEP_3)
	v_cndmask_b32_e64 v17, v24, v10, s6
	v_cndmask_b32_e64 v2, v16, v2, s6
	v_cndmask_b32_e64 v1, v15, v1, s6
	s_or_b32 exec_lo, exec_lo, s8
	s_and_saveexec_b32 s7, s5
	s_cbranch_execz .LBB553_59
.LBB553_235:
	v_and_b32_e32 v9, 1, v20
	v_cmp_lt_i64_e64 s5, v[7:8], v[1:2]
	s_delay_alu instid0(VALU_DEP_2) | instskip(SKIP_1) | instid1(VALU_DEP_2)
	v_cmp_eq_u32_e64 s6, 1, v9
	v_and_b32_e32 v9, 1, v17
	s_and_b32 s5, s6, s5
	v_cndmask_b32_e64 v10, v17, 1, s6
	v_cndmask_b32_e64 v1, v1, v7, s5
	;; [unrolled: 1-line block ×3, first 2 shown]
	v_cmp_eq_u32_e64 s5, 1, v9
	s_delay_alu instid0(VALU_DEP_1) | instskip(NEXT) | instid1(VALU_DEP_3)
	v_cndmask_b32_e64 v17, v20, v10, s5
	v_cndmask_b32_e64 v2, v8, v2, s5
	;; [unrolled: 1-line block ×3, first 2 shown]
	s_or_b32 exec_lo, exec_lo, s7
	s_and_saveexec_b32 s6, s4
	s_cbranch_execz .LBB553_60
.LBB553_236:
	v_and_b32_e32 v7, 1, v23
	v_cmp_lt_i64_e64 s4, v[13:14], v[1:2]
	s_delay_alu instid0(VALU_DEP_2) | instskip(SKIP_1) | instid1(VALU_DEP_2)
	v_cmp_eq_u32_e64 s5, 1, v7
	v_and_b32_e32 v7, 1, v17
	s_and_b32 s4, s5, s4
	v_cndmask_b32_e64 v8, v17, 1, s5
	v_cndmask_b32_e64 v1, v1, v13, s4
	;; [unrolled: 1-line block ×3, first 2 shown]
	v_cmp_eq_u32_e64 s4, 1, v7
	s_delay_alu instid0(VALU_DEP_1) | instskip(NEXT) | instid1(VALU_DEP_3)
	v_cndmask_b32_e64 v17, v23, v8, s4
	v_cndmask_b32_e64 v2, v14, v2, s4
	;; [unrolled: 1-line block ×3, first 2 shown]
	s_or_b32 exec_lo, exec_lo, s6
	s_and_saveexec_b32 s5, s3
	s_cbranch_execz .LBB553_61
.LBB553_237:
	v_and_b32_e32 v7, 1, v19
	v_cmp_lt_i64_e64 s3, v[5:6], v[1:2]
	s_delay_alu instid0(VALU_DEP_2) | instskip(SKIP_1) | instid1(VALU_DEP_2)
	v_cmp_eq_u32_e64 s4, 1, v7
	v_and_b32_e32 v7, 1, v17
	s_and_b32 s3, s4, s3
	v_cndmask_b32_e64 v8, v17, 1, s4
	v_cndmask_b32_e64 v1, v1, v5, s3
	;; [unrolled: 1-line block ×3, first 2 shown]
	v_cmp_eq_u32_e64 s3, 1, v7
	s_delay_alu instid0(VALU_DEP_1) | instskip(NEXT) | instid1(VALU_DEP_3)
	v_cndmask_b32_e64 v17, v19, v8, s3
	v_cndmask_b32_e64 v2, v6, v2, s3
	;; [unrolled: 1-line block ×3, first 2 shown]
	s_or_b32 exec_lo, exec_lo, s5
	s_and_saveexec_b32 s4, s2
	s_cbranch_execz .LBB553_62
.LBB553_238:
	v_and_b32_e32 v5, 1, v22
	v_cmp_lt_i64_e64 s2, v[11:12], v[1:2]
	s_delay_alu instid0(VALU_DEP_2) | instskip(SKIP_1) | instid1(VALU_DEP_2)
	v_cmp_eq_u32_e64 s3, 1, v5
	v_and_b32_e32 v5, 1, v17
	s_and_b32 s2, s3, s2
	v_cndmask_b32_e64 v6, v17, 1, s3
	v_cndmask_b32_e64 v1, v1, v11, s2
	v_cndmask_b32_e64 v2, v2, v12, s2
	v_cmp_eq_u32_e64 s2, 1, v5
	s_delay_alu instid0(VALU_DEP_1) | instskip(NEXT) | instid1(VALU_DEP_3)
	v_cndmask_b32_e64 v17, v22, v6, s2
	v_cndmask_b32_e64 v2, v12, v2, s2
	;; [unrolled: 1-line block ×3, first 2 shown]
	s_or_b32 exec_lo, exec_lo, s4
	s_and_saveexec_b32 s3, vcc_lo
	s_cbranch_execnz .LBB553_63
	s_branch .LBB553_64
.LBB553_239:
	v_lshlrev_b32_e32 v3, 2, v0
	s_clause 0x1
	global_load_b32 v10, v3, s[6:7] offset:3072
	global_load_b32 v14, v3, s[8:9] offset:3072
	v_add_co_u32 v3, s4, s5, v13
	s_delay_alu instid0(VALU_DEP_1) | instskip(SKIP_2) | instid1(VALU_DEP_1)
	v_add_co_ci_u32_e64 v4, null, s23, 0, s4
	s_waitcnt vmcnt(0)
	v_cmp_ne_u32_e64 s4, v10, v14
	v_cndmask_b32_e64 v10, 0, 1, s4
	s_or_b32 exec_lo, exec_lo, s27
	s_and_saveexec_b32 s5, s3
	s_cbranch_execz .LBB553_100
.LBB553_240:
	v_and_b32_e32 v13, 1, v11
	v_cmp_lt_i64_e64 s3, v[5:6], v[1:2]
	s_delay_alu instid0(VALU_DEP_2) | instskip(SKIP_1) | instid1(VALU_DEP_2)
	v_cmp_eq_u32_e64 s4, 1, v13
	v_and_b32_e32 v13, 1, v9
	s_and_b32 s3, s4, s3
	v_cndmask_b32_e64 v9, v9, 1, s4
	v_cndmask_b32_e64 v1, v1, v5, s3
	;; [unrolled: 1-line block ×3, first 2 shown]
	v_cmp_eq_u32_e64 s3, 1, v13
	s_delay_alu instid0(VALU_DEP_1) | instskip(NEXT) | instid1(VALU_DEP_3)
	v_cndmask_b32_e64 v9, v11, v9, s3
	v_cndmask_b32_e64 v2, v6, v2, s3
	v_cndmask_b32_e64 v1, v5, v1, s3
	s_or_b32 exec_lo, exec_lo, s5
	s_and_saveexec_b32 s4, s2
	s_cbranch_execz .LBB553_101
.LBB553_241:
	v_and_b32_e32 v5, 1, v12
	v_cmp_lt_i64_e64 s2, v[7:8], v[1:2]
	s_delay_alu instid0(VALU_DEP_2) | instskip(SKIP_1) | instid1(VALU_DEP_2)
	v_cmp_eq_u32_e64 s3, 1, v5
	v_and_b32_e32 v5, 1, v9
	s_and_b32 s2, s3, s2
	v_cndmask_b32_e64 v6, v9, 1, s3
	v_cndmask_b32_e64 v1, v1, v7, s2
	;; [unrolled: 1-line block ×3, first 2 shown]
	v_cmp_eq_u32_e64 s2, 1, v5
	s_delay_alu instid0(VALU_DEP_1) | instskip(NEXT) | instid1(VALU_DEP_3)
	v_cndmask_b32_e64 v9, v12, v6, s2
	v_cndmask_b32_e64 v2, v8, v2, s2
	;; [unrolled: 1-line block ×3, first 2 shown]
	s_or_b32 exec_lo, exec_lo, s4
	s_and_saveexec_b32 s3, vcc_lo
	s_cbranch_execnz .LBB553_102
	s_branch .LBB553_103
	.section	.rodata,"a",@progbits
	.p2align	6, 0x0
	.amdhsa_kernel _ZN7rocprim17ROCPRIM_400000_NS6detail17trampoline_kernelINS0_14default_configENS1_22reduce_config_selectorIN6thrust23THRUST_200600_302600_NS5tupleIblNS6_9null_typeES8_S8_S8_S8_S8_S8_S8_EEEEZNS1_11reduce_implILb1ES3_NS6_12zip_iteratorINS7_INS6_11hip_rocprim26transform_input_iterator_tIbNSD_35transform_pair_of_input_iterators_tIbNS6_6detail15normal_iteratorINS6_10device_ptrIKiEEEESL_NS6_8equal_toIiEEEENSG_9not_fun_tINSD_8identityEEEEENSD_19counting_iterator_tIlEES8_S8_S8_S8_S8_S8_S8_S8_EEEEPS9_S9_NSD_9__find_if7functorIS9_EEEE10hipError_tPvRmT1_T2_T3_mT4_P12ihipStream_tbEUlT_E1_NS1_11comp_targetILNS1_3genE9ELNS1_11target_archE1100ELNS1_3gpuE3ELNS1_3repE0EEENS1_30default_config_static_selectorELNS0_4arch9wavefront6targetE0EEEvS14_
		.amdhsa_group_segment_fixed_size 640
		.amdhsa_private_segment_fixed_size 0
		.amdhsa_kernarg_size 88
		.amdhsa_user_sgpr_count 15
		.amdhsa_user_sgpr_dispatch_ptr 0
		.amdhsa_user_sgpr_queue_ptr 0
		.amdhsa_user_sgpr_kernarg_segment_ptr 1
		.amdhsa_user_sgpr_dispatch_id 0
		.amdhsa_user_sgpr_private_segment_size 0
		.amdhsa_wavefront_size32 1
		.amdhsa_uses_dynamic_stack 0
		.amdhsa_enable_private_segment 0
		.amdhsa_system_sgpr_workgroup_id_x 1
		.amdhsa_system_sgpr_workgroup_id_y 0
		.amdhsa_system_sgpr_workgroup_id_z 0
		.amdhsa_system_sgpr_workgroup_info 0
		.amdhsa_system_vgpr_workitem_id 0
		.amdhsa_next_free_vgpr 27
		.amdhsa_next_free_sgpr 32
		.amdhsa_reserve_vcc 1
		.amdhsa_float_round_mode_32 0
		.amdhsa_float_round_mode_16_64 0
		.amdhsa_float_denorm_mode_32 3
		.amdhsa_float_denorm_mode_16_64 3
		.amdhsa_dx10_clamp 1
		.amdhsa_ieee_mode 1
		.amdhsa_fp16_overflow 0
		.amdhsa_workgroup_processor_mode 1
		.amdhsa_memory_ordered 1
		.amdhsa_forward_progress 0
		.amdhsa_shared_vgpr_count 0
		.amdhsa_exception_fp_ieee_invalid_op 0
		.amdhsa_exception_fp_denorm_src 0
		.amdhsa_exception_fp_ieee_div_zero 0
		.amdhsa_exception_fp_ieee_overflow 0
		.amdhsa_exception_fp_ieee_underflow 0
		.amdhsa_exception_fp_ieee_inexact 0
		.amdhsa_exception_int_div_zero 0
	.end_amdhsa_kernel
	.section	.text._ZN7rocprim17ROCPRIM_400000_NS6detail17trampoline_kernelINS0_14default_configENS1_22reduce_config_selectorIN6thrust23THRUST_200600_302600_NS5tupleIblNS6_9null_typeES8_S8_S8_S8_S8_S8_S8_EEEEZNS1_11reduce_implILb1ES3_NS6_12zip_iteratorINS7_INS6_11hip_rocprim26transform_input_iterator_tIbNSD_35transform_pair_of_input_iterators_tIbNS6_6detail15normal_iteratorINS6_10device_ptrIKiEEEESL_NS6_8equal_toIiEEEENSG_9not_fun_tINSD_8identityEEEEENSD_19counting_iterator_tIlEES8_S8_S8_S8_S8_S8_S8_S8_EEEEPS9_S9_NSD_9__find_if7functorIS9_EEEE10hipError_tPvRmT1_T2_T3_mT4_P12ihipStream_tbEUlT_E1_NS1_11comp_targetILNS1_3genE9ELNS1_11target_archE1100ELNS1_3gpuE3ELNS1_3repE0EEENS1_30default_config_static_selectorELNS0_4arch9wavefront6targetE0EEEvS14_,"axG",@progbits,_ZN7rocprim17ROCPRIM_400000_NS6detail17trampoline_kernelINS0_14default_configENS1_22reduce_config_selectorIN6thrust23THRUST_200600_302600_NS5tupleIblNS6_9null_typeES8_S8_S8_S8_S8_S8_S8_EEEEZNS1_11reduce_implILb1ES3_NS6_12zip_iteratorINS7_INS6_11hip_rocprim26transform_input_iterator_tIbNSD_35transform_pair_of_input_iterators_tIbNS6_6detail15normal_iteratorINS6_10device_ptrIKiEEEESL_NS6_8equal_toIiEEEENSG_9not_fun_tINSD_8identityEEEEENSD_19counting_iterator_tIlEES8_S8_S8_S8_S8_S8_S8_S8_EEEEPS9_S9_NSD_9__find_if7functorIS9_EEEE10hipError_tPvRmT1_T2_T3_mT4_P12ihipStream_tbEUlT_E1_NS1_11comp_targetILNS1_3genE9ELNS1_11target_archE1100ELNS1_3gpuE3ELNS1_3repE0EEENS1_30default_config_static_selectorELNS0_4arch9wavefront6targetE0EEEvS14_,comdat
.Lfunc_end553:
	.size	_ZN7rocprim17ROCPRIM_400000_NS6detail17trampoline_kernelINS0_14default_configENS1_22reduce_config_selectorIN6thrust23THRUST_200600_302600_NS5tupleIblNS6_9null_typeES8_S8_S8_S8_S8_S8_S8_EEEEZNS1_11reduce_implILb1ES3_NS6_12zip_iteratorINS7_INS6_11hip_rocprim26transform_input_iterator_tIbNSD_35transform_pair_of_input_iterators_tIbNS6_6detail15normal_iteratorINS6_10device_ptrIKiEEEESL_NS6_8equal_toIiEEEENSG_9not_fun_tINSD_8identityEEEEENSD_19counting_iterator_tIlEES8_S8_S8_S8_S8_S8_S8_S8_EEEEPS9_S9_NSD_9__find_if7functorIS9_EEEE10hipError_tPvRmT1_T2_T3_mT4_P12ihipStream_tbEUlT_E1_NS1_11comp_targetILNS1_3genE9ELNS1_11target_archE1100ELNS1_3gpuE3ELNS1_3repE0EEENS1_30default_config_static_selectorELNS0_4arch9wavefront6targetE0EEEvS14_, .Lfunc_end553-_ZN7rocprim17ROCPRIM_400000_NS6detail17trampoline_kernelINS0_14default_configENS1_22reduce_config_selectorIN6thrust23THRUST_200600_302600_NS5tupleIblNS6_9null_typeES8_S8_S8_S8_S8_S8_S8_EEEEZNS1_11reduce_implILb1ES3_NS6_12zip_iteratorINS7_INS6_11hip_rocprim26transform_input_iterator_tIbNSD_35transform_pair_of_input_iterators_tIbNS6_6detail15normal_iteratorINS6_10device_ptrIKiEEEESL_NS6_8equal_toIiEEEENSG_9not_fun_tINSD_8identityEEEEENSD_19counting_iterator_tIlEES8_S8_S8_S8_S8_S8_S8_S8_EEEEPS9_S9_NSD_9__find_if7functorIS9_EEEE10hipError_tPvRmT1_T2_T3_mT4_P12ihipStream_tbEUlT_E1_NS1_11comp_targetILNS1_3genE9ELNS1_11target_archE1100ELNS1_3gpuE3ELNS1_3repE0EEENS1_30default_config_static_selectorELNS0_4arch9wavefront6targetE0EEEvS14_
                                        ; -- End function
	.section	.AMDGPU.csdata,"",@progbits
; Kernel info:
; codeLenInByte = 15968
; NumSgprs: 34
; NumVgprs: 27
; ScratchSize: 0
; MemoryBound: 0
; FloatMode: 240
; IeeeMode: 1
; LDSByteSize: 640 bytes/workgroup (compile time only)
; SGPRBlocks: 4
; VGPRBlocks: 3
; NumSGPRsForWavesPerEU: 34
; NumVGPRsForWavesPerEU: 27
; Occupancy: 16
; WaveLimiterHint : 0
; COMPUTE_PGM_RSRC2:SCRATCH_EN: 0
; COMPUTE_PGM_RSRC2:USER_SGPR: 15
; COMPUTE_PGM_RSRC2:TRAP_HANDLER: 0
; COMPUTE_PGM_RSRC2:TGID_X_EN: 1
; COMPUTE_PGM_RSRC2:TGID_Y_EN: 0
; COMPUTE_PGM_RSRC2:TGID_Z_EN: 0
; COMPUTE_PGM_RSRC2:TIDIG_COMP_CNT: 0
	.section	.text._ZN7rocprim17ROCPRIM_400000_NS6detail17trampoline_kernelINS0_14default_configENS1_22reduce_config_selectorIN6thrust23THRUST_200600_302600_NS5tupleIblNS6_9null_typeES8_S8_S8_S8_S8_S8_S8_EEEEZNS1_11reduce_implILb1ES3_NS6_12zip_iteratorINS7_INS6_11hip_rocprim26transform_input_iterator_tIbNSD_35transform_pair_of_input_iterators_tIbNS6_6detail15normal_iteratorINS6_10device_ptrIKiEEEESL_NS6_8equal_toIiEEEENSG_9not_fun_tINSD_8identityEEEEENSD_19counting_iterator_tIlEES8_S8_S8_S8_S8_S8_S8_S8_EEEEPS9_S9_NSD_9__find_if7functorIS9_EEEE10hipError_tPvRmT1_T2_T3_mT4_P12ihipStream_tbEUlT_E1_NS1_11comp_targetILNS1_3genE8ELNS1_11target_archE1030ELNS1_3gpuE2ELNS1_3repE0EEENS1_30default_config_static_selectorELNS0_4arch9wavefront6targetE0EEEvS14_,"axG",@progbits,_ZN7rocprim17ROCPRIM_400000_NS6detail17trampoline_kernelINS0_14default_configENS1_22reduce_config_selectorIN6thrust23THRUST_200600_302600_NS5tupleIblNS6_9null_typeES8_S8_S8_S8_S8_S8_S8_EEEEZNS1_11reduce_implILb1ES3_NS6_12zip_iteratorINS7_INS6_11hip_rocprim26transform_input_iterator_tIbNSD_35transform_pair_of_input_iterators_tIbNS6_6detail15normal_iteratorINS6_10device_ptrIKiEEEESL_NS6_8equal_toIiEEEENSG_9not_fun_tINSD_8identityEEEEENSD_19counting_iterator_tIlEES8_S8_S8_S8_S8_S8_S8_S8_EEEEPS9_S9_NSD_9__find_if7functorIS9_EEEE10hipError_tPvRmT1_T2_T3_mT4_P12ihipStream_tbEUlT_E1_NS1_11comp_targetILNS1_3genE8ELNS1_11target_archE1030ELNS1_3gpuE2ELNS1_3repE0EEENS1_30default_config_static_selectorELNS0_4arch9wavefront6targetE0EEEvS14_,comdat
	.protected	_ZN7rocprim17ROCPRIM_400000_NS6detail17trampoline_kernelINS0_14default_configENS1_22reduce_config_selectorIN6thrust23THRUST_200600_302600_NS5tupleIblNS6_9null_typeES8_S8_S8_S8_S8_S8_S8_EEEEZNS1_11reduce_implILb1ES3_NS6_12zip_iteratorINS7_INS6_11hip_rocprim26transform_input_iterator_tIbNSD_35transform_pair_of_input_iterators_tIbNS6_6detail15normal_iteratorINS6_10device_ptrIKiEEEESL_NS6_8equal_toIiEEEENSG_9not_fun_tINSD_8identityEEEEENSD_19counting_iterator_tIlEES8_S8_S8_S8_S8_S8_S8_S8_EEEEPS9_S9_NSD_9__find_if7functorIS9_EEEE10hipError_tPvRmT1_T2_T3_mT4_P12ihipStream_tbEUlT_E1_NS1_11comp_targetILNS1_3genE8ELNS1_11target_archE1030ELNS1_3gpuE2ELNS1_3repE0EEENS1_30default_config_static_selectorELNS0_4arch9wavefront6targetE0EEEvS14_ ; -- Begin function _ZN7rocprim17ROCPRIM_400000_NS6detail17trampoline_kernelINS0_14default_configENS1_22reduce_config_selectorIN6thrust23THRUST_200600_302600_NS5tupleIblNS6_9null_typeES8_S8_S8_S8_S8_S8_S8_EEEEZNS1_11reduce_implILb1ES3_NS6_12zip_iteratorINS7_INS6_11hip_rocprim26transform_input_iterator_tIbNSD_35transform_pair_of_input_iterators_tIbNS6_6detail15normal_iteratorINS6_10device_ptrIKiEEEESL_NS6_8equal_toIiEEEENSG_9not_fun_tINSD_8identityEEEEENSD_19counting_iterator_tIlEES8_S8_S8_S8_S8_S8_S8_S8_EEEEPS9_S9_NSD_9__find_if7functorIS9_EEEE10hipError_tPvRmT1_T2_T3_mT4_P12ihipStream_tbEUlT_E1_NS1_11comp_targetILNS1_3genE8ELNS1_11target_archE1030ELNS1_3gpuE2ELNS1_3repE0EEENS1_30default_config_static_selectorELNS0_4arch9wavefront6targetE0EEEvS14_
	.globl	_ZN7rocprim17ROCPRIM_400000_NS6detail17trampoline_kernelINS0_14default_configENS1_22reduce_config_selectorIN6thrust23THRUST_200600_302600_NS5tupleIblNS6_9null_typeES8_S8_S8_S8_S8_S8_S8_EEEEZNS1_11reduce_implILb1ES3_NS6_12zip_iteratorINS7_INS6_11hip_rocprim26transform_input_iterator_tIbNSD_35transform_pair_of_input_iterators_tIbNS6_6detail15normal_iteratorINS6_10device_ptrIKiEEEESL_NS6_8equal_toIiEEEENSG_9not_fun_tINSD_8identityEEEEENSD_19counting_iterator_tIlEES8_S8_S8_S8_S8_S8_S8_S8_EEEEPS9_S9_NSD_9__find_if7functorIS9_EEEE10hipError_tPvRmT1_T2_T3_mT4_P12ihipStream_tbEUlT_E1_NS1_11comp_targetILNS1_3genE8ELNS1_11target_archE1030ELNS1_3gpuE2ELNS1_3repE0EEENS1_30default_config_static_selectorELNS0_4arch9wavefront6targetE0EEEvS14_
	.p2align	8
	.type	_ZN7rocprim17ROCPRIM_400000_NS6detail17trampoline_kernelINS0_14default_configENS1_22reduce_config_selectorIN6thrust23THRUST_200600_302600_NS5tupleIblNS6_9null_typeES8_S8_S8_S8_S8_S8_S8_EEEEZNS1_11reduce_implILb1ES3_NS6_12zip_iteratorINS7_INS6_11hip_rocprim26transform_input_iterator_tIbNSD_35transform_pair_of_input_iterators_tIbNS6_6detail15normal_iteratorINS6_10device_ptrIKiEEEESL_NS6_8equal_toIiEEEENSG_9not_fun_tINSD_8identityEEEEENSD_19counting_iterator_tIlEES8_S8_S8_S8_S8_S8_S8_S8_EEEEPS9_S9_NSD_9__find_if7functorIS9_EEEE10hipError_tPvRmT1_T2_T3_mT4_P12ihipStream_tbEUlT_E1_NS1_11comp_targetILNS1_3genE8ELNS1_11target_archE1030ELNS1_3gpuE2ELNS1_3repE0EEENS1_30default_config_static_selectorELNS0_4arch9wavefront6targetE0EEEvS14_,@function
_ZN7rocprim17ROCPRIM_400000_NS6detail17trampoline_kernelINS0_14default_configENS1_22reduce_config_selectorIN6thrust23THRUST_200600_302600_NS5tupleIblNS6_9null_typeES8_S8_S8_S8_S8_S8_S8_EEEEZNS1_11reduce_implILb1ES3_NS6_12zip_iteratorINS7_INS6_11hip_rocprim26transform_input_iterator_tIbNSD_35transform_pair_of_input_iterators_tIbNS6_6detail15normal_iteratorINS6_10device_ptrIKiEEEESL_NS6_8equal_toIiEEEENSG_9not_fun_tINSD_8identityEEEEENSD_19counting_iterator_tIlEES8_S8_S8_S8_S8_S8_S8_S8_EEEEPS9_S9_NSD_9__find_if7functorIS9_EEEE10hipError_tPvRmT1_T2_T3_mT4_P12ihipStream_tbEUlT_E1_NS1_11comp_targetILNS1_3genE8ELNS1_11target_archE1030ELNS1_3gpuE2ELNS1_3repE0EEENS1_30default_config_static_selectorELNS0_4arch9wavefront6targetE0EEEvS14_: ; @_ZN7rocprim17ROCPRIM_400000_NS6detail17trampoline_kernelINS0_14default_configENS1_22reduce_config_selectorIN6thrust23THRUST_200600_302600_NS5tupleIblNS6_9null_typeES8_S8_S8_S8_S8_S8_S8_EEEEZNS1_11reduce_implILb1ES3_NS6_12zip_iteratorINS7_INS6_11hip_rocprim26transform_input_iterator_tIbNSD_35transform_pair_of_input_iterators_tIbNS6_6detail15normal_iteratorINS6_10device_ptrIKiEEEESL_NS6_8equal_toIiEEEENSG_9not_fun_tINSD_8identityEEEEENSD_19counting_iterator_tIlEES8_S8_S8_S8_S8_S8_S8_S8_EEEEPS9_S9_NSD_9__find_if7functorIS9_EEEE10hipError_tPvRmT1_T2_T3_mT4_P12ihipStream_tbEUlT_E1_NS1_11comp_targetILNS1_3genE8ELNS1_11target_archE1030ELNS1_3gpuE2ELNS1_3repE0EEENS1_30default_config_static_selectorELNS0_4arch9wavefront6targetE0EEEvS14_
; %bb.0:
	.section	.rodata,"a",@progbits
	.p2align	6, 0x0
	.amdhsa_kernel _ZN7rocprim17ROCPRIM_400000_NS6detail17trampoline_kernelINS0_14default_configENS1_22reduce_config_selectorIN6thrust23THRUST_200600_302600_NS5tupleIblNS6_9null_typeES8_S8_S8_S8_S8_S8_S8_EEEEZNS1_11reduce_implILb1ES3_NS6_12zip_iteratorINS7_INS6_11hip_rocprim26transform_input_iterator_tIbNSD_35transform_pair_of_input_iterators_tIbNS6_6detail15normal_iteratorINS6_10device_ptrIKiEEEESL_NS6_8equal_toIiEEEENSG_9not_fun_tINSD_8identityEEEEENSD_19counting_iterator_tIlEES8_S8_S8_S8_S8_S8_S8_S8_EEEEPS9_S9_NSD_9__find_if7functorIS9_EEEE10hipError_tPvRmT1_T2_T3_mT4_P12ihipStream_tbEUlT_E1_NS1_11comp_targetILNS1_3genE8ELNS1_11target_archE1030ELNS1_3gpuE2ELNS1_3repE0EEENS1_30default_config_static_selectorELNS0_4arch9wavefront6targetE0EEEvS14_
		.amdhsa_group_segment_fixed_size 0
		.amdhsa_private_segment_fixed_size 0
		.amdhsa_kernarg_size 88
		.amdhsa_user_sgpr_count 15
		.amdhsa_user_sgpr_dispatch_ptr 0
		.amdhsa_user_sgpr_queue_ptr 0
		.amdhsa_user_sgpr_kernarg_segment_ptr 1
		.amdhsa_user_sgpr_dispatch_id 0
		.amdhsa_user_sgpr_private_segment_size 0
		.amdhsa_wavefront_size32 1
		.amdhsa_uses_dynamic_stack 0
		.amdhsa_enable_private_segment 0
		.amdhsa_system_sgpr_workgroup_id_x 1
		.amdhsa_system_sgpr_workgroup_id_y 0
		.amdhsa_system_sgpr_workgroup_id_z 0
		.amdhsa_system_sgpr_workgroup_info 0
		.amdhsa_system_vgpr_workitem_id 0
		.amdhsa_next_free_vgpr 1
		.amdhsa_next_free_sgpr 1
		.amdhsa_reserve_vcc 0
		.amdhsa_float_round_mode_32 0
		.amdhsa_float_round_mode_16_64 0
		.amdhsa_float_denorm_mode_32 3
		.amdhsa_float_denorm_mode_16_64 3
		.amdhsa_dx10_clamp 1
		.amdhsa_ieee_mode 1
		.amdhsa_fp16_overflow 0
		.amdhsa_workgroup_processor_mode 1
		.amdhsa_memory_ordered 1
		.amdhsa_forward_progress 0
		.amdhsa_shared_vgpr_count 0
		.amdhsa_exception_fp_ieee_invalid_op 0
		.amdhsa_exception_fp_denorm_src 0
		.amdhsa_exception_fp_ieee_div_zero 0
		.amdhsa_exception_fp_ieee_overflow 0
		.amdhsa_exception_fp_ieee_underflow 0
		.amdhsa_exception_fp_ieee_inexact 0
		.amdhsa_exception_int_div_zero 0
	.end_amdhsa_kernel
	.section	.text._ZN7rocprim17ROCPRIM_400000_NS6detail17trampoline_kernelINS0_14default_configENS1_22reduce_config_selectorIN6thrust23THRUST_200600_302600_NS5tupleIblNS6_9null_typeES8_S8_S8_S8_S8_S8_S8_EEEEZNS1_11reduce_implILb1ES3_NS6_12zip_iteratorINS7_INS6_11hip_rocprim26transform_input_iterator_tIbNSD_35transform_pair_of_input_iterators_tIbNS6_6detail15normal_iteratorINS6_10device_ptrIKiEEEESL_NS6_8equal_toIiEEEENSG_9not_fun_tINSD_8identityEEEEENSD_19counting_iterator_tIlEES8_S8_S8_S8_S8_S8_S8_S8_EEEEPS9_S9_NSD_9__find_if7functorIS9_EEEE10hipError_tPvRmT1_T2_T3_mT4_P12ihipStream_tbEUlT_E1_NS1_11comp_targetILNS1_3genE8ELNS1_11target_archE1030ELNS1_3gpuE2ELNS1_3repE0EEENS1_30default_config_static_selectorELNS0_4arch9wavefront6targetE0EEEvS14_,"axG",@progbits,_ZN7rocprim17ROCPRIM_400000_NS6detail17trampoline_kernelINS0_14default_configENS1_22reduce_config_selectorIN6thrust23THRUST_200600_302600_NS5tupleIblNS6_9null_typeES8_S8_S8_S8_S8_S8_S8_EEEEZNS1_11reduce_implILb1ES3_NS6_12zip_iteratorINS7_INS6_11hip_rocprim26transform_input_iterator_tIbNSD_35transform_pair_of_input_iterators_tIbNS6_6detail15normal_iteratorINS6_10device_ptrIKiEEEESL_NS6_8equal_toIiEEEENSG_9not_fun_tINSD_8identityEEEEENSD_19counting_iterator_tIlEES8_S8_S8_S8_S8_S8_S8_S8_EEEEPS9_S9_NSD_9__find_if7functorIS9_EEEE10hipError_tPvRmT1_T2_T3_mT4_P12ihipStream_tbEUlT_E1_NS1_11comp_targetILNS1_3genE8ELNS1_11target_archE1030ELNS1_3gpuE2ELNS1_3repE0EEENS1_30default_config_static_selectorELNS0_4arch9wavefront6targetE0EEEvS14_,comdat
.Lfunc_end554:
	.size	_ZN7rocprim17ROCPRIM_400000_NS6detail17trampoline_kernelINS0_14default_configENS1_22reduce_config_selectorIN6thrust23THRUST_200600_302600_NS5tupleIblNS6_9null_typeES8_S8_S8_S8_S8_S8_S8_EEEEZNS1_11reduce_implILb1ES3_NS6_12zip_iteratorINS7_INS6_11hip_rocprim26transform_input_iterator_tIbNSD_35transform_pair_of_input_iterators_tIbNS6_6detail15normal_iteratorINS6_10device_ptrIKiEEEESL_NS6_8equal_toIiEEEENSG_9not_fun_tINSD_8identityEEEEENSD_19counting_iterator_tIlEES8_S8_S8_S8_S8_S8_S8_S8_EEEEPS9_S9_NSD_9__find_if7functorIS9_EEEE10hipError_tPvRmT1_T2_T3_mT4_P12ihipStream_tbEUlT_E1_NS1_11comp_targetILNS1_3genE8ELNS1_11target_archE1030ELNS1_3gpuE2ELNS1_3repE0EEENS1_30default_config_static_selectorELNS0_4arch9wavefront6targetE0EEEvS14_, .Lfunc_end554-_ZN7rocprim17ROCPRIM_400000_NS6detail17trampoline_kernelINS0_14default_configENS1_22reduce_config_selectorIN6thrust23THRUST_200600_302600_NS5tupleIblNS6_9null_typeES8_S8_S8_S8_S8_S8_S8_EEEEZNS1_11reduce_implILb1ES3_NS6_12zip_iteratorINS7_INS6_11hip_rocprim26transform_input_iterator_tIbNSD_35transform_pair_of_input_iterators_tIbNS6_6detail15normal_iteratorINS6_10device_ptrIKiEEEESL_NS6_8equal_toIiEEEENSG_9not_fun_tINSD_8identityEEEEENSD_19counting_iterator_tIlEES8_S8_S8_S8_S8_S8_S8_S8_EEEEPS9_S9_NSD_9__find_if7functorIS9_EEEE10hipError_tPvRmT1_T2_T3_mT4_P12ihipStream_tbEUlT_E1_NS1_11comp_targetILNS1_3genE8ELNS1_11target_archE1030ELNS1_3gpuE2ELNS1_3repE0EEENS1_30default_config_static_selectorELNS0_4arch9wavefront6targetE0EEEvS14_
                                        ; -- End function
	.section	.AMDGPU.csdata,"",@progbits
; Kernel info:
; codeLenInByte = 0
; NumSgprs: 0
; NumVgprs: 0
; ScratchSize: 0
; MemoryBound: 0
; FloatMode: 240
; IeeeMode: 1
; LDSByteSize: 0 bytes/workgroup (compile time only)
; SGPRBlocks: 0
; VGPRBlocks: 0
; NumSGPRsForWavesPerEU: 1
; NumVGPRsForWavesPerEU: 1
; Occupancy: 16
; WaveLimiterHint : 0
; COMPUTE_PGM_RSRC2:SCRATCH_EN: 0
; COMPUTE_PGM_RSRC2:USER_SGPR: 15
; COMPUTE_PGM_RSRC2:TRAP_HANDLER: 0
; COMPUTE_PGM_RSRC2:TGID_X_EN: 1
; COMPUTE_PGM_RSRC2:TGID_Y_EN: 0
; COMPUTE_PGM_RSRC2:TGID_Z_EN: 0
; COMPUTE_PGM_RSRC2:TIDIG_COMP_CNT: 0
	.section	.text._ZN7rocprim17ROCPRIM_400000_NS6detail17trampoline_kernelINS0_14default_configENS1_22reduce_config_selectorIN6thrust23THRUST_200600_302600_NS5tupleIblNS6_9null_typeES8_S8_S8_S8_S8_S8_S8_EEEEZNS1_11reduce_implILb1ES3_NS6_12zip_iteratorINS7_INS6_11hip_rocprim26transform_input_iterator_tIbNSD_35transform_pair_of_input_iterators_tIbNS6_6detail15normal_iteratorINS6_10device_ptrIKsEEEESL_NS6_8equal_toIsEEEENSG_9not_fun_tINSD_8identityEEEEENSD_19counting_iterator_tIlEES8_S8_S8_S8_S8_S8_S8_S8_EEEEPS9_S9_NSD_9__find_if7functorIS9_EEEE10hipError_tPvRmT1_T2_T3_mT4_P12ihipStream_tbEUlT_E0_NS1_11comp_targetILNS1_3genE0ELNS1_11target_archE4294967295ELNS1_3gpuE0ELNS1_3repE0EEENS1_30default_config_static_selectorELNS0_4arch9wavefront6targetE0EEEvS14_,"axG",@progbits,_ZN7rocprim17ROCPRIM_400000_NS6detail17trampoline_kernelINS0_14default_configENS1_22reduce_config_selectorIN6thrust23THRUST_200600_302600_NS5tupleIblNS6_9null_typeES8_S8_S8_S8_S8_S8_S8_EEEEZNS1_11reduce_implILb1ES3_NS6_12zip_iteratorINS7_INS6_11hip_rocprim26transform_input_iterator_tIbNSD_35transform_pair_of_input_iterators_tIbNS6_6detail15normal_iteratorINS6_10device_ptrIKsEEEESL_NS6_8equal_toIsEEEENSG_9not_fun_tINSD_8identityEEEEENSD_19counting_iterator_tIlEES8_S8_S8_S8_S8_S8_S8_S8_EEEEPS9_S9_NSD_9__find_if7functorIS9_EEEE10hipError_tPvRmT1_T2_T3_mT4_P12ihipStream_tbEUlT_E0_NS1_11comp_targetILNS1_3genE0ELNS1_11target_archE4294967295ELNS1_3gpuE0ELNS1_3repE0EEENS1_30default_config_static_selectorELNS0_4arch9wavefront6targetE0EEEvS14_,comdat
	.protected	_ZN7rocprim17ROCPRIM_400000_NS6detail17trampoline_kernelINS0_14default_configENS1_22reduce_config_selectorIN6thrust23THRUST_200600_302600_NS5tupleIblNS6_9null_typeES8_S8_S8_S8_S8_S8_S8_EEEEZNS1_11reduce_implILb1ES3_NS6_12zip_iteratorINS7_INS6_11hip_rocprim26transform_input_iterator_tIbNSD_35transform_pair_of_input_iterators_tIbNS6_6detail15normal_iteratorINS6_10device_ptrIKsEEEESL_NS6_8equal_toIsEEEENSG_9not_fun_tINSD_8identityEEEEENSD_19counting_iterator_tIlEES8_S8_S8_S8_S8_S8_S8_S8_EEEEPS9_S9_NSD_9__find_if7functorIS9_EEEE10hipError_tPvRmT1_T2_T3_mT4_P12ihipStream_tbEUlT_E0_NS1_11comp_targetILNS1_3genE0ELNS1_11target_archE4294967295ELNS1_3gpuE0ELNS1_3repE0EEENS1_30default_config_static_selectorELNS0_4arch9wavefront6targetE0EEEvS14_ ; -- Begin function _ZN7rocprim17ROCPRIM_400000_NS6detail17trampoline_kernelINS0_14default_configENS1_22reduce_config_selectorIN6thrust23THRUST_200600_302600_NS5tupleIblNS6_9null_typeES8_S8_S8_S8_S8_S8_S8_EEEEZNS1_11reduce_implILb1ES3_NS6_12zip_iteratorINS7_INS6_11hip_rocprim26transform_input_iterator_tIbNSD_35transform_pair_of_input_iterators_tIbNS6_6detail15normal_iteratorINS6_10device_ptrIKsEEEESL_NS6_8equal_toIsEEEENSG_9not_fun_tINSD_8identityEEEEENSD_19counting_iterator_tIlEES8_S8_S8_S8_S8_S8_S8_S8_EEEEPS9_S9_NSD_9__find_if7functorIS9_EEEE10hipError_tPvRmT1_T2_T3_mT4_P12ihipStream_tbEUlT_E0_NS1_11comp_targetILNS1_3genE0ELNS1_11target_archE4294967295ELNS1_3gpuE0ELNS1_3repE0EEENS1_30default_config_static_selectorELNS0_4arch9wavefront6targetE0EEEvS14_
	.globl	_ZN7rocprim17ROCPRIM_400000_NS6detail17trampoline_kernelINS0_14default_configENS1_22reduce_config_selectorIN6thrust23THRUST_200600_302600_NS5tupleIblNS6_9null_typeES8_S8_S8_S8_S8_S8_S8_EEEEZNS1_11reduce_implILb1ES3_NS6_12zip_iteratorINS7_INS6_11hip_rocprim26transform_input_iterator_tIbNSD_35transform_pair_of_input_iterators_tIbNS6_6detail15normal_iteratorINS6_10device_ptrIKsEEEESL_NS6_8equal_toIsEEEENSG_9not_fun_tINSD_8identityEEEEENSD_19counting_iterator_tIlEES8_S8_S8_S8_S8_S8_S8_S8_EEEEPS9_S9_NSD_9__find_if7functorIS9_EEEE10hipError_tPvRmT1_T2_T3_mT4_P12ihipStream_tbEUlT_E0_NS1_11comp_targetILNS1_3genE0ELNS1_11target_archE4294967295ELNS1_3gpuE0ELNS1_3repE0EEENS1_30default_config_static_selectorELNS0_4arch9wavefront6targetE0EEEvS14_
	.p2align	8
	.type	_ZN7rocprim17ROCPRIM_400000_NS6detail17trampoline_kernelINS0_14default_configENS1_22reduce_config_selectorIN6thrust23THRUST_200600_302600_NS5tupleIblNS6_9null_typeES8_S8_S8_S8_S8_S8_S8_EEEEZNS1_11reduce_implILb1ES3_NS6_12zip_iteratorINS7_INS6_11hip_rocprim26transform_input_iterator_tIbNSD_35transform_pair_of_input_iterators_tIbNS6_6detail15normal_iteratorINS6_10device_ptrIKsEEEESL_NS6_8equal_toIsEEEENSG_9not_fun_tINSD_8identityEEEEENSD_19counting_iterator_tIlEES8_S8_S8_S8_S8_S8_S8_S8_EEEEPS9_S9_NSD_9__find_if7functorIS9_EEEE10hipError_tPvRmT1_T2_T3_mT4_P12ihipStream_tbEUlT_E0_NS1_11comp_targetILNS1_3genE0ELNS1_11target_archE4294967295ELNS1_3gpuE0ELNS1_3repE0EEENS1_30default_config_static_selectorELNS0_4arch9wavefront6targetE0EEEvS14_,@function
_ZN7rocprim17ROCPRIM_400000_NS6detail17trampoline_kernelINS0_14default_configENS1_22reduce_config_selectorIN6thrust23THRUST_200600_302600_NS5tupleIblNS6_9null_typeES8_S8_S8_S8_S8_S8_S8_EEEEZNS1_11reduce_implILb1ES3_NS6_12zip_iteratorINS7_INS6_11hip_rocprim26transform_input_iterator_tIbNSD_35transform_pair_of_input_iterators_tIbNS6_6detail15normal_iteratorINS6_10device_ptrIKsEEEESL_NS6_8equal_toIsEEEENSG_9not_fun_tINSD_8identityEEEEENSD_19counting_iterator_tIlEES8_S8_S8_S8_S8_S8_S8_S8_EEEEPS9_S9_NSD_9__find_if7functorIS9_EEEE10hipError_tPvRmT1_T2_T3_mT4_P12ihipStream_tbEUlT_E0_NS1_11comp_targetILNS1_3genE0ELNS1_11target_archE4294967295ELNS1_3gpuE0ELNS1_3repE0EEENS1_30default_config_static_selectorELNS0_4arch9wavefront6targetE0EEEvS14_: ; @_ZN7rocprim17ROCPRIM_400000_NS6detail17trampoline_kernelINS0_14default_configENS1_22reduce_config_selectorIN6thrust23THRUST_200600_302600_NS5tupleIblNS6_9null_typeES8_S8_S8_S8_S8_S8_S8_EEEEZNS1_11reduce_implILb1ES3_NS6_12zip_iteratorINS7_INS6_11hip_rocprim26transform_input_iterator_tIbNSD_35transform_pair_of_input_iterators_tIbNS6_6detail15normal_iteratorINS6_10device_ptrIKsEEEESL_NS6_8equal_toIsEEEENSG_9not_fun_tINSD_8identityEEEEENSD_19counting_iterator_tIlEES8_S8_S8_S8_S8_S8_S8_S8_EEEEPS9_S9_NSD_9__find_if7functorIS9_EEEE10hipError_tPvRmT1_T2_T3_mT4_P12ihipStream_tbEUlT_E0_NS1_11comp_targetILNS1_3genE0ELNS1_11target_archE4294967295ELNS1_3gpuE0ELNS1_3repE0EEENS1_30default_config_static_selectorELNS0_4arch9wavefront6targetE0EEEvS14_
; %bb.0:
	.section	.rodata,"a",@progbits
	.p2align	6, 0x0
	.amdhsa_kernel _ZN7rocprim17ROCPRIM_400000_NS6detail17trampoline_kernelINS0_14default_configENS1_22reduce_config_selectorIN6thrust23THRUST_200600_302600_NS5tupleIblNS6_9null_typeES8_S8_S8_S8_S8_S8_S8_EEEEZNS1_11reduce_implILb1ES3_NS6_12zip_iteratorINS7_INS6_11hip_rocprim26transform_input_iterator_tIbNSD_35transform_pair_of_input_iterators_tIbNS6_6detail15normal_iteratorINS6_10device_ptrIKsEEEESL_NS6_8equal_toIsEEEENSG_9not_fun_tINSD_8identityEEEEENSD_19counting_iterator_tIlEES8_S8_S8_S8_S8_S8_S8_S8_EEEEPS9_S9_NSD_9__find_if7functorIS9_EEEE10hipError_tPvRmT1_T2_T3_mT4_P12ihipStream_tbEUlT_E0_NS1_11comp_targetILNS1_3genE0ELNS1_11target_archE4294967295ELNS1_3gpuE0ELNS1_3repE0EEENS1_30default_config_static_selectorELNS0_4arch9wavefront6targetE0EEEvS14_
		.amdhsa_group_segment_fixed_size 0
		.amdhsa_private_segment_fixed_size 0
		.amdhsa_kernarg_size 104
		.amdhsa_user_sgpr_count 15
		.amdhsa_user_sgpr_dispatch_ptr 0
		.amdhsa_user_sgpr_queue_ptr 0
		.amdhsa_user_sgpr_kernarg_segment_ptr 1
		.amdhsa_user_sgpr_dispatch_id 0
		.amdhsa_user_sgpr_private_segment_size 0
		.amdhsa_wavefront_size32 1
		.amdhsa_uses_dynamic_stack 0
		.amdhsa_enable_private_segment 0
		.amdhsa_system_sgpr_workgroup_id_x 1
		.amdhsa_system_sgpr_workgroup_id_y 0
		.amdhsa_system_sgpr_workgroup_id_z 0
		.amdhsa_system_sgpr_workgroup_info 0
		.amdhsa_system_vgpr_workitem_id 0
		.amdhsa_next_free_vgpr 1
		.amdhsa_next_free_sgpr 1
		.amdhsa_reserve_vcc 0
		.amdhsa_float_round_mode_32 0
		.amdhsa_float_round_mode_16_64 0
		.amdhsa_float_denorm_mode_32 3
		.amdhsa_float_denorm_mode_16_64 3
		.amdhsa_dx10_clamp 1
		.amdhsa_ieee_mode 1
		.amdhsa_fp16_overflow 0
		.amdhsa_workgroup_processor_mode 1
		.amdhsa_memory_ordered 1
		.amdhsa_forward_progress 0
		.amdhsa_shared_vgpr_count 0
		.amdhsa_exception_fp_ieee_invalid_op 0
		.amdhsa_exception_fp_denorm_src 0
		.amdhsa_exception_fp_ieee_div_zero 0
		.amdhsa_exception_fp_ieee_overflow 0
		.amdhsa_exception_fp_ieee_underflow 0
		.amdhsa_exception_fp_ieee_inexact 0
		.amdhsa_exception_int_div_zero 0
	.end_amdhsa_kernel
	.section	.text._ZN7rocprim17ROCPRIM_400000_NS6detail17trampoline_kernelINS0_14default_configENS1_22reduce_config_selectorIN6thrust23THRUST_200600_302600_NS5tupleIblNS6_9null_typeES8_S8_S8_S8_S8_S8_S8_EEEEZNS1_11reduce_implILb1ES3_NS6_12zip_iteratorINS7_INS6_11hip_rocprim26transform_input_iterator_tIbNSD_35transform_pair_of_input_iterators_tIbNS6_6detail15normal_iteratorINS6_10device_ptrIKsEEEESL_NS6_8equal_toIsEEEENSG_9not_fun_tINSD_8identityEEEEENSD_19counting_iterator_tIlEES8_S8_S8_S8_S8_S8_S8_S8_EEEEPS9_S9_NSD_9__find_if7functorIS9_EEEE10hipError_tPvRmT1_T2_T3_mT4_P12ihipStream_tbEUlT_E0_NS1_11comp_targetILNS1_3genE0ELNS1_11target_archE4294967295ELNS1_3gpuE0ELNS1_3repE0EEENS1_30default_config_static_selectorELNS0_4arch9wavefront6targetE0EEEvS14_,"axG",@progbits,_ZN7rocprim17ROCPRIM_400000_NS6detail17trampoline_kernelINS0_14default_configENS1_22reduce_config_selectorIN6thrust23THRUST_200600_302600_NS5tupleIblNS6_9null_typeES8_S8_S8_S8_S8_S8_S8_EEEEZNS1_11reduce_implILb1ES3_NS6_12zip_iteratorINS7_INS6_11hip_rocprim26transform_input_iterator_tIbNSD_35transform_pair_of_input_iterators_tIbNS6_6detail15normal_iteratorINS6_10device_ptrIKsEEEESL_NS6_8equal_toIsEEEENSG_9not_fun_tINSD_8identityEEEEENSD_19counting_iterator_tIlEES8_S8_S8_S8_S8_S8_S8_S8_EEEEPS9_S9_NSD_9__find_if7functorIS9_EEEE10hipError_tPvRmT1_T2_T3_mT4_P12ihipStream_tbEUlT_E0_NS1_11comp_targetILNS1_3genE0ELNS1_11target_archE4294967295ELNS1_3gpuE0ELNS1_3repE0EEENS1_30default_config_static_selectorELNS0_4arch9wavefront6targetE0EEEvS14_,comdat
.Lfunc_end555:
	.size	_ZN7rocprim17ROCPRIM_400000_NS6detail17trampoline_kernelINS0_14default_configENS1_22reduce_config_selectorIN6thrust23THRUST_200600_302600_NS5tupleIblNS6_9null_typeES8_S8_S8_S8_S8_S8_S8_EEEEZNS1_11reduce_implILb1ES3_NS6_12zip_iteratorINS7_INS6_11hip_rocprim26transform_input_iterator_tIbNSD_35transform_pair_of_input_iterators_tIbNS6_6detail15normal_iteratorINS6_10device_ptrIKsEEEESL_NS6_8equal_toIsEEEENSG_9not_fun_tINSD_8identityEEEEENSD_19counting_iterator_tIlEES8_S8_S8_S8_S8_S8_S8_S8_EEEEPS9_S9_NSD_9__find_if7functorIS9_EEEE10hipError_tPvRmT1_T2_T3_mT4_P12ihipStream_tbEUlT_E0_NS1_11comp_targetILNS1_3genE0ELNS1_11target_archE4294967295ELNS1_3gpuE0ELNS1_3repE0EEENS1_30default_config_static_selectorELNS0_4arch9wavefront6targetE0EEEvS14_, .Lfunc_end555-_ZN7rocprim17ROCPRIM_400000_NS6detail17trampoline_kernelINS0_14default_configENS1_22reduce_config_selectorIN6thrust23THRUST_200600_302600_NS5tupleIblNS6_9null_typeES8_S8_S8_S8_S8_S8_S8_EEEEZNS1_11reduce_implILb1ES3_NS6_12zip_iteratorINS7_INS6_11hip_rocprim26transform_input_iterator_tIbNSD_35transform_pair_of_input_iterators_tIbNS6_6detail15normal_iteratorINS6_10device_ptrIKsEEEESL_NS6_8equal_toIsEEEENSG_9not_fun_tINSD_8identityEEEEENSD_19counting_iterator_tIlEES8_S8_S8_S8_S8_S8_S8_S8_EEEEPS9_S9_NSD_9__find_if7functorIS9_EEEE10hipError_tPvRmT1_T2_T3_mT4_P12ihipStream_tbEUlT_E0_NS1_11comp_targetILNS1_3genE0ELNS1_11target_archE4294967295ELNS1_3gpuE0ELNS1_3repE0EEENS1_30default_config_static_selectorELNS0_4arch9wavefront6targetE0EEEvS14_
                                        ; -- End function
	.section	.AMDGPU.csdata,"",@progbits
; Kernel info:
; codeLenInByte = 0
; NumSgprs: 0
; NumVgprs: 0
; ScratchSize: 0
; MemoryBound: 0
; FloatMode: 240
; IeeeMode: 1
; LDSByteSize: 0 bytes/workgroup (compile time only)
; SGPRBlocks: 0
; VGPRBlocks: 0
; NumSGPRsForWavesPerEU: 1
; NumVGPRsForWavesPerEU: 1
; Occupancy: 16
; WaveLimiterHint : 0
; COMPUTE_PGM_RSRC2:SCRATCH_EN: 0
; COMPUTE_PGM_RSRC2:USER_SGPR: 15
; COMPUTE_PGM_RSRC2:TRAP_HANDLER: 0
; COMPUTE_PGM_RSRC2:TGID_X_EN: 1
; COMPUTE_PGM_RSRC2:TGID_Y_EN: 0
; COMPUTE_PGM_RSRC2:TGID_Z_EN: 0
; COMPUTE_PGM_RSRC2:TIDIG_COMP_CNT: 0
	.section	.text._ZN7rocprim17ROCPRIM_400000_NS6detail17trampoline_kernelINS0_14default_configENS1_22reduce_config_selectorIN6thrust23THRUST_200600_302600_NS5tupleIblNS6_9null_typeES8_S8_S8_S8_S8_S8_S8_EEEEZNS1_11reduce_implILb1ES3_NS6_12zip_iteratorINS7_INS6_11hip_rocprim26transform_input_iterator_tIbNSD_35transform_pair_of_input_iterators_tIbNS6_6detail15normal_iteratorINS6_10device_ptrIKsEEEESL_NS6_8equal_toIsEEEENSG_9not_fun_tINSD_8identityEEEEENSD_19counting_iterator_tIlEES8_S8_S8_S8_S8_S8_S8_S8_EEEEPS9_S9_NSD_9__find_if7functorIS9_EEEE10hipError_tPvRmT1_T2_T3_mT4_P12ihipStream_tbEUlT_E0_NS1_11comp_targetILNS1_3genE5ELNS1_11target_archE942ELNS1_3gpuE9ELNS1_3repE0EEENS1_30default_config_static_selectorELNS0_4arch9wavefront6targetE0EEEvS14_,"axG",@progbits,_ZN7rocprim17ROCPRIM_400000_NS6detail17trampoline_kernelINS0_14default_configENS1_22reduce_config_selectorIN6thrust23THRUST_200600_302600_NS5tupleIblNS6_9null_typeES8_S8_S8_S8_S8_S8_S8_EEEEZNS1_11reduce_implILb1ES3_NS6_12zip_iteratorINS7_INS6_11hip_rocprim26transform_input_iterator_tIbNSD_35transform_pair_of_input_iterators_tIbNS6_6detail15normal_iteratorINS6_10device_ptrIKsEEEESL_NS6_8equal_toIsEEEENSG_9not_fun_tINSD_8identityEEEEENSD_19counting_iterator_tIlEES8_S8_S8_S8_S8_S8_S8_S8_EEEEPS9_S9_NSD_9__find_if7functorIS9_EEEE10hipError_tPvRmT1_T2_T3_mT4_P12ihipStream_tbEUlT_E0_NS1_11comp_targetILNS1_3genE5ELNS1_11target_archE942ELNS1_3gpuE9ELNS1_3repE0EEENS1_30default_config_static_selectorELNS0_4arch9wavefront6targetE0EEEvS14_,comdat
	.protected	_ZN7rocprim17ROCPRIM_400000_NS6detail17trampoline_kernelINS0_14default_configENS1_22reduce_config_selectorIN6thrust23THRUST_200600_302600_NS5tupleIblNS6_9null_typeES8_S8_S8_S8_S8_S8_S8_EEEEZNS1_11reduce_implILb1ES3_NS6_12zip_iteratorINS7_INS6_11hip_rocprim26transform_input_iterator_tIbNSD_35transform_pair_of_input_iterators_tIbNS6_6detail15normal_iteratorINS6_10device_ptrIKsEEEESL_NS6_8equal_toIsEEEENSG_9not_fun_tINSD_8identityEEEEENSD_19counting_iterator_tIlEES8_S8_S8_S8_S8_S8_S8_S8_EEEEPS9_S9_NSD_9__find_if7functorIS9_EEEE10hipError_tPvRmT1_T2_T3_mT4_P12ihipStream_tbEUlT_E0_NS1_11comp_targetILNS1_3genE5ELNS1_11target_archE942ELNS1_3gpuE9ELNS1_3repE0EEENS1_30default_config_static_selectorELNS0_4arch9wavefront6targetE0EEEvS14_ ; -- Begin function _ZN7rocprim17ROCPRIM_400000_NS6detail17trampoline_kernelINS0_14default_configENS1_22reduce_config_selectorIN6thrust23THRUST_200600_302600_NS5tupleIblNS6_9null_typeES8_S8_S8_S8_S8_S8_S8_EEEEZNS1_11reduce_implILb1ES3_NS6_12zip_iteratorINS7_INS6_11hip_rocprim26transform_input_iterator_tIbNSD_35transform_pair_of_input_iterators_tIbNS6_6detail15normal_iteratorINS6_10device_ptrIKsEEEESL_NS6_8equal_toIsEEEENSG_9not_fun_tINSD_8identityEEEEENSD_19counting_iterator_tIlEES8_S8_S8_S8_S8_S8_S8_S8_EEEEPS9_S9_NSD_9__find_if7functorIS9_EEEE10hipError_tPvRmT1_T2_T3_mT4_P12ihipStream_tbEUlT_E0_NS1_11comp_targetILNS1_3genE5ELNS1_11target_archE942ELNS1_3gpuE9ELNS1_3repE0EEENS1_30default_config_static_selectorELNS0_4arch9wavefront6targetE0EEEvS14_
	.globl	_ZN7rocprim17ROCPRIM_400000_NS6detail17trampoline_kernelINS0_14default_configENS1_22reduce_config_selectorIN6thrust23THRUST_200600_302600_NS5tupleIblNS6_9null_typeES8_S8_S8_S8_S8_S8_S8_EEEEZNS1_11reduce_implILb1ES3_NS6_12zip_iteratorINS7_INS6_11hip_rocprim26transform_input_iterator_tIbNSD_35transform_pair_of_input_iterators_tIbNS6_6detail15normal_iteratorINS6_10device_ptrIKsEEEESL_NS6_8equal_toIsEEEENSG_9not_fun_tINSD_8identityEEEEENSD_19counting_iterator_tIlEES8_S8_S8_S8_S8_S8_S8_S8_EEEEPS9_S9_NSD_9__find_if7functorIS9_EEEE10hipError_tPvRmT1_T2_T3_mT4_P12ihipStream_tbEUlT_E0_NS1_11comp_targetILNS1_3genE5ELNS1_11target_archE942ELNS1_3gpuE9ELNS1_3repE0EEENS1_30default_config_static_selectorELNS0_4arch9wavefront6targetE0EEEvS14_
	.p2align	8
	.type	_ZN7rocprim17ROCPRIM_400000_NS6detail17trampoline_kernelINS0_14default_configENS1_22reduce_config_selectorIN6thrust23THRUST_200600_302600_NS5tupleIblNS6_9null_typeES8_S8_S8_S8_S8_S8_S8_EEEEZNS1_11reduce_implILb1ES3_NS6_12zip_iteratorINS7_INS6_11hip_rocprim26transform_input_iterator_tIbNSD_35transform_pair_of_input_iterators_tIbNS6_6detail15normal_iteratorINS6_10device_ptrIKsEEEESL_NS6_8equal_toIsEEEENSG_9not_fun_tINSD_8identityEEEEENSD_19counting_iterator_tIlEES8_S8_S8_S8_S8_S8_S8_S8_EEEEPS9_S9_NSD_9__find_if7functorIS9_EEEE10hipError_tPvRmT1_T2_T3_mT4_P12ihipStream_tbEUlT_E0_NS1_11comp_targetILNS1_3genE5ELNS1_11target_archE942ELNS1_3gpuE9ELNS1_3repE0EEENS1_30default_config_static_selectorELNS0_4arch9wavefront6targetE0EEEvS14_,@function
_ZN7rocprim17ROCPRIM_400000_NS6detail17trampoline_kernelINS0_14default_configENS1_22reduce_config_selectorIN6thrust23THRUST_200600_302600_NS5tupleIblNS6_9null_typeES8_S8_S8_S8_S8_S8_S8_EEEEZNS1_11reduce_implILb1ES3_NS6_12zip_iteratorINS7_INS6_11hip_rocprim26transform_input_iterator_tIbNSD_35transform_pair_of_input_iterators_tIbNS6_6detail15normal_iteratorINS6_10device_ptrIKsEEEESL_NS6_8equal_toIsEEEENSG_9not_fun_tINSD_8identityEEEEENSD_19counting_iterator_tIlEES8_S8_S8_S8_S8_S8_S8_S8_EEEEPS9_S9_NSD_9__find_if7functorIS9_EEEE10hipError_tPvRmT1_T2_T3_mT4_P12ihipStream_tbEUlT_E0_NS1_11comp_targetILNS1_3genE5ELNS1_11target_archE942ELNS1_3gpuE9ELNS1_3repE0EEENS1_30default_config_static_selectorELNS0_4arch9wavefront6targetE0EEEvS14_: ; @_ZN7rocprim17ROCPRIM_400000_NS6detail17trampoline_kernelINS0_14default_configENS1_22reduce_config_selectorIN6thrust23THRUST_200600_302600_NS5tupleIblNS6_9null_typeES8_S8_S8_S8_S8_S8_S8_EEEEZNS1_11reduce_implILb1ES3_NS6_12zip_iteratorINS7_INS6_11hip_rocprim26transform_input_iterator_tIbNSD_35transform_pair_of_input_iterators_tIbNS6_6detail15normal_iteratorINS6_10device_ptrIKsEEEESL_NS6_8equal_toIsEEEENSG_9not_fun_tINSD_8identityEEEEENSD_19counting_iterator_tIlEES8_S8_S8_S8_S8_S8_S8_S8_EEEEPS9_S9_NSD_9__find_if7functorIS9_EEEE10hipError_tPvRmT1_T2_T3_mT4_P12ihipStream_tbEUlT_E0_NS1_11comp_targetILNS1_3genE5ELNS1_11target_archE942ELNS1_3gpuE9ELNS1_3repE0EEENS1_30default_config_static_selectorELNS0_4arch9wavefront6targetE0EEEvS14_
; %bb.0:
	.section	.rodata,"a",@progbits
	.p2align	6, 0x0
	.amdhsa_kernel _ZN7rocprim17ROCPRIM_400000_NS6detail17trampoline_kernelINS0_14default_configENS1_22reduce_config_selectorIN6thrust23THRUST_200600_302600_NS5tupleIblNS6_9null_typeES8_S8_S8_S8_S8_S8_S8_EEEEZNS1_11reduce_implILb1ES3_NS6_12zip_iteratorINS7_INS6_11hip_rocprim26transform_input_iterator_tIbNSD_35transform_pair_of_input_iterators_tIbNS6_6detail15normal_iteratorINS6_10device_ptrIKsEEEESL_NS6_8equal_toIsEEEENSG_9not_fun_tINSD_8identityEEEEENSD_19counting_iterator_tIlEES8_S8_S8_S8_S8_S8_S8_S8_EEEEPS9_S9_NSD_9__find_if7functorIS9_EEEE10hipError_tPvRmT1_T2_T3_mT4_P12ihipStream_tbEUlT_E0_NS1_11comp_targetILNS1_3genE5ELNS1_11target_archE942ELNS1_3gpuE9ELNS1_3repE0EEENS1_30default_config_static_selectorELNS0_4arch9wavefront6targetE0EEEvS14_
		.amdhsa_group_segment_fixed_size 0
		.amdhsa_private_segment_fixed_size 0
		.amdhsa_kernarg_size 104
		.amdhsa_user_sgpr_count 15
		.amdhsa_user_sgpr_dispatch_ptr 0
		.amdhsa_user_sgpr_queue_ptr 0
		.amdhsa_user_sgpr_kernarg_segment_ptr 1
		.amdhsa_user_sgpr_dispatch_id 0
		.amdhsa_user_sgpr_private_segment_size 0
		.amdhsa_wavefront_size32 1
		.amdhsa_uses_dynamic_stack 0
		.amdhsa_enable_private_segment 0
		.amdhsa_system_sgpr_workgroup_id_x 1
		.amdhsa_system_sgpr_workgroup_id_y 0
		.amdhsa_system_sgpr_workgroup_id_z 0
		.amdhsa_system_sgpr_workgroup_info 0
		.amdhsa_system_vgpr_workitem_id 0
		.amdhsa_next_free_vgpr 1
		.amdhsa_next_free_sgpr 1
		.amdhsa_reserve_vcc 0
		.amdhsa_float_round_mode_32 0
		.amdhsa_float_round_mode_16_64 0
		.amdhsa_float_denorm_mode_32 3
		.amdhsa_float_denorm_mode_16_64 3
		.amdhsa_dx10_clamp 1
		.amdhsa_ieee_mode 1
		.amdhsa_fp16_overflow 0
		.amdhsa_workgroup_processor_mode 1
		.amdhsa_memory_ordered 1
		.amdhsa_forward_progress 0
		.amdhsa_shared_vgpr_count 0
		.amdhsa_exception_fp_ieee_invalid_op 0
		.amdhsa_exception_fp_denorm_src 0
		.amdhsa_exception_fp_ieee_div_zero 0
		.amdhsa_exception_fp_ieee_overflow 0
		.amdhsa_exception_fp_ieee_underflow 0
		.amdhsa_exception_fp_ieee_inexact 0
		.amdhsa_exception_int_div_zero 0
	.end_amdhsa_kernel
	.section	.text._ZN7rocprim17ROCPRIM_400000_NS6detail17trampoline_kernelINS0_14default_configENS1_22reduce_config_selectorIN6thrust23THRUST_200600_302600_NS5tupleIblNS6_9null_typeES8_S8_S8_S8_S8_S8_S8_EEEEZNS1_11reduce_implILb1ES3_NS6_12zip_iteratorINS7_INS6_11hip_rocprim26transform_input_iterator_tIbNSD_35transform_pair_of_input_iterators_tIbNS6_6detail15normal_iteratorINS6_10device_ptrIKsEEEESL_NS6_8equal_toIsEEEENSG_9not_fun_tINSD_8identityEEEEENSD_19counting_iterator_tIlEES8_S8_S8_S8_S8_S8_S8_S8_EEEEPS9_S9_NSD_9__find_if7functorIS9_EEEE10hipError_tPvRmT1_T2_T3_mT4_P12ihipStream_tbEUlT_E0_NS1_11comp_targetILNS1_3genE5ELNS1_11target_archE942ELNS1_3gpuE9ELNS1_3repE0EEENS1_30default_config_static_selectorELNS0_4arch9wavefront6targetE0EEEvS14_,"axG",@progbits,_ZN7rocprim17ROCPRIM_400000_NS6detail17trampoline_kernelINS0_14default_configENS1_22reduce_config_selectorIN6thrust23THRUST_200600_302600_NS5tupleIblNS6_9null_typeES8_S8_S8_S8_S8_S8_S8_EEEEZNS1_11reduce_implILb1ES3_NS6_12zip_iteratorINS7_INS6_11hip_rocprim26transform_input_iterator_tIbNSD_35transform_pair_of_input_iterators_tIbNS6_6detail15normal_iteratorINS6_10device_ptrIKsEEEESL_NS6_8equal_toIsEEEENSG_9not_fun_tINSD_8identityEEEEENSD_19counting_iterator_tIlEES8_S8_S8_S8_S8_S8_S8_S8_EEEEPS9_S9_NSD_9__find_if7functorIS9_EEEE10hipError_tPvRmT1_T2_T3_mT4_P12ihipStream_tbEUlT_E0_NS1_11comp_targetILNS1_3genE5ELNS1_11target_archE942ELNS1_3gpuE9ELNS1_3repE0EEENS1_30default_config_static_selectorELNS0_4arch9wavefront6targetE0EEEvS14_,comdat
.Lfunc_end556:
	.size	_ZN7rocprim17ROCPRIM_400000_NS6detail17trampoline_kernelINS0_14default_configENS1_22reduce_config_selectorIN6thrust23THRUST_200600_302600_NS5tupleIblNS6_9null_typeES8_S8_S8_S8_S8_S8_S8_EEEEZNS1_11reduce_implILb1ES3_NS6_12zip_iteratorINS7_INS6_11hip_rocprim26transform_input_iterator_tIbNSD_35transform_pair_of_input_iterators_tIbNS6_6detail15normal_iteratorINS6_10device_ptrIKsEEEESL_NS6_8equal_toIsEEEENSG_9not_fun_tINSD_8identityEEEEENSD_19counting_iterator_tIlEES8_S8_S8_S8_S8_S8_S8_S8_EEEEPS9_S9_NSD_9__find_if7functorIS9_EEEE10hipError_tPvRmT1_T2_T3_mT4_P12ihipStream_tbEUlT_E0_NS1_11comp_targetILNS1_3genE5ELNS1_11target_archE942ELNS1_3gpuE9ELNS1_3repE0EEENS1_30default_config_static_selectorELNS0_4arch9wavefront6targetE0EEEvS14_, .Lfunc_end556-_ZN7rocprim17ROCPRIM_400000_NS6detail17trampoline_kernelINS0_14default_configENS1_22reduce_config_selectorIN6thrust23THRUST_200600_302600_NS5tupleIblNS6_9null_typeES8_S8_S8_S8_S8_S8_S8_EEEEZNS1_11reduce_implILb1ES3_NS6_12zip_iteratorINS7_INS6_11hip_rocprim26transform_input_iterator_tIbNSD_35transform_pair_of_input_iterators_tIbNS6_6detail15normal_iteratorINS6_10device_ptrIKsEEEESL_NS6_8equal_toIsEEEENSG_9not_fun_tINSD_8identityEEEEENSD_19counting_iterator_tIlEES8_S8_S8_S8_S8_S8_S8_S8_EEEEPS9_S9_NSD_9__find_if7functorIS9_EEEE10hipError_tPvRmT1_T2_T3_mT4_P12ihipStream_tbEUlT_E0_NS1_11comp_targetILNS1_3genE5ELNS1_11target_archE942ELNS1_3gpuE9ELNS1_3repE0EEENS1_30default_config_static_selectorELNS0_4arch9wavefront6targetE0EEEvS14_
                                        ; -- End function
	.section	.AMDGPU.csdata,"",@progbits
; Kernel info:
; codeLenInByte = 0
; NumSgprs: 0
; NumVgprs: 0
; ScratchSize: 0
; MemoryBound: 0
; FloatMode: 240
; IeeeMode: 1
; LDSByteSize: 0 bytes/workgroup (compile time only)
; SGPRBlocks: 0
; VGPRBlocks: 0
; NumSGPRsForWavesPerEU: 1
; NumVGPRsForWavesPerEU: 1
; Occupancy: 16
; WaveLimiterHint : 0
; COMPUTE_PGM_RSRC2:SCRATCH_EN: 0
; COMPUTE_PGM_RSRC2:USER_SGPR: 15
; COMPUTE_PGM_RSRC2:TRAP_HANDLER: 0
; COMPUTE_PGM_RSRC2:TGID_X_EN: 1
; COMPUTE_PGM_RSRC2:TGID_Y_EN: 0
; COMPUTE_PGM_RSRC2:TGID_Z_EN: 0
; COMPUTE_PGM_RSRC2:TIDIG_COMP_CNT: 0
	.section	.text._ZN7rocprim17ROCPRIM_400000_NS6detail17trampoline_kernelINS0_14default_configENS1_22reduce_config_selectorIN6thrust23THRUST_200600_302600_NS5tupleIblNS6_9null_typeES8_S8_S8_S8_S8_S8_S8_EEEEZNS1_11reduce_implILb1ES3_NS6_12zip_iteratorINS7_INS6_11hip_rocprim26transform_input_iterator_tIbNSD_35transform_pair_of_input_iterators_tIbNS6_6detail15normal_iteratorINS6_10device_ptrIKsEEEESL_NS6_8equal_toIsEEEENSG_9not_fun_tINSD_8identityEEEEENSD_19counting_iterator_tIlEES8_S8_S8_S8_S8_S8_S8_S8_EEEEPS9_S9_NSD_9__find_if7functorIS9_EEEE10hipError_tPvRmT1_T2_T3_mT4_P12ihipStream_tbEUlT_E0_NS1_11comp_targetILNS1_3genE4ELNS1_11target_archE910ELNS1_3gpuE8ELNS1_3repE0EEENS1_30default_config_static_selectorELNS0_4arch9wavefront6targetE0EEEvS14_,"axG",@progbits,_ZN7rocprim17ROCPRIM_400000_NS6detail17trampoline_kernelINS0_14default_configENS1_22reduce_config_selectorIN6thrust23THRUST_200600_302600_NS5tupleIblNS6_9null_typeES8_S8_S8_S8_S8_S8_S8_EEEEZNS1_11reduce_implILb1ES3_NS6_12zip_iteratorINS7_INS6_11hip_rocprim26transform_input_iterator_tIbNSD_35transform_pair_of_input_iterators_tIbNS6_6detail15normal_iteratorINS6_10device_ptrIKsEEEESL_NS6_8equal_toIsEEEENSG_9not_fun_tINSD_8identityEEEEENSD_19counting_iterator_tIlEES8_S8_S8_S8_S8_S8_S8_S8_EEEEPS9_S9_NSD_9__find_if7functorIS9_EEEE10hipError_tPvRmT1_T2_T3_mT4_P12ihipStream_tbEUlT_E0_NS1_11comp_targetILNS1_3genE4ELNS1_11target_archE910ELNS1_3gpuE8ELNS1_3repE0EEENS1_30default_config_static_selectorELNS0_4arch9wavefront6targetE0EEEvS14_,comdat
	.protected	_ZN7rocprim17ROCPRIM_400000_NS6detail17trampoline_kernelINS0_14default_configENS1_22reduce_config_selectorIN6thrust23THRUST_200600_302600_NS5tupleIblNS6_9null_typeES8_S8_S8_S8_S8_S8_S8_EEEEZNS1_11reduce_implILb1ES3_NS6_12zip_iteratorINS7_INS6_11hip_rocprim26transform_input_iterator_tIbNSD_35transform_pair_of_input_iterators_tIbNS6_6detail15normal_iteratorINS6_10device_ptrIKsEEEESL_NS6_8equal_toIsEEEENSG_9not_fun_tINSD_8identityEEEEENSD_19counting_iterator_tIlEES8_S8_S8_S8_S8_S8_S8_S8_EEEEPS9_S9_NSD_9__find_if7functorIS9_EEEE10hipError_tPvRmT1_T2_T3_mT4_P12ihipStream_tbEUlT_E0_NS1_11comp_targetILNS1_3genE4ELNS1_11target_archE910ELNS1_3gpuE8ELNS1_3repE0EEENS1_30default_config_static_selectorELNS0_4arch9wavefront6targetE0EEEvS14_ ; -- Begin function _ZN7rocprim17ROCPRIM_400000_NS6detail17trampoline_kernelINS0_14default_configENS1_22reduce_config_selectorIN6thrust23THRUST_200600_302600_NS5tupleIblNS6_9null_typeES8_S8_S8_S8_S8_S8_S8_EEEEZNS1_11reduce_implILb1ES3_NS6_12zip_iteratorINS7_INS6_11hip_rocprim26transform_input_iterator_tIbNSD_35transform_pair_of_input_iterators_tIbNS6_6detail15normal_iteratorINS6_10device_ptrIKsEEEESL_NS6_8equal_toIsEEEENSG_9not_fun_tINSD_8identityEEEEENSD_19counting_iterator_tIlEES8_S8_S8_S8_S8_S8_S8_S8_EEEEPS9_S9_NSD_9__find_if7functorIS9_EEEE10hipError_tPvRmT1_T2_T3_mT4_P12ihipStream_tbEUlT_E0_NS1_11comp_targetILNS1_3genE4ELNS1_11target_archE910ELNS1_3gpuE8ELNS1_3repE0EEENS1_30default_config_static_selectorELNS0_4arch9wavefront6targetE0EEEvS14_
	.globl	_ZN7rocprim17ROCPRIM_400000_NS6detail17trampoline_kernelINS0_14default_configENS1_22reduce_config_selectorIN6thrust23THRUST_200600_302600_NS5tupleIblNS6_9null_typeES8_S8_S8_S8_S8_S8_S8_EEEEZNS1_11reduce_implILb1ES3_NS6_12zip_iteratorINS7_INS6_11hip_rocprim26transform_input_iterator_tIbNSD_35transform_pair_of_input_iterators_tIbNS6_6detail15normal_iteratorINS6_10device_ptrIKsEEEESL_NS6_8equal_toIsEEEENSG_9not_fun_tINSD_8identityEEEEENSD_19counting_iterator_tIlEES8_S8_S8_S8_S8_S8_S8_S8_EEEEPS9_S9_NSD_9__find_if7functorIS9_EEEE10hipError_tPvRmT1_T2_T3_mT4_P12ihipStream_tbEUlT_E0_NS1_11comp_targetILNS1_3genE4ELNS1_11target_archE910ELNS1_3gpuE8ELNS1_3repE0EEENS1_30default_config_static_selectorELNS0_4arch9wavefront6targetE0EEEvS14_
	.p2align	8
	.type	_ZN7rocprim17ROCPRIM_400000_NS6detail17trampoline_kernelINS0_14default_configENS1_22reduce_config_selectorIN6thrust23THRUST_200600_302600_NS5tupleIblNS6_9null_typeES8_S8_S8_S8_S8_S8_S8_EEEEZNS1_11reduce_implILb1ES3_NS6_12zip_iteratorINS7_INS6_11hip_rocprim26transform_input_iterator_tIbNSD_35transform_pair_of_input_iterators_tIbNS6_6detail15normal_iteratorINS6_10device_ptrIKsEEEESL_NS6_8equal_toIsEEEENSG_9not_fun_tINSD_8identityEEEEENSD_19counting_iterator_tIlEES8_S8_S8_S8_S8_S8_S8_S8_EEEEPS9_S9_NSD_9__find_if7functorIS9_EEEE10hipError_tPvRmT1_T2_T3_mT4_P12ihipStream_tbEUlT_E0_NS1_11comp_targetILNS1_3genE4ELNS1_11target_archE910ELNS1_3gpuE8ELNS1_3repE0EEENS1_30default_config_static_selectorELNS0_4arch9wavefront6targetE0EEEvS14_,@function
_ZN7rocprim17ROCPRIM_400000_NS6detail17trampoline_kernelINS0_14default_configENS1_22reduce_config_selectorIN6thrust23THRUST_200600_302600_NS5tupleIblNS6_9null_typeES8_S8_S8_S8_S8_S8_S8_EEEEZNS1_11reduce_implILb1ES3_NS6_12zip_iteratorINS7_INS6_11hip_rocprim26transform_input_iterator_tIbNSD_35transform_pair_of_input_iterators_tIbNS6_6detail15normal_iteratorINS6_10device_ptrIKsEEEESL_NS6_8equal_toIsEEEENSG_9not_fun_tINSD_8identityEEEEENSD_19counting_iterator_tIlEES8_S8_S8_S8_S8_S8_S8_S8_EEEEPS9_S9_NSD_9__find_if7functorIS9_EEEE10hipError_tPvRmT1_T2_T3_mT4_P12ihipStream_tbEUlT_E0_NS1_11comp_targetILNS1_3genE4ELNS1_11target_archE910ELNS1_3gpuE8ELNS1_3repE0EEENS1_30default_config_static_selectorELNS0_4arch9wavefront6targetE0EEEvS14_: ; @_ZN7rocprim17ROCPRIM_400000_NS6detail17trampoline_kernelINS0_14default_configENS1_22reduce_config_selectorIN6thrust23THRUST_200600_302600_NS5tupleIblNS6_9null_typeES8_S8_S8_S8_S8_S8_S8_EEEEZNS1_11reduce_implILb1ES3_NS6_12zip_iteratorINS7_INS6_11hip_rocprim26transform_input_iterator_tIbNSD_35transform_pair_of_input_iterators_tIbNS6_6detail15normal_iteratorINS6_10device_ptrIKsEEEESL_NS6_8equal_toIsEEEENSG_9not_fun_tINSD_8identityEEEEENSD_19counting_iterator_tIlEES8_S8_S8_S8_S8_S8_S8_S8_EEEEPS9_S9_NSD_9__find_if7functorIS9_EEEE10hipError_tPvRmT1_T2_T3_mT4_P12ihipStream_tbEUlT_E0_NS1_11comp_targetILNS1_3genE4ELNS1_11target_archE910ELNS1_3gpuE8ELNS1_3repE0EEENS1_30default_config_static_selectorELNS0_4arch9wavefront6targetE0EEEvS14_
; %bb.0:
	.section	.rodata,"a",@progbits
	.p2align	6, 0x0
	.amdhsa_kernel _ZN7rocprim17ROCPRIM_400000_NS6detail17trampoline_kernelINS0_14default_configENS1_22reduce_config_selectorIN6thrust23THRUST_200600_302600_NS5tupleIblNS6_9null_typeES8_S8_S8_S8_S8_S8_S8_EEEEZNS1_11reduce_implILb1ES3_NS6_12zip_iteratorINS7_INS6_11hip_rocprim26transform_input_iterator_tIbNSD_35transform_pair_of_input_iterators_tIbNS6_6detail15normal_iteratorINS6_10device_ptrIKsEEEESL_NS6_8equal_toIsEEEENSG_9not_fun_tINSD_8identityEEEEENSD_19counting_iterator_tIlEES8_S8_S8_S8_S8_S8_S8_S8_EEEEPS9_S9_NSD_9__find_if7functorIS9_EEEE10hipError_tPvRmT1_T2_T3_mT4_P12ihipStream_tbEUlT_E0_NS1_11comp_targetILNS1_3genE4ELNS1_11target_archE910ELNS1_3gpuE8ELNS1_3repE0EEENS1_30default_config_static_selectorELNS0_4arch9wavefront6targetE0EEEvS14_
		.amdhsa_group_segment_fixed_size 0
		.amdhsa_private_segment_fixed_size 0
		.amdhsa_kernarg_size 104
		.amdhsa_user_sgpr_count 15
		.amdhsa_user_sgpr_dispatch_ptr 0
		.amdhsa_user_sgpr_queue_ptr 0
		.amdhsa_user_sgpr_kernarg_segment_ptr 1
		.amdhsa_user_sgpr_dispatch_id 0
		.amdhsa_user_sgpr_private_segment_size 0
		.amdhsa_wavefront_size32 1
		.amdhsa_uses_dynamic_stack 0
		.amdhsa_enable_private_segment 0
		.amdhsa_system_sgpr_workgroup_id_x 1
		.amdhsa_system_sgpr_workgroup_id_y 0
		.amdhsa_system_sgpr_workgroup_id_z 0
		.amdhsa_system_sgpr_workgroup_info 0
		.amdhsa_system_vgpr_workitem_id 0
		.amdhsa_next_free_vgpr 1
		.amdhsa_next_free_sgpr 1
		.amdhsa_reserve_vcc 0
		.amdhsa_float_round_mode_32 0
		.amdhsa_float_round_mode_16_64 0
		.amdhsa_float_denorm_mode_32 3
		.amdhsa_float_denorm_mode_16_64 3
		.amdhsa_dx10_clamp 1
		.amdhsa_ieee_mode 1
		.amdhsa_fp16_overflow 0
		.amdhsa_workgroup_processor_mode 1
		.amdhsa_memory_ordered 1
		.amdhsa_forward_progress 0
		.amdhsa_shared_vgpr_count 0
		.amdhsa_exception_fp_ieee_invalid_op 0
		.amdhsa_exception_fp_denorm_src 0
		.amdhsa_exception_fp_ieee_div_zero 0
		.amdhsa_exception_fp_ieee_overflow 0
		.amdhsa_exception_fp_ieee_underflow 0
		.amdhsa_exception_fp_ieee_inexact 0
		.amdhsa_exception_int_div_zero 0
	.end_amdhsa_kernel
	.section	.text._ZN7rocprim17ROCPRIM_400000_NS6detail17trampoline_kernelINS0_14default_configENS1_22reduce_config_selectorIN6thrust23THRUST_200600_302600_NS5tupleIblNS6_9null_typeES8_S8_S8_S8_S8_S8_S8_EEEEZNS1_11reduce_implILb1ES3_NS6_12zip_iteratorINS7_INS6_11hip_rocprim26transform_input_iterator_tIbNSD_35transform_pair_of_input_iterators_tIbNS6_6detail15normal_iteratorINS6_10device_ptrIKsEEEESL_NS6_8equal_toIsEEEENSG_9not_fun_tINSD_8identityEEEEENSD_19counting_iterator_tIlEES8_S8_S8_S8_S8_S8_S8_S8_EEEEPS9_S9_NSD_9__find_if7functorIS9_EEEE10hipError_tPvRmT1_T2_T3_mT4_P12ihipStream_tbEUlT_E0_NS1_11comp_targetILNS1_3genE4ELNS1_11target_archE910ELNS1_3gpuE8ELNS1_3repE0EEENS1_30default_config_static_selectorELNS0_4arch9wavefront6targetE0EEEvS14_,"axG",@progbits,_ZN7rocprim17ROCPRIM_400000_NS6detail17trampoline_kernelINS0_14default_configENS1_22reduce_config_selectorIN6thrust23THRUST_200600_302600_NS5tupleIblNS6_9null_typeES8_S8_S8_S8_S8_S8_S8_EEEEZNS1_11reduce_implILb1ES3_NS6_12zip_iteratorINS7_INS6_11hip_rocprim26transform_input_iterator_tIbNSD_35transform_pair_of_input_iterators_tIbNS6_6detail15normal_iteratorINS6_10device_ptrIKsEEEESL_NS6_8equal_toIsEEEENSG_9not_fun_tINSD_8identityEEEEENSD_19counting_iterator_tIlEES8_S8_S8_S8_S8_S8_S8_S8_EEEEPS9_S9_NSD_9__find_if7functorIS9_EEEE10hipError_tPvRmT1_T2_T3_mT4_P12ihipStream_tbEUlT_E0_NS1_11comp_targetILNS1_3genE4ELNS1_11target_archE910ELNS1_3gpuE8ELNS1_3repE0EEENS1_30default_config_static_selectorELNS0_4arch9wavefront6targetE0EEEvS14_,comdat
.Lfunc_end557:
	.size	_ZN7rocprim17ROCPRIM_400000_NS6detail17trampoline_kernelINS0_14default_configENS1_22reduce_config_selectorIN6thrust23THRUST_200600_302600_NS5tupleIblNS6_9null_typeES8_S8_S8_S8_S8_S8_S8_EEEEZNS1_11reduce_implILb1ES3_NS6_12zip_iteratorINS7_INS6_11hip_rocprim26transform_input_iterator_tIbNSD_35transform_pair_of_input_iterators_tIbNS6_6detail15normal_iteratorINS6_10device_ptrIKsEEEESL_NS6_8equal_toIsEEEENSG_9not_fun_tINSD_8identityEEEEENSD_19counting_iterator_tIlEES8_S8_S8_S8_S8_S8_S8_S8_EEEEPS9_S9_NSD_9__find_if7functorIS9_EEEE10hipError_tPvRmT1_T2_T3_mT4_P12ihipStream_tbEUlT_E0_NS1_11comp_targetILNS1_3genE4ELNS1_11target_archE910ELNS1_3gpuE8ELNS1_3repE0EEENS1_30default_config_static_selectorELNS0_4arch9wavefront6targetE0EEEvS14_, .Lfunc_end557-_ZN7rocprim17ROCPRIM_400000_NS6detail17trampoline_kernelINS0_14default_configENS1_22reduce_config_selectorIN6thrust23THRUST_200600_302600_NS5tupleIblNS6_9null_typeES8_S8_S8_S8_S8_S8_S8_EEEEZNS1_11reduce_implILb1ES3_NS6_12zip_iteratorINS7_INS6_11hip_rocprim26transform_input_iterator_tIbNSD_35transform_pair_of_input_iterators_tIbNS6_6detail15normal_iteratorINS6_10device_ptrIKsEEEESL_NS6_8equal_toIsEEEENSG_9not_fun_tINSD_8identityEEEEENSD_19counting_iterator_tIlEES8_S8_S8_S8_S8_S8_S8_S8_EEEEPS9_S9_NSD_9__find_if7functorIS9_EEEE10hipError_tPvRmT1_T2_T3_mT4_P12ihipStream_tbEUlT_E0_NS1_11comp_targetILNS1_3genE4ELNS1_11target_archE910ELNS1_3gpuE8ELNS1_3repE0EEENS1_30default_config_static_selectorELNS0_4arch9wavefront6targetE0EEEvS14_
                                        ; -- End function
	.section	.AMDGPU.csdata,"",@progbits
; Kernel info:
; codeLenInByte = 0
; NumSgprs: 0
; NumVgprs: 0
; ScratchSize: 0
; MemoryBound: 0
; FloatMode: 240
; IeeeMode: 1
; LDSByteSize: 0 bytes/workgroup (compile time only)
; SGPRBlocks: 0
; VGPRBlocks: 0
; NumSGPRsForWavesPerEU: 1
; NumVGPRsForWavesPerEU: 1
; Occupancy: 16
; WaveLimiterHint : 0
; COMPUTE_PGM_RSRC2:SCRATCH_EN: 0
; COMPUTE_PGM_RSRC2:USER_SGPR: 15
; COMPUTE_PGM_RSRC2:TRAP_HANDLER: 0
; COMPUTE_PGM_RSRC2:TGID_X_EN: 1
; COMPUTE_PGM_RSRC2:TGID_Y_EN: 0
; COMPUTE_PGM_RSRC2:TGID_Z_EN: 0
; COMPUTE_PGM_RSRC2:TIDIG_COMP_CNT: 0
	.section	.text._ZN7rocprim17ROCPRIM_400000_NS6detail17trampoline_kernelINS0_14default_configENS1_22reduce_config_selectorIN6thrust23THRUST_200600_302600_NS5tupleIblNS6_9null_typeES8_S8_S8_S8_S8_S8_S8_EEEEZNS1_11reduce_implILb1ES3_NS6_12zip_iteratorINS7_INS6_11hip_rocprim26transform_input_iterator_tIbNSD_35transform_pair_of_input_iterators_tIbNS6_6detail15normal_iteratorINS6_10device_ptrIKsEEEESL_NS6_8equal_toIsEEEENSG_9not_fun_tINSD_8identityEEEEENSD_19counting_iterator_tIlEES8_S8_S8_S8_S8_S8_S8_S8_EEEEPS9_S9_NSD_9__find_if7functorIS9_EEEE10hipError_tPvRmT1_T2_T3_mT4_P12ihipStream_tbEUlT_E0_NS1_11comp_targetILNS1_3genE3ELNS1_11target_archE908ELNS1_3gpuE7ELNS1_3repE0EEENS1_30default_config_static_selectorELNS0_4arch9wavefront6targetE0EEEvS14_,"axG",@progbits,_ZN7rocprim17ROCPRIM_400000_NS6detail17trampoline_kernelINS0_14default_configENS1_22reduce_config_selectorIN6thrust23THRUST_200600_302600_NS5tupleIblNS6_9null_typeES8_S8_S8_S8_S8_S8_S8_EEEEZNS1_11reduce_implILb1ES3_NS6_12zip_iteratorINS7_INS6_11hip_rocprim26transform_input_iterator_tIbNSD_35transform_pair_of_input_iterators_tIbNS6_6detail15normal_iteratorINS6_10device_ptrIKsEEEESL_NS6_8equal_toIsEEEENSG_9not_fun_tINSD_8identityEEEEENSD_19counting_iterator_tIlEES8_S8_S8_S8_S8_S8_S8_S8_EEEEPS9_S9_NSD_9__find_if7functorIS9_EEEE10hipError_tPvRmT1_T2_T3_mT4_P12ihipStream_tbEUlT_E0_NS1_11comp_targetILNS1_3genE3ELNS1_11target_archE908ELNS1_3gpuE7ELNS1_3repE0EEENS1_30default_config_static_selectorELNS0_4arch9wavefront6targetE0EEEvS14_,comdat
	.protected	_ZN7rocprim17ROCPRIM_400000_NS6detail17trampoline_kernelINS0_14default_configENS1_22reduce_config_selectorIN6thrust23THRUST_200600_302600_NS5tupleIblNS6_9null_typeES8_S8_S8_S8_S8_S8_S8_EEEEZNS1_11reduce_implILb1ES3_NS6_12zip_iteratorINS7_INS6_11hip_rocprim26transform_input_iterator_tIbNSD_35transform_pair_of_input_iterators_tIbNS6_6detail15normal_iteratorINS6_10device_ptrIKsEEEESL_NS6_8equal_toIsEEEENSG_9not_fun_tINSD_8identityEEEEENSD_19counting_iterator_tIlEES8_S8_S8_S8_S8_S8_S8_S8_EEEEPS9_S9_NSD_9__find_if7functorIS9_EEEE10hipError_tPvRmT1_T2_T3_mT4_P12ihipStream_tbEUlT_E0_NS1_11comp_targetILNS1_3genE3ELNS1_11target_archE908ELNS1_3gpuE7ELNS1_3repE0EEENS1_30default_config_static_selectorELNS0_4arch9wavefront6targetE0EEEvS14_ ; -- Begin function _ZN7rocprim17ROCPRIM_400000_NS6detail17trampoline_kernelINS0_14default_configENS1_22reduce_config_selectorIN6thrust23THRUST_200600_302600_NS5tupleIblNS6_9null_typeES8_S8_S8_S8_S8_S8_S8_EEEEZNS1_11reduce_implILb1ES3_NS6_12zip_iteratorINS7_INS6_11hip_rocprim26transform_input_iterator_tIbNSD_35transform_pair_of_input_iterators_tIbNS6_6detail15normal_iteratorINS6_10device_ptrIKsEEEESL_NS6_8equal_toIsEEEENSG_9not_fun_tINSD_8identityEEEEENSD_19counting_iterator_tIlEES8_S8_S8_S8_S8_S8_S8_S8_EEEEPS9_S9_NSD_9__find_if7functorIS9_EEEE10hipError_tPvRmT1_T2_T3_mT4_P12ihipStream_tbEUlT_E0_NS1_11comp_targetILNS1_3genE3ELNS1_11target_archE908ELNS1_3gpuE7ELNS1_3repE0EEENS1_30default_config_static_selectorELNS0_4arch9wavefront6targetE0EEEvS14_
	.globl	_ZN7rocprim17ROCPRIM_400000_NS6detail17trampoline_kernelINS0_14default_configENS1_22reduce_config_selectorIN6thrust23THRUST_200600_302600_NS5tupleIblNS6_9null_typeES8_S8_S8_S8_S8_S8_S8_EEEEZNS1_11reduce_implILb1ES3_NS6_12zip_iteratorINS7_INS6_11hip_rocprim26transform_input_iterator_tIbNSD_35transform_pair_of_input_iterators_tIbNS6_6detail15normal_iteratorINS6_10device_ptrIKsEEEESL_NS6_8equal_toIsEEEENSG_9not_fun_tINSD_8identityEEEEENSD_19counting_iterator_tIlEES8_S8_S8_S8_S8_S8_S8_S8_EEEEPS9_S9_NSD_9__find_if7functorIS9_EEEE10hipError_tPvRmT1_T2_T3_mT4_P12ihipStream_tbEUlT_E0_NS1_11comp_targetILNS1_3genE3ELNS1_11target_archE908ELNS1_3gpuE7ELNS1_3repE0EEENS1_30default_config_static_selectorELNS0_4arch9wavefront6targetE0EEEvS14_
	.p2align	8
	.type	_ZN7rocprim17ROCPRIM_400000_NS6detail17trampoline_kernelINS0_14default_configENS1_22reduce_config_selectorIN6thrust23THRUST_200600_302600_NS5tupleIblNS6_9null_typeES8_S8_S8_S8_S8_S8_S8_EEEEZNS1_11reduce_implILb1ES3_NS6_12zip_iteratorINS7_INS6_11hip_rocprim26transform_input_iterator_tIbNSD_35transform_pair_of_input_iterators_tIbNS6_6detail15normal_iteratorINS6_10device_ptrIKsEEEESL_NS6_8equal_toIsEEEENSG_9not_fun_tINSD_8identityEEEEENSD_19counting_iterator_tIlEES8_S8_S8_S8_S8_S8_S8_S8_EEEEPS9_S9_NSD_9__find_if7functorIS9_EEEE10hipError_tPvRmT1_T2_T3_mT4_P12ihipStream_tbEUlT_E0_NS1_11comp_targetILNS1_3genE3ELNS1_11target_archE908ELNS1_3gpuE7ELNS1_3repE0EEENS1_30default_config_static_selectorELNS0_4arch9wavefront6targetE0EEEvS14_,@function
_ZN7rocprim17ROCPRIM_400000_NS6detail17trampoline_kernelINS0_14default_configENS1_22reduce_config_selectorIN6thrust23THRUST_200600_302600_NS5tupleIblNS6_9null_typeES8_S8_S8_S8_S8_S8_S8_EEEEZNS1_11reduce_implILb1ES3_NS6_12zip_iteratorINS7_INS6_11hip_rocprim26transform_input_iterator_tIbNSD_35transform_pair_of_input_iterators_tIbNS6_6detail15normal_iteratorINS6_10device_ptrIKsEEEESL_NS6_8equal_toIsEEEENSG_9not_fun_tINSD_8identityEEEEENSD_19counting_iterator_tIlEES8_S8_S8_S8_S8_S8_S8_S8_EEEEPS9_S9_NSD_9__find_if7functorIS9_EEEE10hipError_tPvRmT1_T2_T3_mT4_P12ihipStream_tbEUlT_E0_NS1_11comp_targetILNS1_3genE3ELNS1_11target_archE908ELNS1_3gpuE7ELNS1_3repE0EEENS1_30default_config_static_selectorELNS0_4arch9wavefront6targetE0EEEvS14_: ; @_ZN7rocprim17ROCPRIM_400000_NS6detail17trampoline_kernelINS0_14default_configENS1_22reduce_config_selectorIN6thrust23THRUST_200600_302600_NS5tupleIblNS6_9null_typeES8_S8_S8_S8_S8_S8_S8_EEEEZNS1_11reduce_implILb1ES3_NS6_12zip_iteratorINS7_INS6_11hip_rocprim26transform_input_iterator_tIbNSD_35transform_pair_of_input_iterators_tIbNS6_6detail15normal_iteratorINS6_10device_ptrIKsEEEESL_NS6_8equal_toIsEEEENSG_9not_fun_tINSD_8identityEEEEENSD_19counting_iterator_tIlEES8_S8_S8_S8_S8_S8_S8_S8_EEEEPS9_S9_NSD_9__find_if7functorIS9_EEEE10hipError_tPvRmT1_T2_T3_mT4_P12ihipStream_tbEUlT_E0_NS1_11comp_targetILNS1_3genE3ELNS1_11target_archE908ELNS1_3gpuE7ELNS1_3repE0EEENS1_30default_config_static_selectorELNS0_4arch9wavefront6targetE0EEEvS14_
; %bb.0:
	.section	.rodata,"a",@progbits
	.p2align	6, 0x0
	.amdhsa_kernel _ZN7rocprim17ROCPRIM_400000_NS6detail17trampoline_kernelINS0_14default_configENS1_22reduce_config_selectorIN6thrust23THRUST_200600_302600_NS5tupleIblNS6_9null_typeES8_S8_S8_S8_S8_S8_S8_EEEEZNS1_11reduce_implILb1ES3_NS6_12zip_iteratorINS7_INS6_11hip_rocprim26transform_input_iterator_tIbNSD_35transform_pair_of_input_iterators_tIbNS6_6detail15normal_iteratorINS6_10device_ptrIKsEEEESL_NS6_8equal_toIsEEEENSG_9not_fun_tINSD_8identityEEEEENSD_19counting_iterator_tIlEES8_S8_S8_S8_S8_S8_S8_S8_EEEEPS9_S9_NSD_9__find_if7functorIS9_EEEE10hipError_tPvRmT1_T2_T3_mT4_P12ihipStream_tbEUlT_E0_NS1_11comp_targetILNS1_3genE3ELNS1_11target_archE908ELNS1_3gpuE7ELNS1_3repE0EEENS1_30default_config_static_selectorELNS0_4arch9wavefront6targetE0EEEvS14_
		.amdhsa_group_segment_fixed_size 0
		.amdhsa_private_segment_fixed_size 0
		.amdhsa_kernarg_size 104
		.amdhsa_user_sgpr_count 15
		.amdhsa_user_sgpr_dispatch_ptr 0
		.amdhsa_user_sgpr_queue_ptr 0
		.amdhsa_user_sgpr_kernarg_segment_ptr 1
		.amdhsa_user_sgpr_dispatch_id 0
		.amdhsa_user_sgpr_private_segment_size 0
		.amdhsa_wavefront_size32 1
		.amdhsa_uses_dynamic_stack 0
		.amdhsa_enable_private_segment 0
		.amdhsa_system_sgpr_workgroup_id_x 1
		.amdhsa_system_sgpr_workgroup_id_y 0
		.amdhsa_system_sgpr_workgroup_id_z 0
		.amdhsa_system_sgpr_workgroup_info 0
		.amdhsa_system_vgpr_workitem_id 0
		.amdhsa_next_free_vgpr 1
		.amdhsa_next_free_sgpr 1
		.amdhsa_reserve_vcc 0
		.amdhsa_float_round_mode_32 0
		.amdhsa_float_round_mode_16_64 0
		.amdhsa_float_denorm_mode_32 3
		.amdhsa_float_denorm_mode_16_64 3
		.amdhsa_dx10_clamp 1
		.amdhsa_ieee_mode 1
		.amdhsa_fp16_overflow 0
		.amdhsa_workgroup_processor_mode 1
		.amdhsa_memory_ordered 1
		.amdhsa_forward_progress 0
		.amdhsa_shared_vgpr_count 0
		.amdhsa_exception_fp_ieee_invalid_op 0
		.amdhsa_exception_fp_denorm_src 0
		.amdhsa_exception_fp_ieee_div_zero 0
		.amdhsa_exception_fp_ieee_overflow 0
		.amdhsa_exception_fp_ieee_underflow 0
		.amdhsa_exception_fp_ieee_inexact 0
		.amdhsa_exception_int_div_zero 0
	.end_amdhsa_kernel
	.section	.text._ZN7rocprim17ROCPRIM_400000_NS6detail17trampoline_kernelINS0_14default_configENS1_22reduce_config_selectorIN6thrust23THRUST_200600_302600_NS5tupleIblNS6_9null_typeES8_S8_S8_S8_S8_S8_S8_EEEEZNS1_11reduce_implILb1ES3_NS6_12zip_iteratorINS7_INS6_11hip_rocprim26transform_input_iterator_tIbNSD_35transform_pair_of_input_iterators_tIbNS6_6detail15normal_iteratorINS6_10device_ptrIKsEEEESL_NS6_8equal_toIsEEEENSG_9not_fun_tINSD_8identityEEEEENSD_19counting_iterator_tIlEES8_S8_S8_S8_S8_S8_S8_S8_EEEEPS9_S9_NSD_9__find_if7functorIS9_EEEE10hipError_tPvRmT1_T2_T3_mT4_P12ihipStream_tbEUlT_E0_NS1_11comp_targetILNS1_3genE3ELNS1_11target_archE908ELNS1_3gpuE7ELNS1_3repE0EEENS1_30default_config_static_selectorELNS0_4arch9wavefront6targetE0EEEvS14_,"axG",@progbits,_ZN7rocprim17ROCPRIM_400000_NS6detail17trampoline_kernelINS0_14default_configENS1_22reduce_config_selectorIN6thrust23THRUST_200600_302600_NS5tupleIblNS6_9null_typeES8_S8_S8_S8_S8_S8_S8_EEEEZNS1_11reduce_implILb1ES3_NS6_12zip_iteratorINS7_INS6_11hip_rocprim26transform_input_iterator_tIbNSD_35transform_pair_of_input_iterators_tIbNS6_6detail15normal_iteratorINS6_10device_ptrIKsEEEESL_NS6_8equal_toIsEEEENSG_9not_fun_tINSD_8identityEEEEENSD_19counting_iterator_tIlEES8_S8_S8_S8_S8_S8_S8_S8_EEEEPS9_S9_NSD_9__find_if7functorIS9_EEEE10hipError_tPvRmT1_T2_T3_mT4_P12ihipStream_tbEUlT_E0_NS1_11comp_targetILNS1_3genE3ELNS1_11target_archE908ELNS1_3gpuE7ELNS1_3repE0EEENS1_30default_config_static_selectorELNS0_4arch9wavefront6targetE0EEEvS14_,comdat
.Lfunc_end558:
	.size	_ZN7rocprim17ROCPRIM_400000_NS6detail17trampoline_kernelINS0_14default_configENS1_22reduce_config_selectorIN6thrust23THRUST_200600_302600_NS5tupleIblNS6_9null_typeES8_S8_S8_S8_S8_S8_S8_EEEEZNS1_11reduce_implILb1ES3_NS6_12zip_iteratorINS7_INS6_11hip_rocprim26transform_input_iterator_tIbNSD_35transform_pair_of_input_iterators_tIbNS6_6detail15normal_iteratorINS6_10device_ptrIKsEEEESL_NS6_8equal_toIsEEEENSG_9not_fun_tINSD_8identityEEEEENSD_19counting_iterator_tIlEES8_S8_S8_S8_S8_S8_S8_S8_EEEEPS9_S9_NSD_9__find_if7functorIS9_EEEE10hipError_tPvRmT1_T2_T3_mT4_P12ihipStream_tbEUlT_E0_NS1_11comp_targetILNS1_3genE3ELNS1_11target_archE908ELNS1_3gpuE7ELNS1_3repE0EEENS1_30default_config_static_selectorELNS0_4arch9wavefront6targetE0EEEvS14_, .Lfunc_end558-_ZN7rocprim17ROCPRIM_400000_NS6detail17trampoline_kernelINS0_14default_configENS1_22reduce_config_selectorIN6thrust23THRUST_200600_302600_NS5tupleIblNS6_9null_typeES8_S8_S8_S8_S8_S8_S8_EEEEZNS1_11reduce_implILb1ES3_NS6_12zip_iteratorINS7_INS6_11hip_rocprim26transform_input_iterator_tIbNSD_35transform_pair_of_input_iterators_tIbNS6_6detail15normal_iteratorINS6_10device_ptrIKsEEEESL_NS6_8equal_toIsEEEENSG_9not_fun_tINSD_8identityEEEEENSD_19counting_iterator_tIlEES8_S8_S8_S8_S8_S8_S8_S8_EEEEPS9_S9_NSD_9__find_if7functorIS9_EEEE10hipError_tPvRmT1_T2_T3_mT4_P12ihipStream_tbEUlT_E0_NS1_11comp_targetILNS1_3genE3ELNS1_11target_archE908ELNS1_3gpuE7ELNS1_3repE0EEENS1_30default_config_static_selectorELNS0_4arch9wavefront6targetE0EEEvS14_
                                        ; -- End function
	.section	.AMDGPU.csdata,"",@progbits
; Kernel info:
; codeLenInByte = 0
; NumSgprs: 0
; NumVgprs: 0
; ScratchSize: 0
; MemoryBound: 0
; FloatMode: 240
; IeeeMode: 1
; LDSByteSize: 0 bytes/workgroup (compile time only)
; SGPRBlocks: 0
; VGPRBlocks: 0
; NumSGPRsForWavesPerEU: 1
; NumVGPRsForWavesPerEU: 1
; Occupancy: 16
; WaveLimiterHint : 0
; COMPUTE_PGM_RSRC2:SCRATCH_EN: 0
; COMPUTE_PGM_RSRC2:USER_SGPR: 15
; COMPUTE_PGM_RSRC2:TRAP_HANDLER: 0
; COMPUTE_PGM_RSRC2:TGID_X_EN: 1
; COMPUTE_PGM_RSRC2:TGID_Y_EN: 0
; COMPUTE_PGM_RSRC2:TGID_Z_EN: 0
; COMPUTE_PGM_RSRC2:TIDIG_COMP_CNT: 0
	.section	.text._ZN7rocprim17ROCPRIM_400000_NS6detail17trampoline_kernelINS0_14default_configENS1_22reduce_config_selectorIN6thrust23THRUST_200600_302600_NS5tupleIblNS6_9null_typeES8_S8_S8_S8_S8_S8_S8_EEEEZNS1_11reduce_implILb1ES3_NS6_12zip_iteratorINS7_INS6_11hip_rocprim26transform_input_iterator_tIbNSD_35transform_pair_of_input_iterators_tIbNS6_6detail15normal_iteratorINS6_10device_ptrIKsEEEESL_NS6_8equal_toIsEEEENSG_9not_fun_tINSD_8identityEEEEENSD_19counting_iterator_tIlEES8_S8_S8_S8_S8_S8_S8_S8_EEEEPS9_S9_NSD_9__find_if7functorIS9_EEEE10hipError_tPvRmT1_T2_T3_mT4_P12ihipStream_tbEUlT_E0_NS1_11comp_targetILNS1_3genE2ELNS1_11target_archE906ELNS1_3gpuE6ELNS1_3repE0EEENS1_30default_config_static_selectorELNS0_4arch9wavefront6targetE0EEEvS14_,"axG",@progbits,_ZN7rocprim17ROCPRIM_400000_NS6detail17trampoline_kernelINS0_14default_configENS1_22reduce_config_selectorIN6thrust23THRUST_200600_302600_NS5tupleIblNS6_9null_typeES8_S8_S8_S8_S8_S8_S8_EEEEZNS1_11reduce_implILb1ES3_NS6_12zip_iteratorINS7_INS6_11hip_rocprim26transform_input_iterator_tIbNSD_35transform_pair_of_input_iterators_tIbNS6_6detail15normal_iteratorINS6_10device_ptrIKsEEEESL_NS6_8equal_toIsEEEENSG_9not_fun_tINSD_8identityEEEEENSD_19counting_iterator_tIlEES8_S8_S8_S8_S8_S8_S8_S8_EEEEPS9_S9_NSD_9__find_if7functorIS9_EEEE10hipError_tPvRmT1_T2_T3_mT4_P12ihipStream_tbEUlT_E0_NS1_11comp_targetILNS1_3genE2ELNS1_11target_archE906ELNS1_3gpuE6ELNS1_3repE0EEENS1_30default_config_static_selectorELNS0_4arch9wavefront6targetE0EEEvS14_,comdat
	.protected	_ZN7rocprim17ROCPRIM_400000_NS6detail17trampoline_kernelINS0_14default_configENS1_22reduce_config_selectorIN6thrust23THRUST_200600_302600_NS5tupleIblNS6_9null_typeES8_S8_S8_S8_S8_S8_S8_EEEEZNS1_11reduce_implILb1ES3_NS6_12zip_iteratorINS7_INS6_11hip_rocprim26transform_input_iterator_tIbNSD_35transform_pair_of_input_iterators_tIbNS6_6detail15normal_iteratorINS6_10device_ptrIKsEEEESL_NS6_8equal_toIsEEEENSG_9not_fun_tINSD_8identityEEEEENSD_19counting_iterator_tIlEES8_S8_S8_S8_S8_S8_S8_S8_EEEEPS9_S9_NSD_9__find_if7functorIS9_EEEE10hipError_tPvRmT1_T2_T3_mT4_P12ihipStream_tbEUlT_E0_NS1_11comp_targetILNS1_3genE2ELNS1_11target_archE906ELNS1_3gpuE6ELNS1_3repE0EEENS1_30default_config_static_selectorELNS0_4arch9wavefront6targetE0EEEvS14_ ; -- Begin function _ZN7rocprim17ROCPRIM_400000_NS6detail17trampoline_kernelINS0_14default_configENS1_22reduce_config_selectorIN6thrust23THRUST_200600_302600_NS5tupleIblNS6_9null_typeES8_S8_S8_S8_S8_S8_S8_EEEEZNS1_11reduce_implILb1ES3_NS6_12zip_iteratorINS7_INS6_11hip_rocprim26transform_input_iterator_tIbNSD_35transform_pair_of_input_iterators_tIbNS6_6detail15normal_iteratorINS6_10device_ptrIKsEEEESL_NS6_8equal_toIsEEEENSG_9not_fun_tINSD_8identityEEEEENSD_19counting_iterator_tIlEES8_S8_S8_S8_S8_S8_S8_S8_EEEEPS9_S9_NSD_9__find_if7functorIS9_EEEE10hipError_tPvRmT1_T2_T3_mT4_P12ihipStream_tbEUlT_E0_NS1_11comp_targetILNS1_3genE2ELNS1_11target_archE906ELNS1_3gpuE6ELNS1_3repE0EEENS1_30default_config_static_selectorELNS0_4arch9wavefront6targetE0EEEvS14_
	.globl	_ZN7rocprim17ROCPRIM_400000_NS6detail17trampoline_kernelINS0_14default_configENS1_22reduce_config_selectorIN6thrust23THRUST_200600_302600_NS5tupleIblNS6_9null_typeES8_S8_S8_S8_S8_S8_S8_EEEEZNS1_11reduce_implILb1ES3_NS6_12zip_iteratorINS7_INS6_11hip_rocprim26transform_input_iterator_tIbNSD_35transform_pair_of_input_iterators_tIbNS6_6detail15normal_iteratorINS6_10device_ptrIKsEEEESL_NS6_8equal_toIsEEEENSG_9not_fun_tINSD_8identityEEEEENSD_19counting_iterator_tIlEES8_S8_S8_S8_S8_S8_S8_S8_EEEEPS9_S9_NSD_9__find_if7functorIS9_EEEE10hipError_tPvRmT1_T2_T3_mT4_P12ihipStream_tbEUlT_E0_NS1_11comp_targetILNS1_3genE2ELNS1_11target_archE906ELNS1_3gpuE6ELNS1_3repE0EEENS1_30default_config_static_selectorELNS0_4arch9wavefront6targetE0EEEvS14_
	.p2align	8
	.type	_ZN7rocprim17ROCPRIM_400000_NS6detail17trampoline_kernelINS0_14default_configENS1_22reduce_config_selectorIN6thrust23THRUST_200600_302600_NS5tupleIblNS6_9null_typeES8_S8_S8_S8_S8_S8_S8_EEEEZNS1_11reduce_implILb1ES3_NS6_12zip_iteratorINS7_INS6_11hip_rocprim26transform_input_iterator_tIbNSD_35transform_pair_of_input_iterators_tIbNS6_6detail15normal_iteratorINS6_10device_ptrIKsEEEESL_NS6_8equal_toIsEEEENSG_9not_fun_tINSD_8identityEEEEENSD_19counting_iterator_tIlEES8_S8_S8_S8_S8_S8_S8_S8_EEEEPS9_S9_NSD_9__find_if7functorIS9_EEEE10hipError_tPvRmT1_T2_T3_mT4_P12ihipStream_tbEUlT_E0_NS1_11comp_targetILNS1_3genE2ELNS1_11target_archE906ELNS1_3gpuE6ELNS1_3repE0EEENS1_30default_config_static_selectorELNS0_4arch9wavefront6targetE0EEEvS14_,@function
_ZN7rocprim17ROCPRIM_400000_NS6detail17trampoline_kernelINS0_14default_configENS1_22reduce_config_selectorIN6thrust23THRUST_200600_302600_NS5tupleIblNS6_9null_typeES8_S8_S8_S8_S8_S8_S8_EEEEZNS1_11reduce_implILb1ES3_NS6_12zip_iteratorINS7_INS6_11hip_rocprim26transform_input_iterator_tIbNSD_35transform_pair_of_input_iterators_tIbNS6_6detail15normal_iteratorINS6_10device_ptrIKsEEEESL_NS6_8equal_toIsEEEENSG_9not_fun_tINSD_8identityEEEEENSD_19counting_iterator_tIlEES8_S8_S8_S8_S8_S8_S8_S8_EEEEPS9_S9_NSD_9__find_if7functorIS9_EEEE10hipError_tPvRmT1_T2_T3_mT4_P12ihipStream_tbEUlT_E0_NS1_11comp_targetILNS1_3genE2ELNS1_11target_archE906ELNS1_3gpuE6ELNS1_3repE0EEENS1_30default_config_static_selectorELNS0_4arch9wavefront6targetE0EEEvS14_: ; @_ZN7rocprim17ROCPRIM_400000_NS6detail17trampoline_kernelINS0_14default_configENS1_22reduce_config_selectorIN6thrust23THRUST_200600_302600_NS5tupleIblNS6_9null_typeES8_S8_S8_S8_S8_S8_S8_EEEEZNS1_11reduce_implILb1ES3_NS6_12zip_iteratorINS7_INS6_11hip_rocprim26transform_input_iterator_tIbNSD_35transform_pair_of_input_iterators_tIbNS6_6detail15normal_iteratorINS6_10device_ptrIKsEEEESL_NS6_8equal_toIsEEEENSG_9not_fun_tINSD_8identityEEEEENSD_19counting_iterator_tIlEES8_S8_S8_S8_S8_S8_S8_S8_EEEEPS9_S9_NSD_9__find_if7functorIS9_EEEE10hipError_tPvRmT1_T2_T3_mT4_P12ihipStream_tbEUlT_E0_NS1_11comp_targetILNS1_3genE2ELNS1_11target_archE906ELNS1_3gpuE6ELNS1_3repE0EEENS1_30default_config_static_selectorELNS0_4arch9wavefront6targetE0EEEvS14_
; %bb.0:
	.section	.rodata,"a",@progbits
	.p2align	6, 0x0
	.amdhsa_kernel _ZN7rocprim17ROCPRIM_400000_NS6detail17trampoline_kernelINS0_14default_configENS1_22reduce_config_selectorIN6thrust23THRUST_200600_302600_NS5tupleIblNS6_9null_typeES8_S8_S8_S8_S8_S8_S8_EEEEZNS1_11reduce_implILb1ES3_NS6_12zip_iteratorINS7_INS6_11hip_rocprim26transform_input_iterator_tIbNSD_35transform_pair_of_input_iterators_tIbNS6_6detail15normal_iteratorINS6_10device_ptrIKsEEEESL_NS6_8equal_toIsEEEENSG_9not_fun_tINSD_8identityEEEEENSD_19counting_iterator_tIlEES8_S8_S8_S8_S8_S8_S8_S8_EEEEPS9_S9_NSD_9__find_if7functorIS9_EEEE10hipError_tPvRmT1_T2_T3_mT4_P12ihipStream_tbEUlT_E0_NS1_11comp_targetILNS1_3genE2ELNS1_11target_archE906ELNS1_3gpuE6ELNS1_3repE0EEENS1_30default_config_static_selectorELNS0_4arch9wavefront6targetE0EEEvS14_
		.amdhsa_group_segment_fixed_size 0
		.amdhsa_private_segment_fixed_size 0
		.amdhsa_kernarg_size 104
		.amdhsa_user_sgpr_count 15
		.amdhsa_user_sgpr_dispatch_ptr 0
		.amdhsa_user_sgpr_queue_ptr 0
		.amdhsa_user_sgpr_kernarg_segment_ptr 1
		.amdhsa_user_sgpr_dispatch_id 0
		.amdhsa_user_sgpr_private_segment_size 0
		.amdhsa_wavefront_size32 1
		.amdhsa_uses_dynamic_stack 0
		.amdhsa_enable_private_segment 0
		.amdhsa_system_sgpr_workgroup_id_x 1
		.amdhsa_system_sgpr_workgroup_id_y 0
		.amdhsa_system_sgpr_workgroup_id_z 0
		.amdhsa_system_sgpr_workgroup_info 0
		.amdhsa_system_vgpr_workitem_id 0
		.amdhsa_next_free_vgpr 1
		.amdhsa_next_free_sgpr 1
		.amdhsa_reserve_vcc 0
		.amdhsa_float_round_mode_32 0
		.amdhsa_float_round_mode_16_64 0
		.amdhsa_float_denorm_mode_32 3
		.amdhsa_float_denorm_mode_16_64 3
		.amdhsa_dx10_clamp 1
		.amdhsa_ieee_mode 1
		.amdhsa_fp16_overflow 0
		.amdhsa_workgroup_processor_mode 1
		.amdhsa_memory_ordered 1
		.amdhsa_forward_progress 0
		.amdhsa_shared_vgpr_count 0
		.amdhsa_exception_fp_ieee_invalid_op 0
		.amdhsa_exception_fp_denorm_src 0
		.amdhsa_exception_fp_ieee_div_zero 0
		.amdhsa_exception_fp_ieee_overflow 0
		.amdhsa_exception_fp_ieee_underflow 0
		.amdhsa_exception_fp_ieee_inexact 0
		.amdhsa_exception_int_div_zero 0
	.end_amdhsa_kernel
	.section	.text._ZN7rocprim17ROCPRIM_400000_NS6detail17trampoline_kernelINS0_14default_configENS1_22reduce_config_selectorIN6thrust23THRUST_200600_302600_NS5tupleIblNS6_9null_typeES8_S8_S8_S8_S8_S8_S8_EEEEZNS1_11reduce_implILb1ES3_NS6_12zip_iteratorINS7_INS6_11hip_rocprim26transform_input_iterator_tIbNSD_35transform_pair_of_input_iterators_tIbNS6_6detail15normal_iteratorINS6_10device_ptrIKsEEEESL_NS6_8equal_toIsEEEENSG_9not_fun_tINSD_8identityEEEEENSD_19counting_iterator_tIlEES8_S8_S8_S8_S8_S8_S8_S8_EEEEPS9_S9_NSD_9__find_if7functorIS9_EEEE10hipError_tPvRmT1_T2_T3_mT4_P12ihipStream_tbEUlT_E0_NS1_11comp_targetILNS1_3genE2ELNS1_11target_archE906ELNS1_3gpuE6ELNS1_3repE0EEENS1_30default_config_static_selectorELNS0_4arch9wavefront6targetE0EEEvS14_,"axG",@progbits,_ZN7rocprim17ROCPRIM_400000_NS6detail17trampoline_kernelINS0_14default_configENS1_22reduce_config_selectorIN6thrust23THRUST_200600_302600_NS5tupleIblNS6_9null_typeES8_S8_S8_S8_S8_S8_S8_EEEEZNS1_11reduce_implILb1ES3_NS6_12zip_iteratorINS7_INS6_11hip_rocprim26transform_input_iterator_tIbNSD_35transform_pair_of_input_iterators_tIbNS6_6detail15normal_iteratorINS6_10device_ptrIKsEEEESL_NS6_8equal_toIsEEEENSG_9not_fun_tINSD_8identityEEEEENSD_19counting_iterator_tIlEES8_S8_S8_S8_S8_S8_S8_S8_EEEEPS9_S9_NSD_9__find_if7functorIS9_EEEE10hipError_tPvRmT1_T2_T3_mT4_P12ihipStream_tbEUlT_E0_NS1_11comp_targetILNS1_3genE2ELNS1_11target_archE906ELNS1_3gpuE6ELNS1_3repE0EEENS1_30default_config_static_selectorELNS0_4arch9wavefront6targetE0EEEvS14_,comdat
.Lfunc_end559:
	.size	_ZN7rocprim17ROCPRIM_400000_NS6detail17trampoline_kernelINS0_14default_configENS1_22reduce_config_selectorIN6thrust23THRUST_200600_302600_NS5tupleIblNS6_9null_typeES8_S8_S8_S8_S8_S8_S8_EEEEZNS1_11reduce_implILb1ES3_NS6_12zip_iteratorINS7_INS6_11hip_rocprim26transform_input_iterator_tIbNSD_35transform_pair_of_input_iterators_tIbNS6_6detail15normal_iteratorINS6_10device_ptrIKsEEEESL_NS6_8equal_toIsEEEENSG_9not_fun_tINSD_8identityEEEEENSD_19counting_iterator_tIlEES8_S8_S8_S8_S8_S8_S8_S8_EEEEPS9_S9_NSD_9__find_if7functorIS9_EEEE10hipError_tPvRmT1_T2_T3_mT4_P12ihipStream_tbEUlT_E0_NS1_11comp_targetILNS1_3genE2ELNS1_11target_archE906ELNS1_3gpuE6ELNS1_3repE0EEENS1_30default_config_static_selectorELNS0_4arch9wavefront6targetE0EEEvS14_, .Lfunc_end559-_ZN7rocprim17ROCPRIM_400000_NS6detail17trampoline_kernelINS0_14default_configENS1_22reduce_config_selectorIN6thrust23THRUST_200600_302600_NS5tupleIblNS6_9null_typeES8_S8_S8_S8_S8_S8_S8_EEEEZNS1_11reduce_implILb1ES3_NS6_12zip_iteratorINS7_INS6_11hip_rocprim26transform_input_iterator_tIbNSD_35transform_pair_of_input_iterators_tIbNS6_6detail15normal_iteratorINS6_10device_ptrIKsEEEESL_NS6_8equal_toIsEEEENSG_9not_fun_tINSD_8identityEEEEENSD_19counting_iterator_tIlEES8_S8_S8_S8_S8_S8_S8_S8_EEEEPS9_S9_NSD_9__find_if7functorIS9_EEEE10hipError_tPvRmT1_T2_T3_mT4_P12ihipStream_tbEUlT_E0_NS1_11comp_targetILNS1_3genE2ELNS1_11target_archE906ELNS1_3gpuE6ELNS1_3repE0EEENS1_30default_config_static_selectorELNS0_4arch9wavefront6targetE0EEEvS14_
                                        ; -- End function
	.section	.AMDGPU.csdata,"",@progbits
; Kernel info:
; codeLenInByte = 0
; NumSgprs: 0
; NumVgprs: 0
; ScratchSize: 0
; MemoryBound: 0
; FloatMode: 240
; IeeeMode: 1
; LDSByteSize: 0 bytes/workgroup (compile time only)
; SGPRBlocks: 0
; VGPRBlocks: 0
; NumSGPRsForWavesPerEU: 1
; NumVGPRsForWavesPerEU: 1
; Occupancy: 16
; WaveLimiterHint : 0
; COMPUTE_PGM_RSRC2:SCRATCH_EN: 0
; COMPUTE_PGM_RSRC2:USER_SGPR: 15
; COMPUTE_PGM_RSRC2:TRAP_HANDLER: 0
; COMPUTE_PGM_RSRC2:TGID_X_EN: 1
; COMPUTE_PGM_RSRC2:TGID_Y_EN: 0
; COMPUTE_PGM_RSRC2:TGID_Z_EN: 0
; COMPUTE_PGM_RSRC2:TIDIG_COMP_CNT: 0
	.section	.text._ZN7rocprim17ROCPRIM_400000_NS6detail17trampoline_kernelINS0_14default_configENS1_22reduce_config_selectorIN6thrust23THRUST_200600_302600_NS5tupleIblNS6_9null_typeES8_S8_S8_S8_S8_S8_S8_EEEEZNS1_11reduce_implILb1ES3_NS6_12zip_iteratorINS7_INS6_11hip_rocprim26transform_input_iterator_tIbNSD_35transform_pair_of_input_iterators_tIbNS6_6detail15normal_iteratorINS6_10device_ptrIKsEEEESL_NS6_8equal_toIsEEEENSG_9not_fun_tINSD_8identityEEEEENSD_19counting_iterator_tIlEES8_S8_S8_S8_S8_S8_S8_S8_EEEEPS9_S9_NSD_9__find_if7functorIS9_EEEE10hipError_tPvRmT1_T2_T3_mT4_P12ihipStream_tbEUlT_E0_NS1_11comp_targetILNS1_3genE10ELNS1_11target_archE1201ELNS1_3gpuE5ELNS1_3repE0EEENS1_30default_config_static_selectorELNS0_4arch9wavefront6targetE0EEEvS14_,"axG",@progbits,_ZN7rocprim17ROCPRIM_400000_NS6detail17trampoline_kernelINS0_14default_configENS1_22reduce_config_selectorIN6thrust23THRUST_200600_302600_NS5tupleIblNS6_9null_typeES8_S8_S8_S8_S8_S8_S8_EEEEZNS1_11reduce_implILb1ES3_NS6_12zip_iteratorINS7_INS6_11hip_rocprim26transform_input_iterator_tIbNSD_35transform_pair_of_input_iterators_tIbNS6_6detail15normal_iteratorINS6_10device_ptrIKsEEEESL_NS6_8equal_toIsEEEENSG_9not_fun_tINSD_8identityEEEEENSD_19counting_iterator_tIlEES8_S8_S8_S8_S8_S8_S8_S8_EEEEPS9_S9_NSD_9__find_if7functorIS9_EEEE10hipError_tPvRmT1_T2_T3_mT4_P12ihipStream_tbEUlT_E0_NS1_11comp_targetILNS1_3genE10ELNS1_11target_archE1201ELNS1_3gpuE5ELNS1_3repE0EEENS1_30default_config_static_selectorELNS0_4arch9wavefront6targetE0EEEvS14_,comdat
	.protected	_ZN7rocprim17ROCPRIM_400000_NS6detail17trampoline_kernelINS0_14default_configENS1_22reduce_config_selectorIN6thrust23THRUST_200600_302600_NS5tupleIblNS6_9null_typeES8_S8_S8_S8_S8_S8_S8_EEEEZNS1_11reduce_implILb1ES3_NS6_12zip_iteratorINS7_INS6_11hip_rocprim26transform_input_iterator_tIbNSD_35transform_pair_of_input_iterators_tIbNS6_6detail15normal_iteratorINS6_10device_ptrIKsEEEESL_NS6_8equal_toIsEEEENSG_9not_fun_tINSD_8identityEEEEENSD_19counting_iterator_tIlEES8_S8_S8_S8_S8_S8_S8_S8_EEEEPS9_S9_NSD_9__find_if7functorIS9_EEEE10hipError_tPvRmT1_T2_T3_mT4_P12ihipStream_tbEUlT_E0_NS1_11comp_targetILNS1_3genE10ELNS1_11target_archE1201ELNS1_3gpuE5ELNS1_3repE0EEENS1_30default_config_static_selectorELNS0_4arch9wavefront6targetE0EEEvS14_ ; -- Begin function _ZN7rocprim17ROCPRIM_400000_NS6detail17trampoline_kernelINS0_14default_configENS1_22reduce_config_selectorIN6thrust23THRUST_200600_302600_NS5tupleIblNS6_9null_typeES8_S8_S8_S8_S8_S8_S8_EEEEZNS1_11reduce_implILb1ES3_NS6_12zip_iteratorINS7_INS6_11hip_rocprim26transform_input_iterator_tIbNSD_35transform_pair_of_input_iterators_tIbNS6_6detail15normal_iteratorINS6_10device_ptrIKsEEEESL_NS6_8equal_toIsEEEENSG_9not_fun_tINSD_8identityEEEEENSD_19counting_iterator_tIlEES8_S8_S8_S8_S8_S8_S8_S8_EEEEPS9_S9_NSD_9__find_if7functorIS9_EEEE10hipError_tPvRmT1_T2_T3_mT4_P12ihipStream_tbEUlT_E0_NS1_11comp_targetILNS1_3genE10ELNS1_11target_archE1201ELNS1_3gpuE5ELNS1_3repE0EEENS1_30default_config_static_selectorELNS0_4arch9wavefront6targetE0EEEvS14_
	.globl	_ZN7rocprim17ROCPRIM_400000_NS6detail17trampoline_kernelINS0_14default_configENS1_22reduce_config_selectorIN6thrust23THRUST_200600_302600_NS5tupleIblNS6_9null_typeES8_S8_S8_S8_S8_S8_S8_EEEEZNS1_11reduce_implILb1ES3_NS6_12zip_iteratorINS7_INS6_11hip_rocprim26transform_input_iterator_tIbNSD_35transform_pair_of_input_iterators_tIbNS6_6detail15normal_iteratorINS6_10device_ptrIKsEEEESL_NS6_8equal_toIsEEEENSG_9not_fun_tINSD_8identityEEEEENSD_19counting_iterator_tIlEES8_S8_S8_S8_S8_S8_S8_S8_EEEEPS9_S9_NSD_9__find_if7functorIS9_EEEE10hipError_tPvRmT1_T2_T3_mT4_P12ihipStream_tbEUlT_E0_NS1_11comp_targetILNS1_3genE10ELNS1_11target_archE1201ELNS1_3gpuE5ELNS1_3repE0EEENS1_30default_config_static_selectorELNS0_4arch9wavefront6targetE0EEEvS14_
	.p2align	8
	.type	_ZN7rocprim17ROCPRIM_400000_NS6detail17trampoline_kernelINS0_14default_configENS1_22reduce_config_selectorIN6thrust23THRUST_200600_302600_NS5tupleIblNS6_9null_typeES8_S8_S8_S8_S8_S8_S8_EEEEZNS1_11reduce_implILb1ES3_NS6_12zip_iteratorINS7_INS6_11hip_rocprim26transform_input_iterator_tIbNSD_35transform_pair_of_input_iterators_tIbNS6_6detail15normal_iteratorINS6_10device_ptrIKsEEEESL_NS6_8equal_toIsEEEENSG_9not_fun_tINSD_8identityEEEEENSD_19counting_iterator_tIlEES8_S8_S8_S8_S8_S8_S8_S8_EEEEPS9_S9_NSD_9__find_if7functorIS9_EEEE10hipError_tPvRmT1_T2_T3_mT4_P12ihipStream_tbEUlT_E0_NS1_11comp_targetILNS1_3genE10ELNS1_11target_archE1201ELNS1_3gpuE5ELNS1_3repE0EEENS1_30default_config_static_selectorELNS0_4arch9wavefront6targetE0EEEvS14_,@function
_ZN7rocprim17ROCPRIM_400000_NS6detail17trampoline_kernelINS0_14default_configENS1_22reduce_config_selectorIN6thrust23THRUST_200600_302600_NS5tupleIblNS6_9null_typeES8_S8_S8_S8_S8_S8_S8_EEEEZNS1_11reduce_implILb1ES3_NS6_12zip_iteratorINS7_INS6_11hip_rocprim26transform_input_iterator_tIbNSD_35transform_pair_of_input_iterators_tIbNS6_6detail15normal_iteratorINS6_10device_ptrIKsEEEESL_NS6_8equal_toIsEEEENSG_9not_fun_tINSD_8identityEEEEENSD_19counting_iterator_tIlEES8_S8_S8_S8_S8_S8_S8_S8_EEEEPS9_S9_NSD_9__find_if7functorIS9_EEEE10hipError_tPvRmT1_T2_T3_mT4_P12ihipStream_tbEUlT_E0_NS1_11comp_targetILNS1_3genE10ELNS1_11target_archE1201ELNS1_3gpuE5ELNS1_3repE0EEENS1_30default_config_static_selectorELNS0_4arch9wavefront6targetE0EEEvS14_: ; @_ZN7rocprim17ROCPRIM_400000_NS6detail17trampoline_kernelINS0_14default_configENS1_22reduce_config_selectorIN6thrust23THRUST_200600_302600_NS5tupleIblNS6_9null_typeES8_S8_S8_S8_S8_S8_S8_EEEEZNS1_11reduce_implILb1ES3_NS6_12zip_iteratorINS7_INS6_11hip_rocprim26transform_input_iterator_tIbNSD_35transform_pair_of_input_iterators_tIbNS6_6detail15normal_iteratorINS6_10device_ptrIKsEEEESL_NS6_8equal_toIsEEEENSG_9not_fun_tINSD_8identityEEEEENSD_19counting_iterator_tIlEES8_S8_S8_S8_S8_S8_S8_S8_EEEEPS9_S9_NSD_9__find_if7functorIS9_EEEE10hipError_tPvRmT1_T2_T3_mT4_P12ihipStream_tbEUlT_E0_NS1_11comp_targetILNS1_3genE10ELNS1_11target_archE1201ELNS1_3gpuE5ELNS1_3repE0EEENS1_30default_config_static_selectorELNS0_4arch9wavefront6targetE0EEEvS14_
; %bb.0:
	.section	.rodata,"a",@progbits
	.p2align	6, 0x0
	.amdhsa_kernel _ZN7rocprim17ROCPRIM_400000_NS6detail17trampoline_kernelINS0_14default_configENS1_22reduce_config_selectorIN6thrust23THRUST_200600_302600_NS5tupleIblNS6_9null_typeES8_S8_S8_S8_S8_S8_S8_EEEEZNS1_11reduce_implILb1ES3_NS6_12zip_iteratorINS7_INS6_11hip_rocprim26transform_input_iterator_tIbNSD_35transform_pair_of_input_iterators_tIbNS6_6detail15normal_iteratorINS6_10device_ptrIKsEEEESL_NS6_8equal_toIsEEEENSG_9not_fun_tINSD_8identityEEEEENSD_19counting_iterator_tIlEES8_S8_S8_S8_S8_S8_S8_S8_EEEEPS9_S9_NSD_9__find_if7functorIS9_EEEE10hipError_tPvRmT1_T2_T3_mT4_P12ihipStream_tbEUlT_E0_NS1_11comp_targetILNS1_3genE10ELNS1_11target_archE1201ELNS1_3gpuE5ELNS1_3repE0EEENS1_30default_config_static_selectorELNS0_4arch9wavefront6targetE0EEEvS14_
		.amdhsa_group_segment_fixed_size 0
		.amdhsa_private_segment_fixed_size 0
		.amdhsa_kernarg_size 104
		.amdhsa_user_sgpr_count 15
		.amdhsa_user_sgpr_dispatch_ptr 0
		.amdhsa_user_sgpr_queue_ptr 0
		.amdhsa_user_sgpr_kernarg_segment_ptr 1
		.amdhsa_user_sgpr_dispatch_id 0
		.amdhsa_user_sgpr_private_segment_size 0
		.amdhsa_wavefront_size32 1
		.amdhsa_uses_dynamic_stack 0
		.amdhsa_enable_private_segment 0
		.amdhsa_system_sgpr_workgroup_id_x 1
		.amdhsa_system_sgpr_workgroup_id_y 0
		.amdhsa_system_sgpr_workgroup_id_z 0
		.amdhsa_system_sgpr_workgroup_info 0
		.amdhsa_system_vgpr_workitem_id 0
		.amdhsa_next_free_vgpr 1
		.amdhsa_next_free_sgpr 1
		.amdhsa_reserve_vcc 0
		.amdhsa_float_round_mode_32 0
		.amdhsa_float_round_mode_16_64 0
		.amdhsa_float_denorm_mode_32 3
		.amdhsa_float_denorm_mode_16_64 3
		.amdhsa_dx10_clamp 1
		.amdhsa_ieee_mode 1
		.amdhsa_fp16_overflow 0
		.amdhsa_workgroup_processor_mode 1
		.amdhsa_memory_ordered 1
		.amdhsa_forward_progress 0
		.amdhsa_shared_vgpr_count 0
		.amdhsa_exception_fp_ieee_invalid_op 0
		.amdhsa_exception_fp_denorm_src 0
		.amdhsa_exception_fp_ieee_div_zero 0
		.amdhsa_exception_fp_ieee_overflow 0
		.amdhsa_exception_fp_ieee_underflow 0
		.amdhsa_exception_fp_ieee_inexact 0
		.amdhsa_exception_int_div_zero 0
	.end_amdhsa_kernel
	.section	.text._ZN7rocprim17ROCPRIM_400000_NS6detail17trampoline_kernelINS0_14default_configENS1_22reduce_config_selectorIN6thrust23THRUST_200600_302600_NS5tupleIblNS6_9null_typeES8_S8_S8_S8_S8_S8_S8_EEEEZNS1_11reduce_implILb1ES3_NS6_12zip_iteratorINS7_INS6_11hip_rocprim26transform_input_iterator_tIbNSD_35transform_pair_of_input_iterators_tIbNS6_6detail15normal_iteratorINS6_10device_ptrIKsEEEESL_NS6_8equal_toIsEEEENSG_9not_fun_tINSD_8identityEEEEENSD_19counting_iterator_tIlEES8_S8_S8_S8_S8_S8_S8_S8_EEEEPS9_S9_NSD_9__find_if7functorIS9_EEEE10hipError_tPvRmT1_T2_T3_mT4_P12ihipStream_tbEUlT_E0_NS1_11comp_targetILNS1_3genE10ELNS1_11target_archE1201ELNS1_3gpuE5ELNS1_3repE0EEENS1_30default_config_static_selectorELNS0_4arch9wavefront6targetE0EEEvS14_,"axG",@progbits,_ZN7rocprim17ROCPRIM_400000_NS6detail17trampoline_kernelINS0_14default_configENS1_22reduce_config_selectorIN6thrust23THRUST_200600_302600_NS5tupleIblNS6_9null_typeES8_S8_S8_S8_S8_S8_S8_EEEEZNS1_11reduce_implILb1ES3_NS6_12zip_iteratorINS7_INS6_11hip_rocprim26transform_input_iterator_tIbNSD_35transform_pair_of_input_iterators_tIbNS6_6detail15normal_iteratorINS6_10device_ptrIKsEEEESL_NS6_8equal_toIsEEEENSG_9not_fun_tINSD_8identityEEEEENSD_19counting_iterator_tIlEES8_S8_S8_S8_S8_S8_S8_S8_EEEEPS9_S9_NSD_9__find_if7functorIS9_EEEE10hipError_tPvRmT1_T2_T3_mT4_P12ihipStream_tbEUlT_E0_NS1_11comp_targetILNS1_3genE10ELNS1_11target_archE1201ELNS1_3gpuE5ELNS1_3repE0EEENS1_30default_config_static_selectorELNS0_4arch9wavefront6targetE0EEEvS14_,comdat
.Lfunc_end560:
	.size	_ZN7rocprim17ROCPRIM_400000_NS6detail17trampoline_kernelINS0_14default_configENS1_22reduce_config_selectorIN6thrust23THRUST_200600_302600_NS5tupleIblNS6_9null_typeES8_S8_S8_S8_S8_S8_S8_EEEEZNS1_11reduce_implILb1ES3_NS6_12zip_iteratorINS7_INS6_11hip_rocprim26transform_input_iterator_tIbNSD_35transform_pair_of_input_iterators_tIbNS6_6detail15normal_iteratorINS6_10device_ptrIKsEEEESL_NS6_8equal_toIsEEEENSG_9not_fun_tINSD_8identityEEEEENSD_19counting_iterator_tIlEES8_S8_S8_S8_S8_S8_S8_S8_EEEEPS9_S9_NSD_9__find_if7functorIS9_EEEE10hipError_tPvRmT1_T2_T3_mT4_P12ihipStream_tbEUlT_E0_NS1_11comp_targetILNS1_3genE10ELNS1_11target_archE1201ELNS1_3gpuE5ELNS1_3repE0EEENS1_30default_config_static_selectorELNS0_4arch9wavefront6targetE0EEEvS14_, .Lfunc_end560-_ZN7rocprim17ROCPRIM_400000_NS6detail17trampoline_kernelINS0_14default_configENS1_22reduce_config_selectorIN6thrust23THRUST_200600_302600_NS5tupleIblNS6_9null_typeES8_S8_S8_S8_S8_S8_S8_EEEEZNS1_11reduce_implILb1ES3_NS6_12zip_iteratorINS7_INS6_11hip_rocprim26transform_input_iterator_tIbNSD_35transform_pair_of_input_iterators_tIbNS6_6detail15normal_iteratorINS6_10device_ptrIKsEEEESL_NS6_8equal_toIsEEEENSG_9not_fun_tINSD_8identityEEEEENSD_19counting_iterator_tIlEES8_S8_S8_S8_S8_S8_S8_S8_EEEEPS9_S9_NSD_9__find_if7functorIS9_EEEE10hipError_tPvRmT1_T2_T3_mT4_P12ihipStream_tbEUlT_E0_NS1_11comp_targetILNS1_3genE10ELNS1_11target_archE1201ELNS1_3gpuE5ELNS1_3repE0EEENS1_30default_config_static_selectorELNS0_4arch9wavefront6targetE0EEEvS14_
                                        ; -- End function
	.section	.AMDGPU.csdata,"",@progbits
; Kernel info:
; codeLenInByte = 0
; NumSgprs: 0
; NumVgprs: 0
; ScratchSize: 0
; MemoryBound: 0
; FloatMode: 240
; IeeeMode: 1
; LDSByteSize: 0 bytes/workgroup (compile time only)
; SGPRBlocks: 0
; VGPRBlocks: 0
; NumSGPRsForWavesPerEU: 1
; NumVGPRsForWavesPerEU: 1
; Occupancy: 16
; WaveLimiterHint : 0
; COMPUTE_PGM_RSRC2:SCRATCH_EN: 0
; COMPUTE_PGM_RSRC2:USER_SGPR: 15
; COMPUTE_PGM_RSRC2:TRAP_HANDLER: 0
; COMPUTE_PGM_RSRC2:TGID_X_EN: 1
; COMPUTE_PGM_RSRC2:TGID_Y_EN: 0
; COMPUTE_PGM_RSRC2:TGID_Z_EN: 0
; COMPUTE_PGM_RSRC2:TIDIG_COMP_CNT: 0
	.section	.text._ZN7rocprim17ROCPRIM_400000_NS6detail17trampoline_kernelINS0_14default_configENS1_22reduce_config_selectorIN6thrust23THRUST_200600_302600_NS5tupleIblNS6_9null_typeES8_S8_S8_S8_S8_S8_S8_EEEEZNS1_11reduce_implILb1ES3_NS6_12zip_iteratorINS7_INS6_11hip_rocprim26transform_input_iterator_tIbNSD_35transform_pair_of_input_iterators_tIbNS6_6detail15normal_iteratorINS6_10device_ptrIKsEEEESL_NS6_8equal_toIsEEEENSG_9not_fun_tINSD_8identityEEEEENSD_19counting_iterator_tIlEES8_S8_S8_S8_S8_S8_S8_S8_EEEEPS9_S9_NSD_9__find_if7functorIS9_EEEE10hipError_tPvRmT1_T2_T3_mT4_P12ihipStream_tbEUlT_E0_NS1_11comp_targetILNS1_3genE10ELNS1_11target_archE1200ELNS1_3gpuE4ELNS1_3repE0EEENS1_30default_config_static_selectorELNS0_4arch9wavefront6targetE0EEEvS14_,"axG",@progbits,_ZN7rocprim17ROCPRIM_400000_NS6detail17trampoline_kernelINS0_14default_configENS1_22reduce_config_selectorIN6thrust23THRUST_200600_302600_NS5tupleIblNS6_9null_typeES8_S8_S8_S8_S8_S8_S8_EEEEZNS1_11reduce_implILb1ES3_NS6_12zip_iteratorINS7_INS6_11hip_rocprim26transform_input_iterator_tIbNSD_35transform_pair_of_input_iterators_tIbNS6_6detail15normal_iteratorINS6_10device_ptrIKsEEEESL_NS6_8equal_toIsEEEENSG_9not_fun_tINSD_8identityEEEEENSD_19counting_iterator_tIlEES8_S8_S8_S8_S8_S8_S8_S8_EEEEPS9_S9_NSD_9__find_if7functorIS9_EEEE10hipError_tPvRmT1_T2_T3_mT4_P12ihipStream_tbEUlT_E0_NS1_11comp_targetILNS1_3genE10ELNS1_11target_archE1200ELNS1_3gpuE4ELNS1_3repE0EEENS1_30default_config_static_selectorELNS0_4arch9wavefront6targetE0EEEvS14_,comdat
	.protected	_ZN7rocprim17ROCPRIM_400000_NS6detail17trampoline_kernelINS0_14default_configENS1_22reduce_config_selectorIN6thrust23THRUST_200600_302600_NS5tupleIblNS6_9null_typeES8_S8_S8_S8_S8_S8_S8_EEEEZNS1_11reduce_implILb1ES3_NS6_12zip_iteratorINS7_INS6_11hip_rocprim26transform_input_iterator_tIbNSD_35transform_pair_of_input_iterators_tIbNS6_6detail15normal_iteratorINS6_10device_ptrIKsEEEESL_NS6_8equal_toIsEEEENSG_9not_fun_tINSD_8identityEEEEENSD_19counting_iterator_tIlEES8_S8_S8_S8_S8_S8_S8_S8_EEEEPS9_S9_NSD_9__find_if7functorIS9_EEEE10hipError_tPvRmT1_T2_T3_mT4_P12ihipStream_tbEUlT_E0_NS1_11comp_targetILNS1_3genE10ELNS1_11target_archE1200ELNS1_3gpuE4ELNS1_3repE0EEENS1_30default_config_static_selectorELNS0_4arch9wavefront6targetE0EEEvS14_ ; -- Begin function _ZN7rocprim17ROCPRIM_400000_NS6detail17trampoline_kernelINS0_14default_configENS1_22reduce_config_selectorIN6thrust23THRUST_200600_302600_NS5tupleIblNS6_9null_typeES8_S8_S8_S8_S8_S8_S8_EEEEZNS1_11reduce_implILb1ES3_NS6_12zip_iteratorINS7_INS6_11hip_rocprim26transform_input_iterator_tIbNSD_35transform_pair_of_input_iterators_tIbNS6_6detail15normal_iteratorINS6_10device_ptrIKsEEEESL_NS6_8equal_toIsEEEENSG_9not_fun_tINSD_8identityEEEEENSD_19counting_iterator_tIlEES8_S8_S8_S8_S8_S8_S8_S8_EEEEPS9_S9_NSD_9__find_if7functorIS9_EEEE10hipError_tPvRmT1_T2_T3_mT4_P12ihipStream_tbEUlT_E0_NS1_11comp_targetILNS1_3genE10ELNS1_11target_archE1200ELNS1_3gpuE4ELNS1_3repE0EEENS1_30default_config_static_selectorELNS0_4arch9wavefront6targetE0EEEvS14_
	.globl	_ZN7rocprim17ROCPRIM_400000_NS6detail17trampoline_kernelINS0_14default_configENS1_22reduce_config_selectorIN6thrust23THRUST_200600_302600_NS5tupleIblNS6_9null_typeES8_S8_S8_S8_S8_S8_S8_EEEEZNS1_11reduce_implILb1ES3_NS6_12zip_iteratorINS7_INS6_11hip_rocprim26transform_input_iterator_tIbNSD_35transform_pair_of_input_iterators_tIbNS6_6detail15normal_iteratorINS6_10device_ptrIKsEEEESL_NS6_8equal_toIsEEEENSG_9not_fun_tINSD_8identityEEEEENSD_19counting_iterator_tIlEES8_S8_S8_S8_S8_S8_S8_S8_EEEEPS9_S9_NSD_9__find_if7functorIS9_EEEE10hipError_tPvRmT1_T2_T3_mT4_P12ihipStream_tbEUlT_E0_NS1_11comp_targetILNS1_3genE10ELNS1_11target_archE1200ELNS1_3gpuE4ELNS1_3repE0EEENS1_30default_config_static_selectorELNS0_4arch9wavefront6targetE0EEEvS14_
	.p2align	8
	.type	_ZN7rocprim17ROCPRIM_400000_NS6detail17trampoline_kernelINS0_14default_configENS1_22reduce_config_selectorIN6thrust23THRUST_200600_302600_NS5tupleIblNS6_9null_typeES8_S8_S8_S8_S8_S8_S8_EEEEZNS1_11reduce_implILb1ES3_NS6_12zip_iteratorINS7_INS6_11hip_rocprim26transform_input_iterator_tIbNSD_35transform_pair_of_input_iterators_tIbNS6_6detail15normal_iteratorINS6_10device_ptrIKsEEEESL_NS6_8equal_toIsEEEENSG_9not_fun_tINSD_8identityEEEEENSD_19counting_iterator_tIlEES8_S8_S8_S8_S8_S8_S8_S8_EEEEPS9_S9_NSD_9__find_if7functorIS9_EEEE10hipError_tPvRmT1_T2_T3_mT4_P12ihipStream_tbEUlT_E0_NS1_11comp_targetILNS1_3genE10ELNS1_11target_archE1200ELNS1_3gpuE4ELNS1_3repE0EEENS1_30default_config_static_selectorELNS0_4arch9wavefront6targetE0EEEvS14_,@function
_ZN7rocprim17ROCPRIM_400000_NS6detail17trampoline_kernelINS0_14default_configENS1_22reduce_config_selectorIN6thrust23THRUST_200600_302600_NS5tupleIblNS6_9null_typeES8_S8_S8_S8_S8_S8_S8_EEEEZNS1_11reduce_implILb1ES3_NS6_12zip_iteratorINS7_INS6_11hip_rocprim26transform_input_iterator_tIbNSD_35transform_pair_of_input_iterators_tIbNS6_6detail15normal_iteratorINS6_10device_ptrIKsEEEESL_NS6_8equal_toIsEEEENSG_9not_fun_tINSD_8identityEEEEENSD_19counting_iterator_tIlEES8_S8_S8_S8_S8_S8_S8_S8_EEEEPS9_S9_NSD_9__find_if7functorIS9_EEEE10hipError_tPvRmT1_T2_T3_mT4_P12ihipStream_tbEUlT_E0_NS1_11comp_targetILNS1_3genE10ELNS1_11target_archE1200ELNS1_3gpuE4ELNS1_3repE0EEENS1_30default_config_static_selectorELNS0_4arch9wavefront6targetE0EEEvS14_: ; @_ZN7rocprim17ROCPRIM_400000_NS6detail17trampoline_kernelINS0_14default_configENS1_22reduce_config_selectorIN6thrust23THRUST_200600_302600_NS5tupleIblNS6_9null_typeES8_S8_S8_S8_S8_S8_S8_EEEEZNS1_11reduce_implILb1ES3_NS6_12zip_iteratorINS7_INS6_11hip_rocprim26transform_input_iterator_tIbNSD_35transform_pair_of_input_iterators_tIbNS6_6detail15normal_iteratorINS6_10device_ptrIKsEEEESL_NS6_8equal_toIsEEEENSG_9not_fun_tINSD_8identityEEEEENSD_19counting_iterator_tIlEES8_S8_S8_S8_S8_S8_S8_S8_EEEEPS9_S9_NSD_9__find_if7functorIS9_EEEE10hipError_tPvRmT1_T2_T3_mT4_P12ihipStream_tbEUlT_E0_NS1_11comp_targetILNS1_3genE10ELNS1_11target_archE1200ELNS1_3gpuE4ELNS1_3repE0EEENS1_30default_config_static_selectorELNS0_4arch9wavefront6targetE0EEEvS14_
; %bb.0:
	.section	.rodata,"a",@progbits
	.p2align	6, 0x0
	.amdhsa_kernel _ZN7rocprim17ROCPRIM_400000_NS6detail17trampoline_kernelINS0_14default_configENS1_22reduce_config_selectorIN6thrust23THRUST_200600_302600_NS5tupleIblNS6_9null_typeES8_S8_S8_S8_S8_S8_S8_EEEEZNS1_11reduce_implILb1ES3_NS6_12zip_iteratorINS7_INS6_11hip_rocprim26transform_input_iterator_tIbNSD_35transform_pair_of_input_iterators_tIbNS6_6detail15normal_iteratorINS6_10device_ptrIKsEEEESL_NS6_8equal_toIsEEEENSG_9not_fun_tINSD_8identityEEEEENSD_19counting_iterator_tIlEES8_S8_S8_S8_S8_S8_S8_S8_EEEEPS9_S9_NSD_9__find_if7functorIS9_EEEE10hipError_tPvRmT1_T2_T3_mT4_P12ihipStream_tbEUlT_E0_NS1_11comp_targetILNS1_3genE10ELNS1_11target_archE1200ELNS1_3gpuE4ELNS1_3repE0EEENS1_30default_config_static_selectorELNS0_4arch9wavefront6targetE0EEEvS14_
		.amdhsa_group_segment_fixed_size 0
		.amdhsa_private_segment_fixed_size 0
		.amdhsa_kernarg_size 104
		.amdhsa_user_sgpr_count 15
		.amdhsa_user_sgpr_dispatch_ptr 0
		.amdhsa_user_sgpr_queue_ptr 0
		.amdhsa_user_sgpr_kernarg_segment_ptr 1
		.amdhsa_user_sgpr_dispatch_id 0
		.amdhsa_user_sgpr_private_segment_size 0
		.amdhsa_wavefront_size32 1
		.amdhsa_uses_dynamic_stack 0
		.amdhsa_enable_private_segment 0
		.amdhsa_system_sgpr_workgroup_id_x 1
		.amdhsa_system_sgpr_workgroup_id_y 0
		.amdhsa_system_sgpr_workgroup_id_z 0
		.amdhsa_system_sgpr_workgroup_info 0
		.amdhsa_system_vgpr_workitem_id 0
		.amdhsa_next_free_vgpr 1
		.amdhsa_next_free_sgpr 1
		.amdhsa_reserve_vcc 0
		.amdhsa_float_round_mode_32 0
		.amdhsa_float_round_mode_16_64 0
		.amdhsa_float_denorm_mode_32 3
		.amdhsa_float_denorm_mode_16_64 3
		.amdhsa_dx10_clamp 1
		.amdhsa_ieee_mode 1
		.amdhsa_fp16_overflow 0
		.amdhsa_workgroup_processor_mode 1
		.amdhsa_memory_ordered 1
		.amdhsa_forward_progress 0
		.amdhsa_shared_vgpr_count 0
		.amdhsa_exception_fp_ieee_invalid_op 0
		.amdhsa_exception_fp_denorm_src 0
		.amdhsa_exception_fp_ieee_div_zero 0
		.amdhsa_exception_fp_ieee_overflow 0
		.amdhsa_exception_fp_ieee_underflow 0
		.amdhsa_exception_fp_ieee_inexact 0
		.amdhsa_exception_int_div_zero 0
	.end_amdhsa_kernel
	.section	.text._ZN7rocprim17ROCPRIM_400000_NS6detail17trampoline_kernelINS0_14default_configENS1_22reduce_config_selectorIN6thrust23THRUST_200600_302600_NS5tupleIblNS6_9null_typeES8_S8_S8_S8_S8_S8_S8_EEEEZNS1_11reduce_implILb1ES3_NS6_12zip_iteratorINS7_INS6_11hip_rocprim26transform_input_iterator_tIbNSD_35transform_pair_of_input_iterators_tIbNS6_6detail15normal_iteratorINS6_10device_ptrIKsEEEESL_NS6_8equal_toIsEEEENSG_9not_fun_tINSD_8identityEEEEENSD_19counting_iterator_tIlEES8_S8_S8_S8_S8_S8_S8_S8_EEEEPS9_S9_NSD_9__find_if7functorIS9_EEEE10hipError_tPvRmT1_T2_T3_mT4_P12ihipStream_tbEUlT_E0_NS1_11comp_targetILNS1_3genE10ELNS1_11target_archE1200ELNS1_3gpuE4ELNS1_3repE0EEENS1_30default_config_static_selectorELNS0_4arch9wavefront6targetE0EEEvS14_,"axG",@progbits,_ZN7rocprim17ROCPRIM_400000_NS6detail17trampoline_kernelINS0_14default_configENS1_22reduce_config_selectorIN6thrust23THRUST_200600_302600_NS5tupleIblNS6_9null_typeES8_S8_S8_S8_S8_S8_S8_EEEEZNS1_11reduce_implILb1ES3_NS6_12zip_iteratorINS7_INS6_11hip_rocprim26transform_input_iterator_tIbNSD_35transform_pair_of_input_iterators_tIbNS6_6detail15normal_iteratorINS6_10device_ptrIKsEEEESL_NS6_8equal_toIsEEEENSG_9not_fun_tINSD_8identityEEEEENSD_19counting_iterator_tIlEES8_S8_S8_S8_S8_S8_S8_S8_EEEEPS9_S9_NSD_9__find_if7functorIS9_EEEE10hipError_tPvRmT1_T2_T3_mT4_P12ihipStream_tbEUlT_E0_NS1_11comp_targetILNS1_3genE10ELNS1_11target_archE1200ELNS1_3gpuE4ELNS1_3repE0EEENS1_30default_config_static_selectorELNS0_4arch9wavefront6targetE0EEEvS14_,comdat
.Lfunc_end561:
	.size	_ZN7rocprim17ROCPRIM_400000_NS6detail17trampoline_kernelINS0_14default_configENS1_22reduce_config_selectorIN6thrust23THRUST_200600_302600_NS5tupleIblNS6_9null_typeES8_S8_S8_S8_S8_S8_S8_EEEEZNS1_11reduce_implILb1ES3_NS6_12zip_iteratorINS7_INS6_11hip_rocprim26transform_input_iterator_tIbNSD_35transform_pair_of_input_iterators_tIbNS6_6detail15normal_iteratorINS6_10device_ptrIKsEEEESL_NS6_8equal_toIsEEEENSG_9not_fun_tINSD_8identityEEEEENSD_19counting_iterator_tIlEES8_S8_S8_S8_S8_S8_S8_S8_EEEEPS9_S9_NSD_9__find_if7functorIS9_EEEE10hipError_tPvRmT1_T2_T3_mT4_P12ihipStream_tbEUlT_E0_NS1_11comp_targetILNS1_3genE10ELNS1_11target_archE1200ELNS1_3gpuE4ELNS1_3repE0EEENS1_30default_config_static_selectorELNS0_4arch9wavefront6targetE0EEEvS14_, .Lfunc_end561-_ZN7rocprim17ROCPRIM_400000_NS6detail17trampoline_kernelINS0_14default_configENS1_22reduce_config_selectorIN6thrust23THRUST_200600_302600_NS5tupleIblNS6_9null_typeES8_S8_S8_S8_S8_S8_S8_EEEEZNS1_11reduce_implILb1ES3_NS6_12zip_iteratorINS7_INS6_11hip_rocprim26transform_input_iterator_tIbNSD_35transform_pair_of_input_iterators_tIbNS6_6detail15normal_iteratorINS6_10device_ptrIKsEEEESL_NS6_8equal_toIsEEEENSG_9not_fun_tINSD_8identityEEEEENSD_19counting_iterator_tIlEES8_S8_S8_S8_S8_S8_S8_S8_EEEEPS9_S9_NSD_9__find_if7functorIS9_EEEE10hipError_tPvRmT1_T2_T3_mT4_P12ihipStream_tbEUlT_E0_NS1_11comp_targetILNS1_3genE10ELNS1_11target_archE1200ELNS1_3gpuE4ELNS1_3repE0EEENS1_30default_config_static_selectorELNS0_4arch9wavefront6targetE0EEEvS14_
                                        ; -- End function
	.section	.AMDGPU.csdata,"",@progbits
; Kernel info:
; codeLenInByte = 0
; NumSgprs: 0
; NumVgprs: 0
; ScratchSize: 0
; MemoryBound: 0
; FloatMode: 240
; IeeeMode: 1
; LDSByteSize: 0 bytes/workgroup (compile time only)
; SGPRBlocks: 0
; VGPRBlocks: 0
; NumSGPRsForWavesPerEU: 1
; NumVGPRsForWavesPerEU: 1
; Occupancy: 16
; WaveLimiterHint : 0
; COMPUTE_PGM_RSRC2:SCRATCH_EN: 0
; COMPUTE_PGM_RSRC2:USER_SGPR: 15
; COMPUTE_PGM_RSRC2:TRAP_HANDLER: 0
; COMPUTE_PGM_RSRC2:TGID_X_EN: 1
; COMPUTE_PGM_RSRC2:TGID_Y_EN: 0
; COMPUTE_PGM_RSRC2:TGID_Z_EN: 0
; COMPUTE_PGM_RSRC2:TIDIG_COMP_CNT: 0
	.section	.text._ZN7rocprim17ROCPRIM_400000_NS6detail17trampoline_kernelINS0_14default_configENS1_22reduce_config_selectorIN6thrust23THRUST_200600_302600_NS5tupleIblNS6_9null_typeES8_S8_S8_S8_S8_S8_S8_EEEEZNS1_11reduce_implILb1ES3_NS6_12zip_iteratorINS7_INS6_11hip_rocprim26transform_input_iterator_tIbNSD_35transform_pair_of_input_iterators_tIbNS6_6detail15normal_iteratorINS6_10device_ptrIKsEEEESL_NS6_8equal_toIsEEEENSG_9not_fun_tINSD_8identityEEEEENSD_19counting_iterator_tIlEES8_S8_S8_S8_S8_S8_S8_S8_EEEEPS9_S9_NSD_9__find_if7functorIS9_EEEE10hipError_tPvRmT1_T2_T3_mT4_P12ihipStream_tbEUlT_E0_NS1_11comp_targetILNS1_3genE9ELNS1_11target_archE1100ELNS1_3gpuE3ELNS1_3repE0EEENS1_30default_config_static_selectorELNS0_4arch9wavefront6targetE0EEEvS14_,"axG",@progbits,_ZN7rocprim17ROCPRIM_400000_NS6detail17trampoline_kernelINS0_14default_configENS1_22reduce_config_selectorIN6thrust23THRUST_200600_302600_NS5tupleIblNS6_9null_typeES8_S8_S8_S8_S8_S8_S8_EEEEZNS1_11reduce_implILb1ES3_NS6_12zip_iteratorINS7_INS6_11hip_rocprim26transform_input_iterator_tIbNSD_35transform_pair_of_input_iterators_tIbNS6_6detail15normal_iteratorINS6_10device_ptrIKsEEEESL_NS6_8equal_toIsEEEENSG_9not_fun_tINSD_8identityEEEEENSD_19counting_iterator_tIlEES8_S8_S8_S8_S8_S8_S8_S8_EEEEPS9_S9_NSD_9__find_if7functorIS9_EEEE10hipError_tPvRmT1_T2_T3_mT4_P12ihipStream_tbEUlT_E0_NS1_11comp_targetILNS1_3genE9ELNS1_11target_archE1100ELNS1_3gpuE3ELNS1_3repE0EEENS1_30default_config_static_selectorELNS0_4arch9wavefront6targetE0EEEvS14_,comdat
	.protected	_ZN7rocprim17ROCPRIM_400000_NS6detail17trampoline_kernelINS0_14default_configENS1_22reduce_config_selectorIN6thrust23THRUST_200600_302600_NS5tupleIblNS6_9null_typeES8_S8_S8_S8_S8_S8_S8_EEEEZNS1_11reduce_implILb1ES3_NS6_12zip_iteratorINS7_INS6_11hip_rocprim26transform_input_iterator_tIbNSD_35transform_pair_of_input_iterators_tIbNS6_6detail15normal_iteratorINS6_10device_ptrIKsEEEESL_NS6_8equal_toIsEEEENSG_9not_fun_tINSD_8identityEEEEENSD_19counting_iterator_tIlEES8_S8_S8_S8_S8_S8_S8_S8_EEEEPS9_S9_NSD_9__find_if7functorIS9_EEEE10hipError_tPvRmT1_T2_T3_mT4_P12ihipStream_tbEUlT_E0_NS1_11comp_targetILNS1_3genE9ELNS1_11target_archE1100ELNS1_3gpuE3ELNS1_3repE0EEENS1_30default_config_static_selectorELNS0_4arch9wavefront6targetE0EEEvS14_ ; -- Begin function _ZN7rocprim17ROCPRIM_400000_NS6detail17trampoline_kernelINS0_14default_configENS1_22reduce_config_selectorIN6thrust23THRUST_200600_302600_NS5tupleIblNS6_9null_typeES8_S8_S8_S8_S8_S8_S8_EEEEZNS1_11reduce_implILb1ES3_NS6_12zip_iteratorINS7_INS6_11hip_rocprim26transform_input_iterator_tIbNSD_35transform_pair_of_input_iterators_tIbNS6_6detail15normal_iteratorINS6_10device_ptrIKsEEEESL_NS6_8equal_toIsEEEENSG_9not_fun_tINSD_8identityEEEEENSD_19counting_iterator_tIlEES8_S8_S8_S8_S8_S8_S8_S8_EEEEPS9_S9_NSD_9__find_if7functorIS9_EEEE10hipError_tPvRmT1_T2_T3_mT4_P12ihipStream_tbEUlT_E0_NS1_11comp_targetILNS1_3genE9ELNS1_11target_archE1100ELNS1_3gpuE3ELNS1_3repE0EEENS1_30default_config_static_selectorELNS0_4arch9wavefront6targetE0EEEvS14_
	.globl	_ZN7rocprim17ROCPRIM_400000_NS6detail17trampoline_kernelINS0_14default_configENS1_22reduce_config_selectorIN6thrust23THRUST_200600_302600_NS5tupleIblNS6_9null_typeES8_S8_S8_S8_S8_S8_S8_EEEEZNS1_11reduce_implILb1ES3_NS6_12zip_iteratorINS7_INS6_11hip_rocprim26transform_input_iterator_tIbNSD_35transform_pair_of_input_iterators_tIbNS6_6detail15normal_iteratorINS6_10device_ptrIKsEEEESL_NS6_8equal_toIsEEEENSG_9not_fun_tINSD_8identityEEEEENSD_19counting_iterator_tIlEES8_S8_S8_S8_S8_S8_S8_S8_EEEEPS9_S9_NSD_9__find_if7functorIS9_EEEE10hipError_tPvRmT1_T2_T3_mT4_P12ihipStream_tbEUlT_E0_NS1_11comp_targetILNS1_3genE9ELNS1_11target_archE1100ELNS1_3gpuE3ELNS1_3repE0EEENS1_30default_config_static_selectorELNS0_4arch9wavefront6targetE0EEEvS14_
	.p2align	8
	.type	_ZN7rocprim17ROCPRIM_400000_NS6detail17trampoline_kernelINS0_14default_configENS1_22reduce_config_selectorIN6thrust23THRUST_200600_302600_NS5tupleIblNS6_9null_typeES8_S8_S8_S8_S8_S8_S8_EEEEZNS1_11reduce_implILb1ES3_NS6_12zip_iteratorINS7_INS6_11hip_rocprim26transform_input_iterator_tIbNSD_35transform_pair_of_input_iterators_tIbNS6_6detail15normal_iteratorINS6_10device_ptrIKsEEEESL_NS6_8equal_toIsEEEENSG_9not_fun_tINSD_8identityEEEEENSD_19counting_iterator_tIlEES8_S8_S8_S8_S8_S8_S8_S8_EEEEPS9_S9_NSD_9__find_if7functorIS9_EEEE10hipError_tPvRmT1_T2_T3_mT4_P12ihipStream_tbEUlT_E0_NS1_11comp_targetILNS1_3genE9ELNS1_11target_archE1100ELNS1_3gpuE3ELNS1_3repE0EEENS1_30default_config_static_selectorELNS0_4arch9wavefront6targetE0EEEvS14_,@function
_ZN7rocprim17ROCPRIM_400000_NS6detail17trampoline_kernelINS0_14default_configENS1_22reduce_config_selectorIN6thrust23THRUST_200600_302600_NS5tupleIblNS6_9null_typeES8_S8_S8_S8_S8_S8_S8_EEEEZNS1_11reduce_implILb1ES3_NS6_12zip_iteratorINS7_INS6_11hip_rocprim26transform_input_iterator_tIbNSD_35transform_pair_of_input_iterators_tIbNS6_6detail15normal_iteratorINS6_10device_ptrIKsEEEESL_NS6_8equal_toIsEEEENSG_9not_fun_tINSD_8identityEEEEENSD_19counting_iterator_tIlEES8_S8_S8_S8_S8_S8_S8_S8_EEEEPS9_S9_NSD_9__find_if7functorIS9_EEEE10hipError_tPvRmT1_T2_T3_mT4_P12ihipStream_tbEUlT_E0_NS1_11comp_targetILNS1_3genE9ELNS1_11target_archE1100ELNS1_3gpuE3ELNS1_3repE0EEENS1_30default_config_static_selectorELNS0_4arch9wavefront6targetE0EEEvS14_: ; @_ZN7rocprim17ROCPRIM_400000_NS6detail17trampoline_kernelINS0_14default_configENS1_22reduce_config_selectorIN6thrust23THRUST_200600_302600_NS5tupleIblNS6_9null_typeES8_S8_S8_S8_S8_S8_S8_EEEEZNS1_11reduce_implILb1ES3_NS6_12zip_iteratorINS7_INS6_11hip_rocprim26transform_input_iterator_tIbNSD_35transform_pair_of_input_iterators_tIbNS6_6detail15normal_iteratorINS6_10device_ptrIKsEEEESL_NS6_8equal_toIsEEEENSG_9not_fun_tINSD_8identityEEEEENSD_19counting_iterator_tIlEES8_S8_S8_S8_S8_S8_S8_S8_EEEEPS9_S9_NSD_9__find_if7functorIS9_EEEE10hipError_tPvRmT1_T2_T3_mT4_P12ihipStream_tbEUlT_E0_NS1_11comp_targetILNS1_3genE9ELNS1_11target_archE1100ELNS1_3gpuE3ELNS1_3repE0EEENS1_30default_config_static_selectorELNS0_4arch9wavefront6targetE0EEEvS14_
; %bb.0:
	s_clause 0x1
	s_load_b256 s[4:11], s[0:1], 0x20
	s_load_b128 s[24:27], s[0:1], 0x0
	s_mov_b32 s16, s15
	s_load_b128 s[12:15], s[0:1], 0x40
	s_mov_b32 s23, 0
	v_lshlrev_b32_e32 v9, 1, v0
	s_mov_b32 s17, s23
	s_waitcnt lgkmcnt(0)
	s_lshl_b64 s[2:3], s[6:7], 1
	s_delay_alu instid0(SALU_CYCLE_1)
	s_add_u32 s18, s24, s2
	s_addc_u32 s19, s25, s3
	s_add_u32 s20, s26, s2
	s_addc_u32 s21, s27, s3
	s_lshl_b32 s22, s16, 10
	s_lshr_b64 s[24:25], s[8:9], 10
	s_lshl_b64 s[2:3], s[22:23], 1
	s_delay_alu instid0(SALU_CYCLE_1)
	s_add_u32 s18, s18, s2
	s_addc_u32 s19, s19, s3
	s_add_u32 s20, s20, s2
	s_addc_u32 s21, s21, s3
	;; [unrolled: 2-line block ×4, first 2 shown]
	s_cmp_lg_u64 s[24:25], s[16:17]
	s_cbranch_scc0 .LBB562_16
; %bb.1:
	s_clause 0x7
	global_load_u16 v1, v9, s[20:21] offset:512
	global_load_u16 v2, v9, s[18:19] offset:512
	global_load_u16 v3, v9, s[18:19]
	global_load_u16 v4, v9, s[20:21]
	global_load_u16 v5, v9, s[18:19] offset:1024
	global_load_u16 v6, v9, s[20:21] offset:1024
	;; [unrolled: 1-line block ×4, first 2 shown]
	v_mov_b32_e32 v10, 0x100
	s_waitcnt vmcnt(6)
	v_cmp_ne_u16_e32 vcc_lo, v2, v1
	s_waitcnt vmcnt(4)
	v_cmp_ne_u16_e64 s2, v3, v4
	s_waitcnt vmcnt(2)
	v_cmp_ne_u16_e64 s3, v5, v6
	v_cndmask_b32_e32 v1, 0x200, v10, vcc_lo
	s_waitcnt vmcnt(0)
	v_cmp_ne_u16_e64 s4, v8, v7
	s_delay_alu instid0(VALU_DEP_2) | instskip(SKIP_1) | instid1(SALU_CYCLE_1)
	v_cndmask_b32_e64 v1, v1, 0, s2
	s_or_b32 s2, s2, vcc_lo
	s_or_b32 vcc_lo, s2, s3
	v_add_co_u32 v2, s2, s5, v0
	s_delay_alu instid0(VALU_DEP_2) | instskip(SKIP_3) | instid1(VALU_DEP_3)
	v_cndmask_b32_e32 v1, 0x300, v1, vcc_lo
	s_or_b32 s3, vcc_lo, s4
	v_add_co_ci_u32_e64 v3, null, s23, 0, s2
	v_cndmask_b32_e64 v5, 0, 1, s3
	v_add_co_u32 v1, vcc_lo, v2, v1
	s_delay_alu instid0(VALU_DEP_3) | instskip(NEXT) | instid1(VALU_DEP_3)
	v_add_co_ci_u32_e32 v2, vcc_lo, 0, v3, vcc_lo
	v_mov_b32_dpp v6, v5 quad_perm:[1,0,3,2] row_mask:0xf bank_mask:0xf
	s_delay_alu instid0(VALU_DEP_3) | instskip(SKIP_1) | instid1(VALU_DEP_3)
	v_mov_b32_dpp v3, v1 quad_perm:[1,0,3,2] row_mask:0xf bank_mask:0xf
	s_mov_b32 s4, exec_lo
	v_mov_b32_dpp v4, v2 quad_perm:[1,0,3,2] row_mask:0xf bank_mask:0xf
	s_delay_alu instid0(VALU_DEP_3) | instskip(NEXT) | instid1(VALU_DEP_1)
	v_and_b32_e32 v7, 1, v6
	v_cmpx_eq_u32_e32 1, v7
; %bb.2:
	v_cndmask_b32_e64 v5, v6, 1, s3
	s_delay_alu instid0(VALU_DEP_4) | instskip(NEXT) | instid1(VALU_DEP_2)
	v_cmp_lt_i64_e32 vcc_lo, v[1:2], v[3:4]
	v_and_b32_e32 v6, 1, v5
	v_and_b32_e32 v5, 0xff, v5
	s_and_b32 vcc_lo, s3, vcc_lo
	s_and_not1_b32 s3, s3, exec_lo
	v_dual_cndmask_b32 v2, v4, v2 :: v_dual_cndmask_b32 v1, v3, v1
	v_cmp_eq_u32_e64 s2, 1, v6
	s_delay_alu instid0(VALU_DEP_1) | instskip(NEXT) | instid1(SALU_CYCLE_1)
	s_and_b32 s2, s2, exec_lo
	s_or_b32 s3, s3, s2
; %bb.3:
	s_or_b32 exec_lo, exec_lo, s4
	v_mov_b32_dpp v6, v5 quad_perm:[2,3,0,1] row_mask:0xf bank_mask:0xf
	v_mov_b32_dpp v3, v1 quad_perm:[2,3,0,1] row_mask:0xf bank_mask:0xf
	;; [unrolled: 1-line block ×3, first 2 shown]
	s_mov_b32 s4, exec_lo
	s_delay_alu instid0(VALU_DEP_3) | instskip(NEXT) | instid1(VALU_DEP_1)
	v_and_b32_e32 v7, 1, v6
	v_cmpx_eq_u32_e32 1, v7
; %bb.4:
	v_cndmask_b32_e64 v5, v6, 1, s3
	v_cmp_lt_i64_e32 vcc_lo, v[1:2], v[3:4]
	s_delay_alu instid0(VALU_DEP_2)
	v_and_b32_e32 v6, 1, v5
	v_and_b32_e32 v5, 0xff, v5
	s_and_b32 vcc_lo, s3, vcc_lo
	s_and_not1_b32 s3, s3, exec_lo
	v_dual_cndmask_b32 v2, v4, v2 :: v_dual_cndmask_b32 v1, v3, v1
	v_cmp_eq_u32_e64 s2, 1, v6
	s_delay_alu instid0(VALU_DEP_1) | instskip(NEXT) | instid1(SALU_CYCLE_1)
	s_and_b32 s2, s2, exec_lo
	s_or_b32 s3, s3, s2
; %bb.5:
	s_or_b32 exec_lo, exec_lo, s4
	v_mov_b32_dpp v6, v5 row_ror:4 row_mask:0xf bank_mask:0xf
	v_mov_b32_dpp v3, v1 row_ror:4 row_mask:0xf bank_mask:0xf
	;; [unrolled: 1-line block ×3, first 2 shown]
	s_mov_b32 s4, exec_lo
	s_delay_alu instid0(VALU_DEP_3) | instskip(NEXT) | instid1(VALU_DEP_1)
	v_and_b32_e32 v7, 1, v6
	v_cmpx_eq_u32_e32 1, v7
; %bb.6:
	v_cndmask_b32_e64 v5, v6, 1, s3
	v_cmp_lt_i64_e32 vcc_lo, v[1:2], v[3:4]
	s_delay_alu instid0(VALU_DEP_2)
	v_and_b32_e32 v6, 1, v5
	v_and_b32_e32 v5, 0xff, v5
	s_and_b32 vcc_lo, s3, vcc_lo
	s_and_not1_b32 s3, s3, exec_lo
	v_dual_cndmask_b32 v2, v4, v2 :: v_dual_cndmask_b32 v1, v3, v1
	v_cmp_eq_u32_e64 s2, 1, v6
	s_delay_alu instid0(VALU_DEP_1) | instskip(NEXT) | instid1(SALU_CYCLE_1)
	s_and_b32 s2, s2, exec_lo
	s_or_b32 s3, s3, s2
; %bb.7:
	s_or_b32 exec_lo, exec_lo, s4
	v_mov_b32_dpp v6, v5 row_ror:8 row_mask:0xf bank_mask:0xf
	v_mov_b32_dpp v3, v1 row_ror:8 row_mask:0xf bank_mask:0xf
	v_mov_b32_dpp v4, v2 row_ror:8 row_mask:0xf bank_mask:0xf
	s_mov_b32 s4, exec_lo
	s_delay_alu instid0(VALU_DEP_3) | instskip(NEXT) | instid1(VALU_DEP_1)
	v_and_b32_e32 v7, 1, v6
	v_cmpx_eq_u32_e32 1, v7
; %bb.8:
	v_cndmask_b32_e64 v5, v6, 1, s3
	v_cmp_lt_i64_e32 vcc_lo, v[1:2], v[3:4]
	s_delay_alu instid0(VALU_DEP_2)
	v_and_b32_e32 v6, 1, v5
	v_and_b32_e32 v5, 0xff, v5
	s_and_b32 vcc_lo, s3, vcc_lo
	s_and_not1_b32 s3, s3, exec_lo
	v_dual_cndmask_b32 v2, v4, v2 :: v_dual_cndmask_b32 v1, v3, v1
	v_cmp_eq_u32_e64 s2, 1, v6
	s_delay_alu instid0(VALU_DEP_1) | instskip(NEXT) | instid1(SALU_CYCLE_1)
	s_and_b32 s2, s2, exec_lo
	s_or_b32 s3, s3, s2
; %bb.9:
	s_or_b32 exec_lo, exec_lo, s4
	ds_swizzle_b32 v6, v5 offset:swizzle(BROADCAST,32,15)
	ds_swizzle_b32 v3, v1 offset:swizzle(BROADCAST,32,15)
	;; [unrolled: 1-line block ×3, first 2 shown]
	s_mov_b32 s2, exec_lo
	s_waitcnt lgkmcnt(2)
	v_and_b32_e32 v7, 1, v6
	s_delay_alu instid0(VALU_DEP_1)
	v_cmpx_eq_u32_e32 1, v7
	s_cbranch_execz .LBB562_11
; %bb.10:
	s_waitcnt lgkmcnt(0)
	v_cmp_lt_i64_e32 vcc_lo, v[1:2], v[3:4]
	v_and_b32_e32 v5, 0xff, v6
	s_delay_alu instid0(VALU_DEP_1)
	v_cndmask_b32_e64 v5, v5, 1, s3
	s_and_b32 vcc_lo, s3, vcc_lo
	v_dual_cndmask_b32 v1, v3, v1 :: v_dual_cndmask_b32 v2, v4, v2
.LBB562_11:
	s_or_b32 exec_lo, exec_lo, s2
	s_waitcnt lgkmcnt(1)
	v_mov_b32_e32 v3, 0
	s_mov_b32 s2, exec_lo
	ds_bpermute_b32 v6, v3, v5 offset:124
	ds_bpermute_b32 v1, v3, v1 offset:124
	;; [unrolled: 1-line block ×3, first 2 shown]
	v_mbcnt_lo_u32_b32 v3, -1, 0
	s_delay_alu instid0(VALU_DEP_1)
	v_cmpx_eq_u32_e32 0, v3
	s_cbranch_execz .LBB562_13
; %bb.12:
	s_waitcnt lgkmcnt(3)
	v_lshrrev_b32_e32 v4, 1, v0
	s_delay_alu instid0(VALU_DEP_1)
	v_and_b32_e32 v4, 0x70, v4
	s_waitcnt lgkmcnt(2)
	ds_store_b8 v4, v6
	s_waitcnt lgkmcnt(1)
	ds_store_b64 v4, v[1:2] offset:8
.LBB562_13:
	s_or_b32 exec_lo, exec_lo, s2
	s_delay_alu instid0(SALU_CYCLE_1)
	s_mov_b32 s4, exec_lo
	s_waitcnt lgkmcnt(0)
	s_barrier
	buffer_gl0_inv
	v_cmpx_gt_u32_e32 32, v0
	s_cbranch_execz .LBB562_15
; %bb.14:
	v_and_b32_e32 v6, 7, v3
	s_delay_alu instid0(VALU_DEP_1)
	v_lshlrev_b32_e32 v1, 4, v6
	v_cmp_ne_u32_e32 vcc_lo, 7, v6
	ds_load_u8 v7, v1
	ds_load_b64 v[1:2], v1 offset:8
	v_add_co_ci_u32_e32 v4, vcc_lo, 0, v3, vcc_lo
	v_cmp_gt_u32_e32 vcc_lo, 6, v6
	s_delay_alu instid0(VALU_DEP_2)
	v_lshlrev_b32_e32 v5, 2, v4
	v_cndmask_b32_e64 v11, 0, 1, vcc_lo
	s_waitcnt lgkmcnt(1)
	v_and_b32_e32 v4, 0xff, v7
	v_and_b32_e32 v12, 1, v7
	ds_bpermute_b32 v8, v5, v4
	s_waitcnt lgkmcnt(1)
	ds_bpermute_b32 v4, v5, v1
	ds_bpermute_b32 v5, v5, v2
	v_cmp_eq_u32_e64 s3, 1, v12
	s_waitcnt lgkmcnt(2)
	v_and_b32_e32 v10, 1, v8
	s_waitcnt lgkmcnt(0)
	v_cmp_lt_i64_e64 s2, v[4:5], v[1:2]
	s_delay_alu instid0(VALU_DEP_2) | instskip(SKIP_2) | instid1(VALU_DEP_4)
	v_cmp_eq_u32_e32 vcc_lo, 1, v10
	v_lshlrev_b32_e32 v10, 1, v11
	v_cndmask_b32_e64 v7, v7, 1, vcc_lo
	s_and_b32 vcc_lo, vcc_lo, s2
	v_dual_cndmask_b32 v1, v1, v4 :: v_dual_cndmask_b32 v2, v2, v5
	s_delay_alu instid0(VALU_DEP_2) | instskip(SKIP_2) | instid1(VALU_DEP_4)
	v_cndmask_b32_e64 v7, v8, v7, s3
	v_add_lshl_u32 v8, v10, v3, 2
	v_cmp_gt_u32_e32 vcc_lo, 4, v6
	v_cndmask_b32_e64 v1, v4, v1, s3
	v_cndmask_b32_e64 v2, v5, v2, s3
	v_and_b32_e32 v10, 0xff, v7
	v_cndmask_b32_e64 v6, 0, 1, vcc_lo
	ds_bpermute_b32 v4, v8, v1
	ds_bpermute_b32 v5, v8, v2
	ds_bpermute_b32 v10, v8, v10
	v_and_b32_e32 v11, 1, v7
	v_lshlrev_b32_e32 v6, 2, v6
	s_delay_alu instid0(VALU_DEP_1) | instskip(SKIP_4) | instid1(VALU_DEP_1)
	v_add_lshl_u32 v6, v6, v3, 2
	s_waitcnt lgkmcnt(1)
	v_cmp_lt_i64_e64 s2, v[4:5], v[1:2]
	s_waitcnt lgkmcnt(0)
	v_and_b32_e32 v8, 1, v10
	v_cmp_eq_u32_e32 vcc_lo, 1, v8
	v_cndmask_b32_e64 v7, v7, 1, vcc_lo
	s_delay_alu instid0(VALU_DEP_4) | instskip(SKIP_3) | instid1(VALU_DEP_2)
	s_and_b32 vcc_lo, vcc_lo, s2
	v_cndmask_b32_e32 v2, v2, v5, vcc_lo
	v_cmp_eq_u32_e64 s3, 1, v11
	v_cndmask_b32_e32 v1, v1, v4, vcc_lo
	v_cndmask_b32_e64 v7, v10, v7, s3
	s_delay_alu instid0(VALU_DEP_4) | instskip(NEXT) | instid1(VALU_DEP_3)
	v_cndmask_b32_e64 v2, v5, v2, s3
	v_cndmask_b32_e64 v1, v4, v1, s3
	ds_bpermute_b32 v4, v6, v2
	v_and_b32_e32 v3, 0xff, v7
	ds_bpermute_b32 v5, v6, v3
	ds_bpermute_b32 v3, v6, v1
	s_waitcnt lgkmcnt(1)
	v_and_b32_e32 v6, 1, v5
	s_waitcnt lgkmcnt(0)
	v_cmp_lt_i64_e32 vcc_lo, v[3:4], v[1:2]
	s_delay_alu instid0(VALU_DEP_2) | instskip(SKIP_1) | instid1(VALU_DEP_2)
	v_cmp_eq_u32_e64 s2, 1, v6
	v_and_b32_e32 v6, 1, v7
	v_cndmask_b32_e64 v7, v7, 1, s2
	s_and_b32 vcc_lo, s2, vcc_lo
	s_delay_alu instid0(VALU_DEP_2) | instskip(SKIP_1) | instid1(VALU_DEP_2)
	v_cmp_eq_u32_e64 s2, 1, v6
	v_dual_cndmask_b32 v2, v2, v4 :: v_dual_cndmask_b32 v1, v1, v3
	v_cndmask_b32_e64 v5, v5, v7, s2
	s_delay_alu instid0(VALU_DEP_2) | instskip(NEXT) | instid1(VALU_DEP_3)
	v_cndmask_b32_e64 v2, v4, v2, s2
	v_cndmask_b32_e64 v1, v3, v1, s2
	s_delay_alu instid0(VALU_DEP_3)
	v_and_b32_e32 v6, 0xff, v5
.LBB562_15:
	s_or_b32 exec_lo, exec_lo, s4
	s_load_b64 s[6:7], s[0:1], 0x58
	s_branch .LBB562_49
.LBB562_16:
                                        ; implicit-def: $vgpr1_vgpr2
                                        ; implicit-def: $vgpr6
	s_load_b64 s[6:7], s[0:1], 0x58
	s_cbranch_execz .LBB562_49
; %bb.17:
	v_dual_mov_b32 v5, 0 :: v_dual_mov_b32 v12, 0
	v_mov_b32_e32 v6, 0
	s_delay_alu instid0(VALU_DEP_2) | instskip(SKIP_2) | instid1(VALU_DEP_2)
	v_dual_mov_b32 v1, v5 :: v_dual_mov_b32 v10, 0
	s_sub_i32 s22, s8, s22
	s_mov_b32 s2, exec_lo
	v_mov_b32_e32 v2, v6
	v_cmpx_gt_u32_e64 s22, v0
	s_cbranch_execz .LBB562_19
; %bb.18:
	s_clause 0x1
	global_load_u16 v3, v9, s[18:19]
	global_load_u16 v4, v9, s[20:21]
	v_add_co_u32 v1, s3, s5, v0
	s_delay_alu instid0(VALU_DEP_1)
	v_add_co_ci_u32_e64 v2, null, s23, 0, s3
	s_waitcnt vmcnt(0)
	v_cmp_ne_u16_e32 vcc_lo, v3, v4
	v_cndmask_b32_e64 v10, 0, 1, vcc_lo
.LBB562_19:
	s_or_b32 exec_lo, exec_lo, s2
	v_or_b32_e32 v3, 0x100, v0
	s_delay_alu instid0(VALU_DEP_1) | instskip(NEXT) | instid1(VALU_DEP_1)
	v_cmp_gt_u32_e64 s3, s22, v3
	s_and_saveexec_b32 s2, s3
	s_cbranch_execz .LBB562_21
; %bb.20:
	s_clause 0x1
	global_load_u16 v4, v9, s[18:19] offset:512
	global_load_u16 v7, v9, s[20:21] offset:512
	v_add_co_u32 v5, s4, s5, v3
	s_delay_alu instid0(VALU_DEP_1)
	v_add_co_ci_u32_e64 v6, null, s23, 0, s4
	s_waitcnt vmcnt(0)
	v_cmp_ne_u16_e32 vcc_lo, v4, v7
	v_cndmask_b32_e64 v12, 0, 1, vcc_lo
.LBB562_21:
	s_or_b32 exec_lo, exec_lo, s2
	v_mov_b32_e32 v3, 0
	v_dual_mov_b32 v4, 0 :: v_dual_mov_b32 v11, 0
	v_or_b32_e32 v14, 0x200, v0
	s_delay_alu instid0(VALU_DEP_2) | instskip(NEXT) | instid1(VALU_DEP_4)
	v_dual_mov_b32 v13, 0 :: v_dual_mov_b32 v8, v4
	v_mov_b32_e32 v7, v3
	s_delay_alu instid0(VALU_DEP_3) | instskip(NEXT) | instid1(VALU_DEP_1)
	v_cmp_gt_u32_e64 s2, s22, v14
	s_and_saveexec_b32 s4, s2
	s_cbranch_execz .LBB562_23
; %bb.22:
	s_clause 0x1
	global_load_u16 v13, v9, s[18:19] offset:1024
	global_load_u16 v15, v9, s[20:21] offset:1024
	v_add_co_u32 v7, s24, s5, v14
	s_delay_alu instid0(VALU_DEP_1)
	v_add_co_ci_u32_e64 v8, null, s23, 0, s24
	s_waitcnt vmcnt(0)
	v_cmp_ne_u16_e32 vcc_lo, v13, v15
	v_cndmask_b32_e64 v13, 0, 1, vcc_lo
.LBB562_23:
	s_or_b32 exec_lo, exec_lo, s4
	v_or_b32_e32 v14, 0x300, v0
	s_delay_alu instid0(VALU_DEP_1)
	v_cmp_gt_u32_e32 vcc_lo, s22, v14
	s_and_saveexec_b32 s24, vcc_lo
	s_cbranch_execnz .LBB562_52
; %bb.24:
	s_or_b32 exec_lo, exec_lo, s24
	s_and_saveexec_b32 s5, s3
	s_cbranch_execnz .LBB562_53
.LBB562_25:
	s_or_b32 exec_lo, exec_lo, s5
	s_and_saveexec_b32 s4, s2
	s_cbranch_execnz .LBB562_54
.LBB562_26:
	s_or_b32 exec_lo, exec_lo, s4
	s_and_saveexec_b32 s3, vcc_lo
.LBB562_27:
	v_and_b32_e32 v5, 1, v11
	v_cmp_lt_i64_e32 vcc_lo, v[3:4], v[1:2]
	s_delay_alu instid0(VALU_DEP_2) | instskip(SKIP_1) | instid1(VALU_DEP_2)
	v_cmp_eq_u32_e64 s2, 1, v5
	v_and_b32_e32 v5, 1, v10
	s_and_b32 vcc_lo, s2, vcc_lo
	v_cndmask_b32_e64 v6, v10, 1, s2
	v_dual_cndmask_b32 v2, v2, v4 :: v_dual_cndmask_b32 v1, v1, v3
	s_delay_alu instid0(VALU_DEP_3) | instskip(NEXT) | instid1(VALU_DEP_3)
	v_cmp_eq_u32_e32 vcc_lo, 1, v5
	v_cndmask_b32_e32 v10, v11, v6, vcc_lo
	s_delay_alu instid0(VALU_DEP_3)
	v_dual_cndmask_b32 v2, v4, v2 :: v_dual_cndmask_b32 v1, v3, v1
.LBB562_28:
	s_or_b32 exec_lo, exec_lo, s3
	v_mbcnt_lo_u32_b32 v5, -1, 0
	v_and_b32_e32 v7, 0xe0, v0
	s_min_u32 s3, s22, 0x100
	v_and_b32_e32 v6, 0xffff, v10
	s_delay_alu instid0(VALU_DEP_3) | instskip(NEXT) | instid1(VALU_DEP_3)
	v_cmp_ne_u32_e32 vcc_lo, 31, v5
	v_sub_nc_u32_e64 v8, s3, v7 clamp
	v_add_nc_u32_e32 v7, 1, v5
	v_add_co_ci_u32_e32 v3, vcc_lo, 0, v5, vcc_lo
	s_delay_alu instid0(VALU_DEP_2) | instskip(NEXT) | instid1(VALU_DEP_2)
	v_cmp_lt_u32_e32 vcc_lo, v7, v8
	v_dual_mov_b32 v7, v6 :: v_dual_lshlrev_b32 v4, 2, v3
	ds_bpermute_b32 v9, v4, v6
	ds_bpermute_b32 v3, v4, v1
	;; [unrolled: 1-line block ×3, first 2 shown]
	s_and_saveexec_b32 s2, vcc_lo
	s_delay_alu instid0(SALU_CYCLE_1)
	s_xor_b32 s4, exec_lo, s2
	s_cbranch_execz .LBB562_30
; %bb.29:
	s_waitcnt lgkmcnt(0)
	v_and_b32_e32 v7, 1, v9
	v_cmp_lt_i64_e32 vcc_lo, v[3:4], v[1:2]
	s_delay_alu instid0(VALU_DEP_2) | instskip(SKIP_1) | instid1(VALU_DEP_2)
	v_cmp_eq_u32_e64 s2, 1, v7
	v_and_b32_e32 v7, 1, v10
	v_cndmask_b32_e64 v6, v6, 1, s2
	s_and_b32 vcc_lo, s2, vcc_lo
	s_delay_alu instid0(VALU_DEP_2) | instskip(SKIP_1) | instid1(VALU_DEP_2)
	v_cmp_eq_u32_e64 s2, 1, v7
	v_dual_cndmask_b32 v2, v2, v4 :: v_dual_cndmask_b32 v1, v1, v3
	v_cndmask_b32_e64 v7, v9, v6, s2
	s_delay_alu instid0(VALU_DEP_2) | instskip(NEXT) | instid1(VALU_DEP_3)
	v_cndmask_b32_e64 v2, v4, v2, s2
	v_cndmask_b32_e64 v1, v3, v1, s2
	s_delay_alu instid0(VALU_DEP_3)
	v_and_b32_e32 v6, 0xff, v7
.LBB562_30:
	s_or_b32 exec_lo, exec_lo, s4
	v_cmp_gt_u32_e32 vcc_lo, 30, v5
	v_add_nc_u32_e32 v10, 2, v5
	s_mov_b32 s4, exec_lo
	s_waitcnt lgkmcnt(0)
	v_cndmask_b32_e64 v3, 0, 1, vcc_lo
	s_delay_alu instid0(VALU_DEP_1) | instskip(NEXT) | instid1(VALU_DEP_1)
	v_lshlrev_b32_e32 v3, 1, v3
	v_add_lshl_u32 v4, v3, v5, 2
	ds_bpermute_b32 v9, v4, v6
	ds_bpermute_b32 v3, v4, v1
	ds_bpermute_b32 v4, v4, v2
	v_cmpx_lt_u32_e64 v10, v8
	s_cbranch_execz .LBB562_32
; %bb.31:
	s_waitcnt lgkmcnt(2)
	v_and_b32_e32 v6, 1, v9
	s_waitcnt lgkmcnt(0)
	v_cmp_lt_i64_e32 vcc_lo, v[3:4], v[1:2]
	s_delay_alu instid0(VALU_DEP_2) | instskip(SKIP_1) | instid1(VALU_DEP_2)
	v_cmp_eq_u32_e64 s2, 1, v6
	v_and_b32_e32 v6, 1, v7
	v_cndmask_b32_e64 v7, v7, 1, s2
	s_and_b32 vcc_lo, s2, vcc_lo
	s_delay_alu instid0(VALU_DEP_2) | instskip(SKIP_1) | instid1(VALU_DEP_2)
	v_cmp_eq_u32_e64 s2, 1, v6
	v_dual_cndmask_b32 v1, v1, v3 :: v_dual_cndmask_b32 v2, v2, v4
	v_cndmask_b32_e64 v7, v9, v7, s2
	s_delay_alu instid0(VALU_DEP_2) | instskip(NEXT) | instid1(VALU_DEP_3)
	v_cndmask_b32_e64 v1, v3, v1, s2
	v_cndmask_b32_e64 v2, v4, v2, s2
	s_delay_alu instid0(VALU_DEP_3)
	v_and_b32_e32 v6, 0xff, v7
.LBB562_32:
	s_or_b32 exec_lo, exec_lo, s4
	v_cmp_gt_u32_e32 vcc_lo, 28, v5
	v_add_nc_u32_e32 v10, 4, v5
	s_mov_b32 s4, exec_lo
	s_waitcnt lgkmcnt(1)
	v_cndmask_b32_e64 v3, 0, 1, vcc_lo
	s_delay_alu instid0(VALU_DEP_1) | instskip(SKIP_1) | instid1(VALU_DEP_1)
	v_lshlrev_b32_e32 v3, 2, v3
	s_waitcnt lgkmcnt(0)
	v_add_lshl_u32 v4, v3, v5, 2
	ds_bpermute_b32 v9, v4, v6
	ds_bpermute_b32 v3, v4, v1
	ds_bpermute_b32 v4, v4, v2
	v_cmpx_lt_u32_e64 v10, v8
	s_cbranch_execz .LBB562_34
; %bb.33:
	s_waitcnt lgkmcnt(2)
	v_and_b32_e32 v6, 1, v9
	s_waitcnt lgkmcnt(0)
	v_cmp_lt_i64_e32 vcc_lo, v[3:4], v[1:2]
	s_delay_alu instid0(VALU_DEP_2) | instskip(SKIP_1) | instid1(VALU_DEP_2)
	v_cmp_eq_u32_e64 s2, 1, v6
	v_and_b32_e32 v6, 1, v7
	v_cndmask_b32_e64 v7, v7, 1, s2
	s_and_b32 vcc_lo, s2, vcc_lo
	s_delay_alu instid0(VALU_DEP_2) | instskip(SKIP_1) | instid1(VALU_DEP_2)
	v_cmp_eq_u32_e64 s2, 1, v6
	v_dual_cndmask_b32 v1, v1, v3 :: v_dual_cndmask_b32 v2, v2, v4
	v_cndmask_b32_e64 v7, v9, v7, s2
	s_delay_alu instid0(VALU_DEP_2) | instskip(NEXT) | instid1(VALU_DEP_3)
	v_cndmask_b32_e64 v1, v3, v1, s2
	v_cndmask_b32_e64 v2, v4, v2, s2
	s_delay_alu instid0(VALU_DEP_3)
	v_and_b32_e32 v6, 0xff, v7
.LBB562_34:
	s_or_b32 exec_lo, exec_lo, s4
	v_cmp_gt_u32_e32 vcc_lo, 24, v5
	v_add_nc_u32_e32 v10, 8, v5
	s_mov_b32 s4, exec_lo
	s_waitcnt lgkmcnt(1)
	v_cndmask_b32_e64 v3, 0, 1, vcc_lo
	s_delay_alu instid0(VALU_DEP_1) | instskip(SKIP_1) | instid1(VALU_DEP_1)
	v_lshlrev_b32_e32 v3, 3, v3
	s_waitcnt lgkmcnt(0)
	;; [unrolled: 35-line block ×3, first 2 shown]
	v_add_lshl_u32 v4, v3, v5, 2
	ds_bpermute_b32 v9, v4, v6
	ds_bpermute_b32 v3, v4, v1
	;; [unrolled: 1-line block ×3, first 2 shown]
	v_cmpx_lt_u32_e64 v10, v8
	s_cbranch_execz .LBB562_38
; %bb.37:
	s_waitcnt lgkmcnt(2)
	v_and_b32_e32 v6, 1, v9
	s_waitcnt lgkmcnt(0)
	v_cmp_lt_i64_e32 vcc_lo, v[3:4], v[1:2]
	s_delay_alu instid0(VALU_DEP_2) | instskip(SKIP_1) | instid1(VALU_DEP_2)
	v_cmp_eq_u32_e64 s2, 1, v6
	v_and_b32_e32 v6, 1, v7
	v_cndmask_b32_e64 v7, v7, 1, s2
	s_and_b32 vcc_lo, s2, vcc_lo
	s_delay_alu instid0(VALU_DEP_2) | instskip(SKIP_1) | instid1(VALU_DEP_2)
	v_cmp_eq_u32_e64 s2, 1, v6
	v_dual_cndmask_b32 v1, v1, v3 :: v_dual_cndmask_b32 v2, v2, v4
	v_cndmask_b32_e64 v7, v9, v7, s2
	s_delay_alu instid0(VALU_DEP_2) | instskip(NEXT) | instid1(VALU_DEP_3)
	v_cndmask_b32_e64 v1, v3, v1, s2
	v_cndmask_b32_e64 v2, v4, v2, s2
	s_delay_alu instid0(VALU_DEP_3)
	v_and_b32_e32 v6, 0xff, v7
.LBB562_38:
	s_or_b32 exec_lo, exec_lo, s4
	s_delay_alu instid0(SALU_CYCLE_1)
	s_mov_b32 s2, exec_lo
	v_cmpx_eq_u32_e32 0, v5
	s_cbranch_execz .LBB562_40
; %bb.39:
	s_waitcnt lgkmcnt(1)
	v_lshrrev_b32_e32 v3, 1, v0
	s_delay_alu instid0(VALU_DEP_1)
	v_and_b32_e32 v3, 0x70, v3
	ds_store_b8 v3, v7 offset:128
	ds_store_b64 v3, v[1:2] offset:136
.LBB562_40:
	s_or_b32 exec_lo, exec_lo, s2
	s_delay_alu instid0(SALU_CYCLE_1)
	s_mov_b32 s4, exec_lo
	s_waitcnt lgkmcnt(0)
	s_barrier
	buffer_gl0_inv
	v_cmpx_gt_u32_e32 8, v0
	s_cbranch_execz .LBB562_48
; %bb.41:
	v_lshlrev_b32_e32 v1, 4, v5
	v_and_b32_e32 v8, 7, v5
	s_add_i32 s3, s3, 31
	s_mov_b32 s5, exec_lo
	s_lshr_b32 s3, s3, 5
	ds_load_u8 v7, v1 offset:128
	ds_load_b64 v[1:2], v1 offset:136
	v_cmp_ne_u32_e32 vcc_lo, 7, v8
	v_add_nc_u32_e32 v10, 1, v8
	v_add_co_ci_u32_e32 v3, vcc_lo, 0, v5, vcc_lo
	s_delay_alu instid0(VALU_DEP_1)
	v_lshlrev_b32_e32 v4, 2, v3
	s_waitcnt lgkmcnt(1)
	v_and_b32_e32 v6, 0xff, v7
	s_waitcnt lgkmcnt(0)
	ds_bpermute_b32 v3, v4, v1
	ds_bpermute_b32 v9, v4, v6
	;; [unrolled: 1-line block ×3, first 2 shown]
	v_cmpx_gt_u32_e64 s3, v10
	s_cbranch_execz .LBB562_43
; %bb.42:
	s_waitcnt lgkmcnt(1)
	v_and_b32_e32 v6, 1, v9
	s_waitcnt lgkmcnt(0)
	v_cmp_lt_i64_e32 vcc_lo, v[3:4], v[1:2]
	s_delay_alu instid0(VALU_DEP_2) | instskip(SKIP_1) | instid1(VALU_DEP_2)
	v_cmp_eq_u32_e64 s2, 1, v6
	v_and_b32_e32 v6, 1, v7
	v_cndmask_b32_e64 v7, v7, 1, s2
	s_and_b32 vcc_lo, s2, vcc_lo
	s_delay_alu instid0(VALU_DEP_2) | instskip(SKIP_1) | instid1(VALU_DEP_2)
	v_cmp_eq_u32_e64 s2, 1, v6
	v_dual_cndmask_b32 v1, v1, v3 :: v_dual_cndmask_b32 v2, v2, v4
	v_cndmask_b32_e64 v7, v9, v7, s2
	s_delay_alu instid0(VALU_DEP_2) | instskip(NEXT) | instid1(VALU_DEP_3)
	v_cndmask_b32_e64 v1, v3, v1, s2
	v_cndmask_b32_e64 v2, v4, v2, s2
	s_delay_alu instid0(VALU_DEP_3)
	v_and_b32_e32 v6, 0xff, v7
.LBB562_43:
	s_or_b32 exec_lo, exec_lo, s5
	v_cmp_gt_u32_e32 vcc_lo, 6, v8
	v_add_nc_u32_e32 v10, 2, v8
	s_mov_b32 s5, exec_lo
	s_waitcnt lgkmcnt(2)
	v_cndmask_b32_e64 v3, 0, 1, vcc_lo
	s_delay_alu instid0(VALU_DEP_1) | instskip(SKIP_1) | instid1(VALU_DEP_1)
	v_lshlrev_b32_e32 v3, 1, v3
	s_waitcnt lgkmcnt(0)
	v_add_lshl_u32 v4, v3, v5, 2
	ds_bpermute_b32 v9, v4, v6
	ds_bpermute_b32 v3, v4, v1
	;; [unrolled: 1-line block ×3, first 2 shown]
	v_cmpx_gt_u32_e64 s3, v10
	s_cbranch_execz .LBB562_45
; %bb.44:
	s_waitcnt lgkmcnt(2)
	v_and_b32_e32 v6, 1, v9
	s_waitcnt lgkmcnt(0)
	v_cmp_lt_i64_e32 vcc_lo, v[3:4], v[1:2]
	s_delay_alu instid0(VALU_DEP_2) | instskip(SKIP_1) | instid1(VALU_DEP_2)
	v_cmp_eq_u32_e64 s2, 1, v6
	v_and_b32_e32 v6, 1, v7
	v_cndmask_b32_e64 v7, v7, 1, s2
	s_and_b32 vcc_lo, s2, vcc_lo
	s_delay_alu instid0(VALU_DEP_2) | instskip(SKIP_1) | instid1(VALU_DEP_2)
	v_cmp_eq_u32_e64 s2, 1, v6
	v_dual_cndmask_b32 v1, v1, v3 :: v_dual_cndmask_b32 v2, v2, v4
	v_cndmask_b32_e64 v7, v9, v7, s2
	s_delay_alu instid0(VALU_DEP_2) | instskip(NEXT) | instid1(VALU_DEP_3)
	v_cndmask_b32_e64 v1, v3, v1, s2
	v_cndmask_b32_e64 v2, v4, v2, s2
	s_delay_alu instid0(VALU_DEP_3)
	v_and_b32_e32 v6, 0xff, v7
.LBB562_45:
	s_or_b32 exec_lo, exec_lo, s5
	v_cmp_gt_u32_e32 vcc_lo, 4, v8
	v_add_nc_u32_e32 v8, 4, v8
	s_waitcnt lgkmcnt(1)
	v_cndmask_b32_e64 v3, 0, 1, vcc_lo
	s_delay_alu instid0(VALU_DEP_2) | instskip(NEXT) | instid1(VALU_DEP_2)
	v_cmp_gt_u32_e32 vcc_lo, s3, v8
	v_lshlrev_b32_e32 v3, 2, v3
	s_waitcnt lgkmcnt(0)
	s_delay_alu instid0(VALU_DEP_1)
	v_add_lshl_u32 v4, v3, v5, 2
	ds_bpermute_b32 v5, v4, v6
	ds_bpermute_b32 v3, v4, v1
	;; [unrolled: 1-line block ×3, first 2 shown]
	s_and_saveexec_b32 s3, vcc_lo
	s_cbranch_execz .LBB562_47
; %bb.46:
	s_waitcnt lgkmcnt(2)
	v_and_b32_e32 v6, 1, v5
	s_waitcnt lgkmcnt(0)
	v_cmp_lt_i64_e32 vcc_lo, v[3:4], v[1:2]
	s_delay_alu instid0(VALU_DEP_2) | instskip(SKIP_1) | instid1(VALU_DEP_2)
	v_cmp_eq_u32_e64 s2, 1, v6
	v_and_b32_e32 v6, 1, v7
	v_cndmask_b32_e64 v7, v7, 1, s2
	s_and_b32 vcc_lo, s2, vcc_lo
	s_delay_alu instid0(VALU_DEP_2) | instskip(SKIP_1) | instid1(VALU_DEP_2)
	v_cmp_eq_u32_e64 s2, 1, v6
	v_dual_cndmask_b32 v1, v1, v3 :: v_dual_cndmask_b32 v2, v2, v4
	v_cndmask_b32_e64 v5, v5, v7, s2
	s_delay_alu instid0(VALU_DEP_2) | instskip(NEXT) | instid1(VALU_DEP_3)
	v_cndmask_b32_e64 v1, v3, v1, s2
	v_cndmask_b32_e64 v2, v4, v2, s2
	s_delay_alu instid0(VALU_DEP_3)
	v_and_b32_e32 v6, 0xff, v5
.LBB562_47:
	s_or_b32 exec_lo, exec_lo, s3
.LBB562_48:
	s_delay_alu instid0(SALU_CYCLE_1)
	s_or_b32 exec_lo, exec_lo, s4
.LBB562_49:
	s_load_b32 s0, s[0:1], 0x50
	s_mov_b32 s1, exec_lo
	v_cmpx_eq_u32_e32 0, v0
	s_cbranch_execz .LBB562_51
; %bb.50:
	s_mul_i32 s1, s14, s13
	s_mul_hi_u32 s2, s14, s12
	s_mul_i32 s3, s15, s12
	s_add_i32 s1, s2, s1
	s_mul_i32 s2, s14, s12
	s_add_i32 s3, s1, s3
	v_mov_b32_e32 v0, 0
	s_lshl_b64 s[2:3], s[2:3], 4
	s_delay_alu instid0(SALU_CYCLE_1)
	s_add_u32 s1, s10, s2
	s_addc_u32 s4, s11, s3
	s_cmp_eq_u64 s[8:9], 0
	s_cselect_b32 s5, -1, 0
	s_lshl_b64 s[2:3], s[16:17], 4
	s_waitcnt lgkmcnt(0)
	v_cndmask_b32_e64 v3, v6, s0, s5
	v_cndmask_b32_e64 v2, v2, s7, s5
	;; [unrolled: 1-line block ×3, first 2 shown]
	s_add_u32 s0, s1, s2
	s_addc_u32 s1, s4, s3
	s_clause 0x1
	global_store_b8 v0, v3, s[0:1]
	global_store_b64 v0, v[1:2], s[0:1] offset:8
.LBB562_51:
	s_nop 0
	s_sendmsg sendmsg(MSG_DEALLOC_VGPRS)
	s_endpgm
.LBB562_52:
	s_clause 0x1
	global_load_u16 v11, v9, s[18:19] offset:1536
	global_load_u16 v9, v9, s[20:21] offset:1536
	v_add_co_u32 v3, s4, s5, v14
	s_delay_alu instid0(VALU_DEP_1) | instskip(SKIP_2) | instid1(VALU_DEP_1)
	v_add_co_ci_u32_e64 v4, null, s23, 0, s4
	s_waitcnt vmcnt(0)
	v_cmp_ne_u16_e64 s4, v11, v9
	v_cndmask_b32_e64 v11, 0, 1, s4
	s_or_b32 exec_lo, exec_lo, s24
	s_and_saveexec_b32 s5, s3
	s_cbranch_execz .LBB562_25
.LBB562_53:
	v_and_b32_e32 v9, 1, v12
	v_cmp_lt_i64_e64 s3, v[5:6], v[1:2]
	s_delay_alu instid0(VALU_DEP_2) | instskip(SKIP_1) | instid1(VALU_DEP_2)
	v_cmp_eq_u32_e64 s4, 1, v9
	v_and_b32_e32 v9, 1, v10
	s_and_b32 s3, s4, s3
	v_cndmask_b32_e64 v10, v10, 1, s4
	v_cndmask_b32_e64 v1, v1, v5, s3
	v_cndmask_b32_e64 v2, v2, v6, s3
	v_cmp_eq_u32_e64 s3, 1, v9
	s_delay_alu instid0(VALU_DEP_1) | instskip(NEXT) | instid1(VALU_DEP_3)
	v_cndmask_b32_e64 v10, v12, v10, s3
	v_cndmask_b32_e64 v2, v6, v2, s3
	;; [unrolled: 1-line block ×3, first 2 shown]
	s_or_b32 exec_lo, exec_lo, s5
	s_and_saveexec_b32 s4, s2
	s_cbranch_execz .LBB562_26
.LBB562_54:
	v_and_b32_e32 v5, 1, v13
	v_cmp_lt_i64_e64 s2, v[7:8], v[1:2]
	s_delay_alu instid0(VALU_DEP_2) | instskip(SKIP_1) | instid1(VALU_DEP_2)
	v_cmp_eq_u32_e64 s3, 1, v5
	v_and_b32_e32 v5, 1, v10
	s_and_b32 s2, s3, s2
	v_cndmask_b32_e64 v6, v10, 1, s3
	v_cndmask_b32_e64 v1, v1, v7, s2
	;; [unrolled: 1-line block ×3, first 2 shown]
	v_cmp_eq_u32_e64 s2, 1, v5
	s_delay_alu instid0(VALU_DEP_1) | instskip(NEXT) | instid1(VALU_DEP_3)
	v_cndmask_b32_e64 v10, v13, v6, s2
	v_cndmask_b32_e64 v2, v8, v2, s2
	;; [unrolled: 1-line block ×3, first 2 shown]
	s_or_b32 exec_lo, exec_lo, s4
	s_and_saveexec_b32 s3, vcc_lo
	s_cbranch_execnz .LBB562_27
	s_branch .LBB562_28
	.section	.rodata,"a",@progbits
	.p2align	6, 0x0
	.amdhsa_kernel _ZN7rocprim17ROCPRIM_400000_NS6detail17trampoline_kernelINS0_14default_configENS1_22reduce_config_selectorIN6thrust23THRUST_200600_302600_NS5tupleIblNS6_9null_typeES8_S8_S8_S8_S8_S8_S8_EEEEZNS1_11reduce_implILb1ES3_NS6_12zip_iteratorINS7_INS6_11hip_rocprim26transform_input_iterator_tIbNSD_35transform_pair_of_input_iterators_tIbNS6_6detail15normal_iteratorINS6_10device_ptrIKsEEEESL_NS6_8equal_toIsEEEENSG_9not_fun_tINSD_8identityEEEEENSD_19counting_iterator_tIlEES8_S8_S8_S8_S8_S8_S8_S8_EEEEPS9_S9_NSD_9__find_if7functorIS9_EEEE10hipError_tPvRmT1_T2_T3_mT4_P12ihipStream_tbEUlT_E0_NS1_11comp_targetILNS1_3genE9ELNS1_11target_archE1100ELNS1_3gpuE3ELNS1_3repE0EEENS1_30default_config_static_selectorELNS0_4arch9wavefront6targetE0EEEvS14_
		.amdhsa_group_segment_fixed_size 256
		.amdhsa_private_segment_fixed_size 0
		.amdhsa_kernarg_size 104
		.amdhsa_user_sgpr_count 15
		.amdhsa_user_sgpr_dispatch_ptr 0
		.amdhsa_user_sgpr_queue_ptr 0
		.amdhsa_user_sgpr_kernarg_segment_ptr 1
		.amdhsa_user_sgpr_dispatch_id 0
		.amdhsa_user_sgpr_private_segment_size 0
		.amdhsa_wavefront_size32 1
		.amdhsa_uses_dynamic_stack 0
		.amdhsa_enable_private_segment 0
		.amdhsa_system_sgpr_workgroup_id_x 1
		.amdhsa_system_sgpr_workgroup_id_y 0
		.amdhsa_system_sgpr_workgroup_id_z 0
		.amdhsa_system_sgpr_workgroup_info 0
		.amdhsa_system_vgpr_workitem_id 0
		.amdhsa_next_free_vgpr 16
		.amdhsa_next_free_sgpr 28
		.amdhsa_reserve_vcc 1
		.amdhsa_float_round_mode_32 0
		.amdhsa_float_round_mode_16_64 0
		.amdhsa_float_denorm_mode_32 3
		.amdhsa_float_denorm_mode_16_64 3
		.amdhsa_dx10_clamp 1
		.amdhsa_ieee_mode 1
		.amdhsa_fp16_overflow 0
		.amdhsa_workgroup_processor_mode 1
		.amdhsa_memory_ordered 1
		.amdhsa_forward_progress 0
		.amdhsa_shared_vgpr_count 0
		.amdhsa_exception_fp_ieee_invalid_op 0
		.amdhsa_exception_fp_denorm_src 0
		.amdhsa_exception_fp_ieee_div_zero 0
		.amdhsa_exception_fp_ieee_overflow 0
		.amdhsa_exception_fp_ieee_underflow 0
		.amdhsa_exception_fp_ieee_inexact 0
		.amdhsa_exception_int_div_zero 0
	.end_amdhsa_kernel
	.section	.text._ZN7rocprim17ROCPRIM_400000_NS6detail17trampoline_kernelINS0_14default_configENS1_22reduce_config_selectorIN6thrust23THRUST_200600_302600_NS5tupleIblNS6_9null_typeES8_S8_S8_S8_S8_S8_S8_EEEEZNS1_11reduce_implILb1ES3_NS6_12zip_iteratorINS7_INS6_11hip_rocprim26transform_input_iterator_tIbNSD_35transform_pair_of_input_iterators_tIbNS6_6detail15normal_iteratorINS6_10device_ptrIKsEEEESL_NS6_8equal_toIsEEEENSG_9not_fun_tINSD_8identityEEEEENSD_19counting_iterator_tIlEES8_S8_S8_S8_S8_S8_S8_S8_EEEEPS9_S9_NSD_9__find_if7functorIS9_EEEE10hipError_tPvRmT1_T2_T3_mT4_P12ihipStream_tbEUlT_E0_NS1_11comp_targetILNS1_3genE9ELNS1_11target_archE1100ELNS1_3gpuE3ELNS1_3repE0EEENS1_30default_config_static_selectorELNS0_4arch9wavefront6targetE0EEEvS14_,"axG",@progbits,_ZN7rocprim17ROCPRIM_400000_NS6detail17trampoline_kernelINS0_14default_configENS1_22reduce_config_selectorIN6thrust23THRUST_200600_302600_NS5tupleIblNS6_9null_typeES8_S8_S8_S8_S8_S8_S8_EEEEZNS1_11reduce_implILb1ES3_NS6_12zip_iteratorINS7_INS6_11hip_rocprim26transform_input_iterator_tIbNSD_35transform_pair_of_input_iterators_tIbNS6_6detail15normal_iteratorINS6_10device_ptrIKsEEEESL_NS6_8equal_toIsEEEENSG_9not_fun_tINSD_8identityEEEEENSD_19counting_iterator_tIlEES8_S8_S8_S8_S8_S8_S8_S8_EEEEPS9_S9_NSD_9__find_if7functorIS9_EEEE10hipError_tPvRmT1_T2_T3_mT4_P12ihipStream_tbEUlT_E0_NS1_11comp_targetILNS1_3genE9ELNS1_11target_archE1100ELNS1_3gpuE3ELNS1_3repE0EEENS1_30default_config_static_selectorELNS0_4arch9wavefront6targetE0EEEvS14_,comdat
.Lfunc_end562:
	.size	_ZN7rocprim17ROCPRIM_400000_NS6detail17trampoline_kernelINS0_14default_configENS1_22reduce_config_selectorIN6thrust23THRUST_200600_302600_NS5tupleIblNS6_9null_typeES8_S8_S8_S8_S8_S8_S8_EEEEZNS1_11reduce_implILb1ES3_NS6_12zip_iteratorINS7_INS6_11hip_rocprim26transform_input_iterator_tIbNSD_35transform_pair_of_input_iterators_tIbNS6_6detail15normal_iteratorINS6_10device_ptrIKsEEEESL_NS6_8equal_toIsEEEENSG_9not_fun_tINSD_8identityEEEEENSD_19counting_iterator_tIlEES8_S8_S8_S8_S8_S8_S8_S8_EEEEPS9_S9_NSD_9__find_if7functorIS9_EEEE10hipError_tPvRmT1_T2_T3_mT4_P12ihipStream_tbEUlT_E0_NS1_11comp_targetILNS1_3genE9ELNS1_11target_archE1100ELNS1_3gpuE3ELNS1_3repE0EEENS1_30default_config_static_selectorELNS0_4arch9wavefront6targetE0EEEvS14_, .Lfunc_end562-_ZN7rocprim17ROCPRIM_400000_NS6detail17trampoline_kernelINS0_14default_configENS1_22reduce_config_selectorIN6thrust23THRUST_200600_302600_NS5tupleIblNS6_9null_typeES8_S8_S8_S8_S8_S8_S8_EEEEZNS1_11reduce_implILb1ES3_NS6_12zip_iteratorINS7_INS6_11hip_rocprim26transform_input_iterator_tIbNSD_35transform_pair_of_input_iterators_tIbNS6_6detail15normal_iteratorINS6_10device_ptrIKsEEEESL_NS6_8equal_toIsEEEENSG_9not_fun_tINSD_8identityEEEEENSD_19counting_iterator_tIlEES8_S8_S8_S8_S8_S8_S8_S8_EEEEPS9_S9_NSD_9__find_if7functorIS9_EEEE10hipError_tPvRmT1_T2_T3_mT4_P12ihipStream_tbEUlT_E0_NS1_11comp_targetILNS1_3genE9ELNS1_11target_archE1100ELNS1_3gpuE3ELNS1_3repE0EEENS1_30default_config_static_selectorELNS0_4arch9wavefront6targetE0EEEvS14_
                                        ; -- End function
	.section	.AMDGPU.csdata,"",@progbits
; Kernel info:
; codeLenInByte = 4024
; NumSgprs: 30
; NumVgprs: 16
; ScratchSize: 0
; MemoryBound: 0
; FloatMode: 240
; IeeeMode: 1
; LDSByteSize: 256 bytes/workgroup (compile time only)
; SGPRBlocks: 3
; VGPRBlocks: 1
; NumSGPRsForWavesPerEU: 30
; NumVGPRsForWavesPerEU: 16
; Occupancy: 16
; WaveLimiterHint : 0
; COMPUTE_PGM_RSRC2:SCRATCH_EN: 0
; COMPUTE_PGM_RSRC2:USER_SGPR: 15
; COMPUTE_PGM_RSRC2:TRAP_HANDLER: 0
; COMPUTE_PGM_RSRC2:TGID_X_EN: 1
; COMPUTE_PGM_RSRC2:TGID_Y_EN: 0
; COMPUTE_PGM_RSRC2:TGID_Z_EN: 0
; COMPUTE_PGM_RSRC2:TIDIG_COMP_CNT: 0
	.section	.text._ZN7rocprim17ROCPRIM_400000_NS6detail17trampoline_kernelINS0_14default_configENS1_22reduce_config_selectorIN6thrust23THRUST_200600_302600_NS5tupleIblNS6_9null_typeES8_S8_S8_S8_S8_S8_S8_EEEEZNS1_11reduce_implILb1ES3_NS6_12zip_iteratorINS7_INS6_11hip_rocprim26transform_input_iterator_tIbNSD_35transform_pair_of_input_iterators_tIbNS6_6detail15normal_iteratorINS6_10device_ptrIKsEEEESL_NS6_8equal_toIsEEEENSG_9not_fun_tINSD_8identityEEEEENSD_19counting_iterator_tIlEES8_S8_S8_S8_S8_S8_S8_S8_EEEEPS9_S9_NSD_9__find_if7functorIS9_EEEE10hipError_tPvRmT1_T2_T3_mT4_P12ihipStream_tbEUlT_E0_NS1_11comp_targetILNS1_3genE8ELNS1_11target_archE1030ELNS1_3gpuE2ELNS1_3repE0EEENS1_30default_config_static_selectorELNS0_4arch9wavefront6targetE0EEEvS14_,"axG",@progbits,_ZN7rocprim17ROCPRIM_400000_NS6detail17trampoline_kernelINS0_14default_configENS1_22reduce_config_selectorIN6thrust23THRUST_200600_302600_NS5tupleIblNS6_9null_typeES8_S8_S8_S8_S8_S8_S8_EEEEZNS1_11reduce_implILb1ES3_NS6_12zip_iteratorINS7_INS6_11hip_rocprim26transform_input_iterator_tIbNSD_35transform_pair_of_input_iterators_tIbNS6_6detail15normal_iteratorINS6_10device_ptrIKsEEEESL_NS6_8equal_toIsEEEENSG_9not_fun_tINSD_8identityEEEEENSD_19counting_iterator_tIlEES8_S8_S8_S8_S8_S8_S8_S8_EEEEPS9_S9_NSD_9__find_if7functorIS9_EEEE10hipError_tPvRmT1_T2_T3_mT4_P12ihipStream_tbEUlT_E0_NS1_11comp_targetILNS1_3genE8ELNS1_11target_archE1030ELNS1_3gpuE2ELNS1_3repE0EEENS1_30default_config_static_selectorELNS0_4arch9wavefront6targetE0EEEvS14_,comdat
	.protected	_ZN7rocprim17ROCPRIM_400000_NS6detail17trampoline_kernelINS0_14default_configENS1_22reduce_config_selectorIN6thrust23THRUST_200600_302600_NS5tupleIblNS6_9null_typeES8_S8_S8_S8_S8_S8_S8_EEEEZNS1_11reduce_implILb1ES3_NS6_12zip_iteratorINS7_INS6_11hip_rocprim26transform_input_iterator_tIbNSD_35transform_pair_of_input_iterators_tIbNS6_6detail15normal_iteratorINS6_10device_ptrIKsEEEESL_NS6_8equal_toIsEEEENSG_9not_fun_tINSD_8identityEEEEENSD_19counting_iterator_tIlEES8_S8_S8_S8_S8_S8_S8_S8_EEEEPS9_S9_NSD_9__find_if7functorIS9_EEEE10hipError_tPvRmT1_T2_T3_mT4_P12ihipStream_tbEUlT_E0_NS1_11comp_targetILNS1_3genE8ELNS1_11target_archE1030ELNS1_3gpuE2ELNS1_3repE0EEENS1_30default_config_static_selectorELNS0_4arch9wavefront6targetE0EEEvS14_ ; -- Begin function _ZN7rocprim17ROCPRIM_400000_NS6detail17trampoline_kernelINS0_14default_configENS1_22reduce_config_selectorIN6thrust23THRUST_200600_302600_NS5tupleIblNS6_9null_typeES8_S8_S8_S8_S8_S8_S8_EEEEZNS1_11reduce_implILb1ES3_NS6_12zip_iteratorINS7_INS6_11hip_rocprim26transform_input_iterator_tIbNSD_35transform_pair_of_input_iterators_tIbNS6_6detail15normal_iteratorINS6_10device_ptrIKsEEEESL_NS6_8equal_toIsEEEENSG_9not_fun_tINSD_8identityEEEEENSD_19counting_iterator_tIlEES8_S8_S8_S8_S8_S8_S8_S8_EEEEPS9_S9_NSD_9__find_if7functorIS9_EEEE10hipError_tPvRmT1_T2_T3_mT4_P12ihipStream_tbEUlT_E0_NS1_11comp_targetILNS1_3genE8ELNS1_11target_archE1030ELNS1_3gpuE2ELNS1_3repE0EEENS1_30default_config_static_selectorELNS0_4arch9wavefront6targetE0EEEvS14_
	.globl	_ZN7rocprim17ROCPRIM_400000_NS6detail17trampoline_kernelINS0_14default_configENS1_22reduce_config_selectorIN6thrust23THRUST_200600_302600_NS5tupleIblNS6_9null_typeES8_S8_S8_S8_S8_S8_S8_EEEEZNS1_11reduce_implILb1ES3_NS6_12zip_iteratorINS7_INS6_11hip_rocprim26transform_input_iterator_tIbNSD_35transform_pair_of_input_iterators_tIbNS6_6detail15normal_iteratorINS6_10device_ptrIKsEEEESL_NS6_8equal_toIsEEEENSG_9not_fun_tINSD_8identityEEEEENSD_19counting_iterator_tIlEES8_S8_S8_S8_S8_S8_S8_S8_EEEEPS9_S9_NSD_9__find_if7functorIS9_EEEE10hipError_tPvRmT1_T2_T3_mT4_P12ihipStream_tbEUlT_E0_NS1_11comp_targetILNS1_3genE8ELNS1_11target_archE1030ELNS1_3gpuE2ELNS1_3repE0EEENS1_30default_config_static_selectorELNS0_4arch9wavefront6targetE0EEEvS14_
	.p2align	8
	.type	_ZN7rocprim17ROCPRIM_400000_NS6detail17trampoline_kernelINS0_14default_configENS1_22reduce_config_selectorIN6thrust23THRUST_200600_302600_NS5tupleIblNS6_9null_typeES8_S8_S8_S8_S8_S8_S8_EEEEZNS1_11reduce_implILb1ES3_NS6_12zip_iteratorINS7_INS6_11hip_rocprim26transform_input_iterator_tIbNSD_35transform_pair_of_input_iterators_tIbNS6_6detail15normal_iteratorINS6_10device_ptrIKsEEEESL_NS6_8equal_toIsEEEENSG_9not_fun_tINSD_8identityEEEEENSD_19counting_iterator_tIlEES8_S8_S8_S8_S8_S8_S8_S8_EEEEPS9_S9_NSD_9__find_if7functorIS9_EEEE10hipError_tPvRmT1_T2_T3_mT4_P12ihipStream_tbEUlT_E0_NS1_11comp_targetILNS1_3genE8ELNS1_11target_archE1030ELNS1_3gpuE2ELNS1_3repE0EEENS1_30default_config_static_selectorELNS0_4arch9wavefront6targetE0EEEvS14_,@function
_ZN7rocprim17ROCPRIM_400000_NS6detail17trampoline_kernelINS0_14default_configENS1_22reduce_config_selectorIN6thrust23THRUST_200600_302600_NS5tupleIblNS6_9null_typeES8_S8_S8_S8_S8_S8_S8_EEEEZNS1_11reduce_implILb1ES3_NS6_12zip_iteratorINS7_INS6_11hip_rocprim26transform_input_iterator_tIbNSD_35transform_pair_of_input_iterators_tIbNS6_6detail15normal_iteratorINS6_10device_ptrIKsEEEESL_NS6_8equal_toIsEEEENSG_9not_fun_tINSD_8identityEEEEENSD_19counting_iterator_tIlEES8_S8_S8_S8_S8_S8_S8_S8_EEEEPS9_S9_NSD_9__find_if7functorIS9_EEEE10hipError_tPvRmT1_T2_T3_mT4_P12ihipStream_tbEUlT_E0_NS1_11comp_targetILNS1_3genE8ELNS1_11target_archE1030ELNS1_3gpuE2ELNS1_3repE0EEENS1_30default_config_static_selectorELNS0_4arch9wavefront6targetE0EEEvS14_: ; @_ZN7rocprim17ROCPRIM_400000_NS6detail17trampoline_kernelINS0_14default_configENS1_22reduce_config_selectorIN6thrust23THRUST_200600_302600_NS5tupleIblNS6_9null_typeES8_S8_S8_S8_S8_S8_S8_EEEEZNS1_11reduce_implILb1ES3_NS6_12zip_iteratorINS7_INS6_11hip_rocprim26transform_input_iterator_tIbNSD_35transform_pair_of_input_iterators_tIbNS6_6detail15normal_iteratorINS6_10device_ptrIKsEEEESL_NS6_8equal_toIsEEEENSG_9not_fun_tINSD_8identityEEEEENSD_19counting_iterator_tIlEES8_S8_S8_S8_S8_S8_S8_S8_EEEEPS9_S9_NSD_9__find_if7functorIS9_EEEE10hipError_tPvRmT1_T2_T3_mT4_P12ihipStream_tbEUlT_E0_NS1_11comp_targetILNS1_3genE8ELNS1_11target_archE1030ELNS1_3gpuE2ELNS1_3repE0EEENS1_30default_config_static_selectorELNS0_4arch9wavefront6targetE0EEEvS14_
; %bb.0:
	.section	.rodata,"a",@progbits
	.p2align	6, 0x0
	.amdhsa_kernel _ZN7rocprim17ROCPRIM_400000_NS6detail17trampoline_kernelINS0_14default_configENS1_22reduce_config_selectorIN6thrust23THRUST_200600_302600_NS5tupleIblNS6_9null_typeES8_S8_S8_S8_S8_S8_S8_EEEEZNS1_11reduce_implILb1ES3_NS6_12zip_iteratorINS7_INS6_11hip_rocprim26transform_input_iterator_tIbNSD_35transform_pair_of_input_iterators_tIbNS6_6detail15normal_iteratorINS6_10device_ptrIKsEEEESL_NS6_8equal_toIsEEEENSG_9not_fun_tINSD_8identityEEEEENSD_19counting_iterator_tIlEES8_S8_S8_S8_S8_S8_S8_S8_EEEEPS9_S9_NSD_9__find_if7functorIS9_EEEE10hipError_tPvRmT1_T2_T3_mT4_P12ihipStream_tbEUlT_E0_NS1_11comp_targetILNS1_3genE8ELNS1_11target_archE1030ELNS1_3gpuE2ELNS1_3repE0EEENS1_30default_config_static_selectorELNS0_4arch9wavefront6targetE0EEEvS14_
		.amdhsa_group_segment_fixed_size 0
		.amdhsa_private_segment_fixed_size 0
		.amdhsa_kernarg_size 104
		.amdhsa_user_sgpr_count 15
		.amdhsa_user_sgpr_dispatch_ptr 0
		.amdhsa_user_sgpr_queue_ptr 0
		.amdhsa_user_sgpr_kernarg_segment_ptr 1
		.amdhsa_user_sgpr_dispatch_id 0
		.amdhsa_user_sgpr_private_segment_size 0
		.amdhsa_wavefront_size32 1
		.amdhsa_uses_dynamic_stack 0
		.amdhsa_enable_private_segment 0
		.amdhsa_system_sgpr_workgroup_id_x 1
		.amdhsa_system_sgpr_workgroup_id_y 0
		.amdhsa_system_sgpr_workgroup_id_z 0
		.amdhsa_system_sgpr_workgroup_info 0
		.amdhsa_system_vgpr_workitem_id 0
		.amdhsa_next_free_vgpr 1
		.amdhsa_next_free_sgpr 1
		.amdhsa_reserve_vcc 0
		.amdhsa_float_round_mode_32 0
		.amdhsa_float_round_mode_16_64 0
		.amdhsa_float_denorm_mode_32 3
		.amdhsa_float_denorm_mode_16_64 3
		.amdhsa_dx10_clamp 1
		.amdhsa_ieee_mode 1
		.amdhsa_fp16_overflow 0
		.amdhsa_workgroup_processor_mode 1
		.amdhsa_memory_ordered 1
		.amdhsa_forward_progress 0
		.amdhsa_shared_vgpr_count 0
		.amdhsa_exception_fp_ieee_invalid_op 0
		.amdhsa_exception_fp_denorm_src 0
		.amdhsa_exception_fp_ieee_div_zero 0
		.amdhsa_exception_fp_ieee_overflow 0
		.amdhsa_exception_fp_ieee_underflow 0
		.amdhsa_exception_fp_ieee_inexact 0
		.amdhsa_exception_int_div_zero 0
	.end_amdhsa_kernel
	.section	.text._ZN7rocprim17ROCPRIM_400000_NS6detail17trampoline_kernelINS0_14default_configENS1_22reduce_config_selectorIN6thrust23THRUST_200600_302600_NS5tupleIblNS6_9null_typeES8_S8_S8_S8_S8_S8_S8_EEEEZNS1_11reduce_implILb1ES3_NS6_12zip_iteratorINS7_INS6_11hip_rocprim26transform_input_iterator_tIbNSD_35transform_pair_of_input_iterators_tIbNS6_6detail15normal_iteratorINS6_10device_ptrIKsEEEESL_NS6_8equal_toIsEEEENSG_9not_fun_tINSD_8identityEEEEENSD_19counting_iterator_tIlEES8_S8_S8_S8_S8_S8_S8_S8_EEEEPS9_S9_NSD_9__find_if7functorIS9_EEEE10hipError_tPvRmT1_T2_T3_mT4_P12ihipStream_tbEUlT_E0_NS1_11comp_targetILNS1_3genE8ELNS1_11target_archE1030ELNS1_3gpuE2ELNS1_3repE0EEENS1_30default_config_static_selectorELNS0_4arch9wavefront6targetE0EEEvS14_,"axG",@progbits,_ZN7rocprim17ROCPRIM_400000_NS6detail17trampoline_kernelINS0_14default_configENS1_22reduce_config_selectorIN6thrust23THRUST_200600_302600_NS5tupleIblNS6_9null_typeES8_S8_S8_S8_S8_S8_S8_EEEEZNS1_11reduce_implILb1ES3_NS6_12zip_iteratorINS7_INS6_11hip_rocprim26transform_input_iterator_tIbNSD_35transform_pair_of_input_iterators_tIbNS6_6detail15normal_iteratorINS6_10device_ptrIKsEEEESL_NS6_8equal_toIsEEEENSG_9not_fun_tINSD_8identityEEEEENSD_19counting_iterator_tIlEES8_S8_S8_S8_S8_S8_S8_S8_EEEEPS9_S9_NSD_9__find_if7functorIS9_EEEE10hipError_tPvRmT1_T2_T3_mT4_P12ihipStream_tbEUlT_E0_NS1_11comp_targetILNS1_3genE8ELNS1_11target_archE1030ELNS1_3gpuE2ELNS1_3repE0EEENS1_30default_config_static_selectorELNS0_4arch9wavefront6targetE0EEEvS14_,comdat
.Lfunc_end563:
	.size	_ZN7rocprim17ROCPRIM_400000_NS6detail17trampoline_kernelINS0_14default_configENS1_22reduce_config_selectorIN6thrust23THRUST_200600_302600_NS5tupleIblNS6_9null_typeES8_S8_S8_S8_S8_S8_S8_EEEEZNS1_11reduce_implILb1ES3_NS6_12zip_iteratorINS7_INS6_11hip_rocprim26transform_input_iterator_tIbNSD_35transform_pair_of_input_iterators_tIbNS6_6detail15normal_iteratorINS6_10device_ptrIKsEEEESL_NS6_8equal_toIsEEEENSG_9not_fun_tINSD_8identityEEEEENSD_19counting_iterator_tIlEES8_S8_S8_S8_S8_S8_S8_S8_EEEEPS9_S9_NSD_9__find_if7functorIS9_EEEE10hipError_tPvRmT1_T2_T3_mT4_P12ihipStream_tbEUlT_E0_NS1_11comp_targetILNS1_3genE8ELNS1_11target_archE1030ELNS1_3gpuE2ELNS1_3repE0EEENS1_30default_config_static_selectorELNS0_4arch9wavefront6targetE0EEEvS14_, .Lfunc_end563-_ZN7rocprim17ROCPRIM_400000_NS6detail17trampoline_kernelINS0_14default_configENS1_22reduce_config_selectorIN6thrust23THRUST_200600_302600_NS5tupleIblNS6_9null_typeES8_S8_S8_S8_S8_S8_S8_EEEEZNS1_11reduce_implILb1ES3_NS6_12zip_iteratorINS7_INS6_11hip_rocprim26transform_input_iterator_tIbNSD_35transform_pair_of_input_iterators_tIbNS6_6detail15normal_iteratorINS6_10device_ptrIKsEEEESL_NS6_8equal_toIsEEEENSG_9not_fun_tINSD_8identityEEEEENSD_19counting_iterator_tIlEES8_S8_S8_S8_S8_S8_S8_S8_EEEEPS9_S9_NSD_9__find_if7functorIS9_EEEE10hipError_tPvRmT1_T2_T3_mT4_P12ihipStream_tbEUlT_E0_NS1_11comp_targetILNS1_3genE8ELNS1_11target_archE1030ELNS1_3gpuE2ELNS1_3repE0EEENS1_30default_config_static_selectorELNS0_4arch9wavefront6targetE0EEEvS14_
                                        ; -- End function
	.section	.AMDGPU.csdata,"",@progbits
; Kernel info:
; codeLenInByte = 0
; NumSgprs: 0
; NumVgprs: 0
; ScratchSize: 0
; MemoryBound: 0
; FloatMode: 240
; IeeeMode: 1
; LDSByteSize: 0 bytes/workgroup (compile time only)
; SGPRBlocks: 0
; VGPRBlocks: 0
; NumSGPRsForWavesPerEU: 1
; NumVGPRsForWavesPerEU: 1
; Occupancy: 16
; WaveLimiterHint : 0
; COMPUTE_PGM_RSRC2:SCRATCH_EN: 0
; COMPUTE_PGM_RSRC2:USER_SGPR: 15
; COMPUTE_PGM_RSRC2:TRAP_HANDLER: 0
; COMPUTE_PGM_RSRC2:TGID_X_EN: 1
; COMPUTE_PGM_RSRC2:TGID_Y_EN: 0
; COMPUTE_PGM_RSRC2:TGID_Z_EN: 0
; COMPUTE_PGM_RSRC2:TIDIG_COMP_CNT: 0
	.section	.text._ZN7rocprim17ROCPRIM_400000_NS6detail17trampoline_kernelINS0_14default_configENS1_22reduce_config_selectorIN6thrust23THRUST_200600_302600_NS5tupleIblNS6_9null_typeES8_S8_S8_S8_S8_S8_S8_EEEEZNS1_11reduce_implILb1ES3_NS6_12zip_iteratorINS7_INS6_11hip_rocprim26transform_input_iterator_tIbNSD_35transform_pair_of_input_iterators_tIbNS6_6detail15normal_iteratorINS6_10device_ptrIKsEEEESL_NS6_8equal_toIsEEEENSG_9not_fun_tINSD_8identityEEEEENSD_19counting_iterator_tIlEES8_S8_S8_S8_S8_S8_S8_S8_EEEEPS9_S9_NSD_9__find_if7functorIS9_EEEE10hipError_tPvRmT1_T2_T3_mT4_P12ihipStream_tbEUlT_E1_NS1_11comp_targetILNS1_3genE0ELNS1_11target_archE4294967295ELNS1_3gpuE0ELNS1_3repE0EEENS1_30default_config_static_selectorELNS0_4arch9wavefront6targetE0EEEvS14_,"axG",@progbits,_ZN7rocprim17ROCPRIM_400000_NS6detail17trampoline_kernelINS0_14default_configENS1_22reduce_config_selectorIN6thrust23THRUST_200600_302600_NS5tupleIblNS6_9null_typeES8_S8_S8_S8_S8_S8_S8_EEEEZNS1_11reduce_implILb1ES3_NS6_12zip_iteratorINS7_INS6_11hip_rocprim26transform_input_iterator_tIbNSD_35transform_pair_of_input_iterators_tIbNS6_6detail15normal_iteratorINS6_10device_ptrIKsEEEESL_NS6_8equal_toIsEEEENSG_9not_fun_tINSD_8identityEEEEENSD_19counting_iterator_tIlEES8_S8_S8_S8_S8_S8_S8_S8_EEEEPS9_S9_NSD_9__find_if7functorIS9_EEEE10hipError_tPvRmT1_T2_T3_mT4_P12ihipStream_tbEUlT_E1_NS1_11comp_targetILNS1_3genE0ELNS1_11target_archE4294967295ELNS1_3gpuE0ELNS1_3repE0EEENS1_30default_config_static_selectorELNS0_4arch9wavefront6targetE0EEEvS14_,comdat
	.protected	_ZN7rocprim17ROCPRIM_400000_NS6detail17trampoline_kernelINS0_14default_configENS1_22reduce_config_selectorIN6thrust23THRUST_200600_302600_NS5tupleIblNS6_9null_typeES8_S8_S8_S8_S8_S8_S8_EEEEZNS1_11reduce_implILb1ES3_NS6_12zip_iteratorINS7_INS6_11hip_rocprim26transform_input_iterator_tIbNSD_35transform_pair_of_input_iterators_tIbNS6_6detail15normal_iteratorINS6_10device_ptrIKsEEEESL_NS6_8equal_toIsEEEENSG_9not_fun_tINSD_8identityEEEEENSD_19counting_iterator_tIlEES8_S8_S8_S8_S8_S8_S8_S8_EEEEPS9_S9_NSD_9__find_if7functorIS9_EEEE10hipError_tPvRmT1_T2_T3_mT4_P12ihipStream_tbEUlT_E1_NS1_11comp_targetILNS1_3genE0ELNS1_11target_archE4294967295ELNS1_3gpuE0ELNS1_3repE0EEENS1_30default_config_static_selectorELNS0_4arch9wavefront6targetE0EEEvS14_ ; -- Begin function _ZN7rocprim17ROCPRIM_400000_NS6detail17trampoline_kernelINS0_14default_configENS1_22reduce_config_selectorIN6thrust23THRUST_200600_302600_NS5tupleIblNS6_9null_typeES8_S8_S8_S8_S8_S8_S8_EEEEZNS1_11reduce_implILb1ES3_NS6_12zip_iteratorINS7_INS6_11hip_rocprim26transform_input_iterator_tIbNSD_35transform_pair_of_input_iterators_tIbNS6_6detail15normal_iteratorINS6_10device_ptrIKsEEEESL_NS6_8equal_toIsEEEENSG_9not_fun_tINSD_8identityEEEEENSD_19counting_iterator_tIlEES8_S8_S8_S8_S8_S8_S8_S8_EEEEPS9_S9_NSD_9__find_if7functorIS9_EEEE10hipError_tPvRmT1_T2_T3_mT4_P12ihipStream_tbEUlT_E1_NS1_11comp_targetILNS1_3genE0ELNS1_11target_archE4294967295ELNS1_3gpuE0ELNS1_3repE0EEENS1_30default_config_static_selectorELNS0_4arch9wavefront6targetE0EEEvS14_
	.globl	_ZN7rocprim17ROCPRIM_400000_NS6detail17trampoline_kernelINS0_14default_configENS1_22reduce_config_selectorIN6thrust23THRUST_200600_302600_NS5tupleIblNS6_9null_typeES8_S8_S8_S8_S8_S8_S8_EEEEZNS1_11reduce_implILb1ES3_NS6_12zip_iteratorINS7_INS6_11hip_rocprim26transform_input_iterator_tIbNSD_35transform_pair_of_input_iterators_tIbNS6_6detail15normal_iteratorINS6_10device_ptrIKsEEEESL_NS6_8equal_toIsEEEENSG_9not_fun_tINSD_8identityEEEEENSD_19counting_iterator_tIlEES8_S8_S8_S8_S8_S8_S8_S8_EEEEPS9_S9_NSD_9__find_if7functorIS9_EEEE10hipError_tPvRmT1_T2_T3_mT4_P12ihipStream_tbEUlT_E1_NS1_11comp_targetILNS1_3genE0ELNS1_11target_archE4294967295ELNS1_3gpuE0ELNS1_3repE0EEENS1_30default_config_static_selectorELNS0_4arch9wavefront6targetE0EEEvS14_
	.p2align	8
	.type	_ZN7rocprim17ROCPRIM_400000_NS6detail17trampoline_kernelINS0_14default_configENS1_22reduce_config_selectorIN6thrust23THRUST_200600_302600_NS5tupleIblNS6_9null_typeES8_S8_S8_S8_S8_S8_S8_EEEEZNS1_11reduce_implILb1ES3_NS6_12zip_iteratorINS7_INS6_11hip_rocprim26transform_input_iterator_tIbNSD_35transform_pair_of_input_iterators_tIbNS6_6detail15normal_iteratorINS6_10device_ptrIKsEEEESL_NS6_8equal_toIsEEEENSG_9not_fun_tINSD_8identityEEEEENSD_19counting_iterator_tIlEES8_S8_S8_S8_S8_S8_S8_S8_EEEEPS9_S9_NSD_9__find_if7functorIS9_EEEE10hipError_tPvRmT1_T2_T3_mT4_P12ihipStream_tbEUlT_E1_NS1_11comp_targetILNS1_3genE0ELNS1_11target_archE4294967295ELNS1_3gpuE0ELNS1_3repE0EEENS1_30default_config_static_selectorELNS0_4arch9wavefront6targetE0EEEvS14_,@function
_ZN7rocprim17ROCPRIM_400000_NS6detail17trampoline_kernelINS0_14default_configENS1_22reduce_config_selectorIN6thrust23THRUST_200600_302600_NS5tupleIblNS6_9null_typeES8_S8_S8_S8_S8_S8_S8_EEEEZNS1_11reduce_implILb1ES3_NS6_12zip_iteratorINS7_INS6_11hip_rocprim26transform_input_iterator_tIbNSD_35transform_pair_of_input_iterators_tIbNS6_6detail15normal_iteratorINS6_10device_ptrIKsEEEESL_NS6_8equal_toIsEEEENSG_9not_fun_tINSD_8identityEEEEENSD_19counting_iterator_tIlEES8_S8_S8_S8_S8_S8_S8_S8_EEEEPS9_S9_NSD_9__find_if7functorIS9_EEEE10hipError_tPvRmT1_T2_T3_mT4_P12ihipStream_tbEUlT_E1_NS1_11comp_targetILNS1_3genE0ELNS1_11target_archE4294967295ELNS1_3gpuE0ELNS1_3repE0EEENS1_30default_config_static_selectorELNS0_4arch9wavefront6targetE0EEEvS14_: ; @_ZN7rocprim17ROCPRIM_400000_NS6detail17trampoline_kernelINS0_14default_configENS1_22reduce_config_selectorIN6thrust23THRUST_200600_302600_NS5tupleIblNS6_9null_typeES8_S8_S8_S8_S8_S8_S8_EEEEZNS1_11reduce_implILb1ES3_NS6_12zip_iteratorINS7_INS6_11hip_rocprim26transform_input_iterator_tIbNSD_35transform_pair_of_input_iterators_tIbNS6_6detail15normal_iteratorINS6_10device_ptrIKsEEEESL_NS6_8equal_toIsEEEENSG_9not_fun_tINSD_8identityEEEEENSD_19counting_iterator_tIlEES8_S8_S8_S8_S8_S8_S8_S8_EEEEPS9_S9_NSD_9__find_if7functorIS9_EEEE10hipError_tPvRmT1_T2_T3_mT4_P12ihipStream_tbEUlT_E1_NS1_11comp_targetILNS1_3genE0ELNS1_11target_archE4294967295ELNS1_3gpuE0ELNS1_3repE0EEENS1_30default_config_static_selectorELNS0_4arch9wavefront6targetE0EEEvS14_
; %bb.0:
	.section	.rodata,"a",@progbits
	.p2align	6, 0x0
	.amdhsa_kernel _ZN7rocprim17ROCPRIM_400000_NS6detail17trampoline_kernelINS0_14default_configENS1_22reduce_config_selectorIN6thrust23THRUST_200600_302600_NS5tupleIblNS6_9null_typeES8_S8_S8_S8_S8_S8_S8_EEEEZNS1_11reduce_implILb1ES3_NS6_12zip_iteratorINS7_INS6_11hip_rocprim26transform_input_iterator_tIbNSD_35transform_pair_of_input_iterators_tIbNS6_6detail15normal_iteratorINS6_10device_ptrIKsEEEESL_NS6_8equal_toIsEEEENSG_9not_fun_tINSD_8identityEEEEENSD_19counting_iterator_tIlEES8_S8_S8_S8_S8_S8_S8_S8_EEEEPS9_S9_NSD_9__find_if7functorIS9_EEEE10hipError_tPvRmT1_T2_T3_mT4_P12ihipStream_tbEUlT_E1_NS1_11comp_targetILNS1_3genE0ELNS1_11target_archE4294967295ELNS1_3gpuE0ELNS1_3repE0EEENS1_30default_config_static_selectorELNS0_4arch9wavefront6targetE0EEEvS14_
		.amdhsa_group_segment_fixed_size 0
		.amdhsa_private_segment_fixed_size 0
		.amdhsa_kernarg_size 88
		.amdhsa_user_sgpr_count 15
		.amdhsa_user_sgpr_dispatch_ptr 0
		.amdhsa_user_sgpr_queue_ptr 0
		.amdhsa_user_sgpr_kernarg_segment_ptr 1
		.amdhsa_user_sgpr_dispatch_id 0
		.amdhsa_user_sgpr_private_segment_size 0
		.amdhsa_wavefront_size32 1
		.amdhsa_uses_dynamic_stack 0
		.amdhsa_enable_private_segment 0
		.amdhsa_system_sgpr_workgroup_id_x 1
		.amdhsa_system_sgpr_workgroup_id_y 0
		.amdhsa_system_sgpr_workgroup_id_z 0
		.amdhsa_system_sgpr_workgroup_info 0
		.amdhsa_system_vgpr_workitem_id 0
		.amdhsa_next_free_vgpr 1
		.amdhsa_next_free_sgpr 1
		.amdhsa_reserve_vcc 0
		.amdhsa_float_round_mode_32 0
		.amdhsa_float_round_mode_16_64 0
		.amdhsa_float_denorm_mode_32 3
		.amdhsa_float_denorm_mode_16_64 3
		.amdhsa_dx10_clamp 1
		.amdhsa_ieee_mode 1
		.amdhsa_fp16_overflow 0
		.amdhsa_workgroup_processor_mode 1
		.amdhsa_memory_ordered 1
		.amdhsa_forward_progress 0
		.amdhsa_shared_vgpr_count 0
		.amdhsa_exception_fp_ieee_invalid_op 0
		.amdhsa_exception_fp_denorm_src 0
		.amdhsa_exception_fp_ieee_div_zero 0
		.amdhsa_exception_fp_ieee_overflow 0
		.amdhsa_exception_fp_ieee_underflow 0
		.amdhsa_exception_fp_ieee_inexact 0
		.amdhsa_exception_int_div_zero 0
	.end_amdhsa_kernel
	.section	.text._ZN7rocprim17ROCPRIM_400000_NS6detail17trampoline_kernelINS0_14default_configENS1_22reduce_config_selectorIN6thrust23THRUST_200600_302600_NS5tupleIblNS6_9null_typeES8_S8_S8_S8_S8_S8_S8_EEEEZNS1_11reduce_implILb1ES3_NS6_12zip_iteratorINS7_INS6_11hip_rocprim26transform_input_iterator_tIbNSD_35transform_pair_of_input_iterators_tIbNS6_6detail15normal_iteratorINS6_10device_ptrIKsEEEESL_NS6_8equal_toIsEEEENSG_9not_fun_tINSD_8identityEEEEENSD_19counting_iterator_tIlEES8_S8_S8_S8_S8_S8_S8_S8_EEEEPS9_S9_NSD_9__find_if7functorIS9_EEEE10hipError_tPvRmT1_T2_T3_mT4_P12ihipStream_tbEUlT_E1_NS1_11comp_targetILNS1_3genE0ELNS1_11target_archE4294967295ELNS1_3gpuE0ELNS1_3repE0EEENS1_30default_config_static_selectorELNS0_4arch9wavefront6targetE0EEEvS14_,"axG",@progbits,_ZN7rocprim17ROCPRIM_400000_NS6detail17trampoline_kernelINS0_14default_configENS1_22reduce_config_selectorIN6thrust23THRUST_200600_302600_NS5tupleIblNS6_9null_typeES8_S8_S8_S8_S8_S8_S8_EEEEZNS1_11reduce_implILb1ES3_NS6_12zip_iteratorINS7_INS6_11hip_rocprim26transform_input_iterator_tIbNSD_35transform_pair_of_input_iterators_tIbNS6_6detail15normal_iteratorINS6_10device_ptrIKsEEEESL_NS6_8equal_toIsEEEENSG_9not_fun_tINSD_8identityEEEEENSD_19counting_iterator_tIlEES8_S8_S8_S8_S8_S8_S8_S8_EEEEPS9_S9_NSD_9__find_if7functorIS9_EEEE10hipError_tPvRmT1_T2_T3_mT4_P12ihipStream_tbEUlT_E1_NS1_11comp_targetILNS1_3genE0ELNS1_11target_archE4294967295ELNS1_3gpuE0ELNS1_3repE0EEENS1_30default_config_static_selectorELNS0_4arch9wavefront6targetE0EEEvS14_,comdat
.Lfunc_end564:
	.size	_ZN7rocprim17ROCPRIM_400000_NS6detail17trampoline_kernelINS0_14default_configENS1_22reduce_config_selectorIN6thrust23THRUST_200600_302600_NS5tupleIblNS6_9null_typeES8_S8_S8_S8_S8_S8_S8_EEEEZNS1_11reduce_implILb1ES3_NS6_12zip_iteratorINS7_INS6_11hip_rocprim26transform_input_iterator_tIbNSD_35transform_pair_of_input_iterators_tIbNS6_6detail15normal_iteratorINS6_10device_ptrIKsEEEESL_NS6_8equal_toIsEEEENSG_9not_fun_tINSD_8identityEEEEENSD_19counting_iterator_tIlEES8_S8_S8_S8_S8_S8_S8_S8_EEEEPS9_S9_NSD_9__find_if7functorIS9_EEEE10hipError_tPvRmT1_T2_T3_mT4_P12ihipStream_tbEUlT_E1_NS1_11comp_targetILNS1_3genE0ELNS1_11target_archE4294967295ELNS1_3gpuE0ELNS1_3repE0EEENS1_30default_config_static_selectorELNS0_4arch9wavefront6targetE0EEEvS14_, .Lfunc_end564-_ZN7rocprim17ROCPRIM_400000_NS6detail17trampoline_kernelINS0_14default_configENS1_22reduce_config_selectorIN6thrust23THRUST_200600_302600_NS5tupleIblNS6_9null_typeES8_S8_S8_S8_S8_S8_S8_EEEEZNS1_11reduce_implILb1ES3_NS6_12zip_iteratorINS7_INS6_11hip_rocprim26transform_input_iterator_tIbNSD_35transform_pair_of_input_iterators_tIbNS6_6detail15normal_iteratorINS6_10device_ptrIKsEEEESL_NS6_8equal_toIsEEEENSG_9not_fun_tINSD_8identityEEEEENSD_19counting_iterator_tIlEES8_S8_S8_S8_S8_S8_S8_S8_EEEEPS9_S9_NSD_9__find_if7functorIS9_EEEE10hipError_tPvRmT1_T2_T3_mT4_P12ihipStream_tbEUlT_E1_NS1_11comp_targetILNS1_3genE0ELNS1_11target_archE4294967295ELNS1_3gpuE0ELNS1_3repE0EEENS1_30default_config_static_selectorELNS0_4arch9wavefront6targetE0EEEvS14_
                                        ; -- End function
	.section	.AMDGPU.csdata,"",@progbits
; Kernel info:
; codeLenInByte = 0
; NumSgprs: 0
; NumVgprs: 0
; ScratchSize: 0
; MemoryBound: 0
; FloatMode: 240
; IeeeMode: 1
; LDSByteSize: 0 bytes/workgroup (compile time only)
; SGPRBlocks: 0
; VGPRBlocks: 0
; NumSGPRsForWavesPerEU: 1
; NumVGPRsForWavesPerEU: 1
; Occupancy: 16
; WaveLimiterHint : 0
; COMPUTE_PGM_RSRC2:SCRATCH_EN: 0
; COMPUTE_PGM_RSRC2:USER_SGPR: 15
; COMPUTE_PGM_RSRC2:TRAP_HANDLER: 0
; COMPUTE_PGM_RSRC2:TGID_X_EN: 1
; COMPUTE_PGM_RSRC2:TGID_Y_EN: 0
; COMPUTE_PGM_RSRC2:TGID_Z_EN: 0
; COMPUTE_PGM_RSRC2:TIDIG_COMP_CNT: 0
	.section	.text._ZN7rocprim17ROCPRIM_400000_NS6detail17trampoline_kernelINS0_14default_configENS1_22reduce_config_selectorIN6thrust23THRUST_200600_302600_NS5tupleIblNS6_9null_typeES8_S8_S8_S8_S8_S8_S8_EEEEZNS1_11reduce_implILb1ES3_NS6_12zip_iteratorINS7_INS6_11hip_rocprim26transform_input_iterator_tIbNSD_35transform_pair_of_input_iterators_tIbNS6_6detail15normal_iteratorINS6_10device_ptrIKsEEEESL_NS6_8equal_toIsEEEENSG_9not_fun_tINSD_8identityEEEEENSD_19counting_iterator_tIlEES8_S8_S8_S8_S8_S8_S8_S8_EEEEPS9_S9_NSD_9__find_if7functorIS9_EEEE10hipError_tPvRmT1_T2_T3_mT4_P12ihipStream_tbEUlT_E1_NS1_11comp_targetILNS1_3genE5ELNS1_11target_archE942ELNS1_3gpuE9ELNS1_3repE0EEENS1_30default_config_static_selectorELNS0_4arch9wavefront6targetE0EEEvS14_,"axG",@progbits,_ZN7rocprim17ROCPRIM_400000_NS6detail17trampoline_kernelINS0_14default_configENS1_22reduce_config_selectorIN6thrust23THRUST_200600_302600_NS5tupleIblNS6_9null_typeES8_S8_S8_S8_S8_S8_S8_EEEEZNS1_11reduce_implILb1ES3_NS6_12zip_iteratorINS7_INS6_11hip_rocprim26transform_input_iterator_tIbNSD_35transform_pair_of_input_iterators_tIbNS6_6detail15normal_iteratorINS6_10device_ptrIKsEEEESL_NS6_8equal_toIsEEEENSG_9not_fun_tINSD_8identityEEEEENSD_19counting_iterator_tIlEES8_S8_S8_S8_S8_S8_S8_S8_EEEEPS9_S9_NSD_9__find_if7functorIS9_EEEE10hipError_tPvRmT1_T2_T3_mT4_P12ihipStream_tbEUlT_E1_NS1_11comp_targetILNS1_3genE5ELNS1_11target_archE942ELNS1_3gpuE9ELNS1_3repE0EEENS1_30default_config_static_selectorELNS0_4arch9wavefront6targetE0EEEvS14_,comdat
	.protected	_ZN7rocprim17ROCPRIM_400000_NS6detail17trampoline_kernelINS0_14default_configENS1_22reduce_config_selectorIN6thrust23THRUST_200600_302600_NS5tupleIblNS6_9null_typeES8_S8_S8_S8_S8_S8_S8_EEEEZNS1_11reduce_implILb1ES3_NS6_12zip_iteratorINS7_INS6_11hip_rocprim26transform_input_iterator_tIbNSD_35transform_pair_of_input_iterators_tIbNS6_6detail15normal_iteratorINS6_10device_ptrIKsEEEESL_NS6_8equal_toIsEEEENSG_9not_fun_tINSD_8identityEEEEENSD_19counting_iterator_tIlEES8_S8_S8_S8_S8_S8_S8_S8_EEEEPS9_S9_NSD_9__find_if7functorIS9_EEEE10hipError_tPvRmT1_T2_T3_mT4_P12ihipStream_tbEUlT_E1_NS1_11comp_targetILNS1_3genE5ELNS1_11target_archE942ELNS1_3gpuE9ELNS1_3repE0EEENS1_30default_config_static_selectorELNS0_4arch9wavefront6targetE0EEEvS14_ ; -- Begin function _ZN7rocprim17ROCPRIM_400000_NS6detail17trampoline_kernelINS0_14default_configENS1_22reduce_config_selectorIN6thrust23THRUST_200600_302600_NS5tupleIblNS6_9null_typeES8_S8_S8_S8_S8_S8_S8_EEEEZNS1_11reduce_implILb1ES3_NS6_12zip_iteratorINS7_INS6_11hip_rocprim26transform_input_iterator_tIbNSD_35transform_pair_of_input_iterators_tIbNS6_6detail15normal_iteratorINS6_10device_ptrIKsEEEESL_NS6_8equal_toIsEEEENSG_9not_fun_tINSD_8identityEEEEENSD_19counting_iterator_tIlEES8_S8_S8_S8_S8_S8_S8_S8_EEEEPS9_S9_NSD_9__find_if7functorIS9_EEEE10hipError_tPvRmT1_T2_T3_mT4_P12ihipStream_tbEUlT_E1_NS1_11comp_targetILNS1_3genE5ELNS1_11target_archE942ELNS1_3gpuE9ELNS1_3repE0EEENS1_30default_config_static_selectorELNS0_4arch9wavefront6targetE0EEEvS14_
	.globl	_ZN7rocprim17ROCPRIM_400000_NS6detail17trampoline_kernelINS0_14default_configENS1_22reduce_config_selectorIN6thrust23THRUST_200600_302600_NS5tupleIblNS6_9null_typeES8_S8_S8_S8_S8_S8_S8_EEEEZNS1_11reduce_implILb1ES3_NS6_12zip_iteratorINS7_INS6_11hip_rocprim26transform_input_iterator_tIbNSD_35transform_pair_of_input_iterators_tIbNS6_6detail15normal_iteratorINS6_10device_ptrIKsEEEESL_NS6_8equal_toIsEEEENSG_9not_fun_tINSD_8identityEEEEENSD_19counting_iterator_tIlEES8_S8_S8_S8_S8_S8_S8_S8_EEEEPS9_S9_NSD_9__find_if7functorIS9_EEEE10hipError_tPvRmT1_T2_T3_mT4_P12ihipStream_tbEUlT_E1_NS1_11comp_targetILNS1_3genE5ELNS1_11target_archE942ELNS1_3gpuE9ELNS1_3repE0EEENS1_30default_config_static_selectorELNS0_4arch9wavefront6targetE0EEEvS14_
	.p2align	8
	.type	_ZN7rocprim17ROCPRIM_400000_NS6detail17trampoline_kernelINS0_14default_configENS1_22reduce_config_selectorIN6thrust23THRUST_200600_302600_NS5tupleIblNS6_9null_typeES8_S8_S8_S8_S8_S8_S8_EEEEZNS1_11reduce_implILb1ES3_NS6_12zip_iteratorINS7_INS6_11hip_rocprim26transform_input_iterator_tIbNSD_35transform_pair_of_input_iterators_tIbNS6_6detail15normal_iteratorINS6_10device_ptrIKsEEEESL_NS6_8equal_toIsEEEENSG_9not_fun_tINSD_8identityEEEEENSD_19counting_iterator_tIlEES8_S8_S8_S8_S8_S8_S8_S8_EEEEPS9_S9_NSD_9__find_if7functorIS9_EEEE10hipError_tPvRmT1_T2_T3_mT4_P12ihipStream_tbEUlT_E1_NS1_11comp_targetILNS1_3genE5ELNS1_11target_archE942ELNS1_3gpuE9ELNS1_3repE0EEENS1_30default_config_static_selectorELNS0_4arch9wavefront6targetE0EEEvS14_,@function
_ZN7rocprim17ROCPRIM_400000_NS6detail17trampoline_kernelINS0_14default_configENS1_22reduce_config_selectorIN6thrust23THRUST_200600_302600_NS5tupleIblNS6_9null_typeES8_S8_S8_S8_S8_S8_S8_EEEEZNS1_11reduce_implILb1ES3_NS6_12zip_iteratorINS7_INS6_11hip_rocprim26transform_input_iterator_tIbNSD_35transform_pair_of_input_iterators_tIbNS6_6detail15normal_iteratorINS6_10device_ptrIKsEEEESL_NS6_8equal_toIsEEEENSG_9not_fun_tINSD_8identityEEEEENSD_19counting_iterator_tIlEES8_S8_S8_S8_S8_S8_S8_S8_EEEEPS9_S9_NSD_9__find_if7functorIS9_EEEE10hipError_tPvRmT1_T2_T3_mT4_P12ihipStream_tbEUlT_E1_NS1_11comp_targetILNS1_3genE5ELNS1_11target_archE942ELNS1_3gpuE9ELNS1_3repE0EEENS1_30default_config_static_selectorELNS0_4arch9wavefront6targetE0EEEvS14_: ; @_ZN7rocprim17ROCPRIM_400000_NS6detail17trampoline_kernelINS0_14default_configENS1_22reduce_config_selectorIN6thrust23THRUST_200600_302600_NS5tupleIblNS6_9null_typeES8_S8_S8_S8_S8_S8_S8_EEEEZNS1_11reduce_implILb1ES3_NS6_12zip_iteratorINS7_INS6_11hip_rocprim26transform_input_iterator_tIbNSD_35transform_pair_of_input_iterators_tIbNS6_6detail15normal_iteratorINS6_10device_ptrIKsEEEESL_NS6_8equal_toIsEEEENSG_9not_fun_tINSD_8identityEEEEENSD_19counting_iterator_tIlEES8_S8_S8_S8_S8_S8_S8_S8_EEEEPS9_S9_NSD_9__find_if7functorIS9_EEEE10hipError_tPvRmT1_T2_T3_mT4_P12ihipStream_tbEUlT_E1_NS1_11comp_targetILNS1_3genE5ELNS1_11target_archE942ELNS1_3gpuE9ELNS1_3repE0EEENS1_30default_config_static_selectorELNS0_4arch9wavefront6targetE0EEEvS14_
; %bb.0:
	.section	.rodata,"a",@progbits
	.p2align	6, 0x0
	.amdhsa_kernel _ZN7rocprim17ROCPRIM_400000_NS6detail17trampoline_kernelINS0_14default_configENS1_22reduce_config_selectorIN6thrust23THRUST_200600_302600_NS5tupleIblNS6_9null_typeES8_S8_S8_S8_S8_S8_S8_EEEEZNS1_11reduce_implILb1ES3_NS6_12zip_iteratorINS7_INS6_11hip_rocprim26transform_input_iterator_tIbNSD_35transform_pair_of_input_iterators_tIbNS6_6detail15normal_iteratorINS6_10device_ptrIKsEEEESL_NS6_8equal_toIsEEEENSG_9not_fun_tINSD_8identityEEEEENSD_19counting_iterator_tIlEES8_S8_S8_S8_S8_S8_S8_S8_EEEEPS9_S9_NSD_9__find_if7functorIS9_EEEE10hipError_tPvRmT1_T2_T3_mT4_P12ihipStream_tbEUlT_E1_NS1_11comp_targetILNS1_3genE5ELNS1_11target_archE942ELNS1_3gpuE9ELNS1_3repE0EEENS1_30default_config_static_selectorELNS0_4arch9wavefront6targetE0EEEvS14_
		.amdhsa_group_segment_fixed_size 0
		.amdhsa_private_segment_fixed_size 0
		.amdhsa_kernarg_size 88
		.amdhsa_user_sgpr_count 15
		.amdhsa_user_sgpr_dispatch_ptr 0
		.amdhsa_user_sgpr_queue_ptr 0
		.amdhsa_user_sgpr_kernarg_segment_ptr 1
		.amdhsa_user_sgpr_dispatch_id 0
		.amdhsa_user_sgpr_private_segment_size 0
		.amdhsa_wavefront_size32 1
		.amdhsa_uses_dynamic_stack 0
		.amdhsa_enable_private_segment 0
		.amdhsa_system_sgpr_workgroup_id_x 1
		.amdhsa_system_sgpr_workgroup_id_y 0
		.amdhsa_system_sgpr_workgroup_id_z 0
		.amdhsa_system_sgpr_workgroup_info 0
		.amdhsa_system_vgpr_workitem_id 0
		.amdhsa_next_free_vgpr 1
		.amdhsa_next_free_sgpr 1
		.amdhsa_reserve_vcc 0
		.amdhsa_float_round_mode_32 0
		.amdhsa_float_round_mode_16_64 0
		.amdhsa_float_denorm_mode_32 3
		.amdhsa_float_denorm_mode_16_64 3
		.amdhsa_dx10_clamp 1
		.amdhsa_ieee_mode 1
		.amdhsa_fp16_overflow 0
		.amdhsa_workgroup_processor_mode 1
		.amdhsa_memory_ordered 1
		.amdhsa_forward_progress 0
		.amdhsa_shared_vgpr_count 0
		.amdhsa_exception_fp_ieee_invalid_op 0
		.amdhsa_exception_fp_denorm_src 0
		.amdhsa_exception_fp_ieee_div_zero 0
		.amdhsa_exception_fp_ieee_overflow 0
		.amdhsa_exception_fp_ieee_underflow 0
		.amdhsa_exception_fp_ieee_inexact 0
		.amdhsa_exception_int_div_zero 0
	.end_amdhsa_kernel
	.section	.text._ZN7rocprim17ROCPRIM_400000_NS6detail17trampoline_kernelINS0_14default_configENS1_22reduce_config_selectorIN6thrust23THRUST_200600_302600_NS5tupleIblNS6_9null_typeES8_S8_S8_S8_S8_S8_S8_EEEEZNS1_11reduce_implILb1ES3_NS6_12zip_iteratorINS7_INS6_11hip_rocprim26transform_input_iterator_tIbNSD_35transform_pair_of_input_iterators_tIbNS6_6detail15normal_iteratorINS6_10device_ptrIKsEEEESL_NS6_8equal_toIsEEEENSG_9not_fun_tINSD_8identityEEEEENSD_19counting_iterator_tIlEES8_S8_S8_S8_S8_S8_S8_S8_EEEEPS9_S9_NSD_9__find_if7functorIS9_EEEE10hipError_tPvRmT1_T2_T3_mT4_P12ihipStream_tbEUlT_E1_NS1_11comp_targetILNS1_3genE5ELNS1_11target_archE942ELNS1_3gpuE9ELNS1_3repE0EEENS1_30default_config_static_selectorELNS0_4arch9wavefront6targetE0EEEvS14_,"axG",@progbits,_ZN7rocprim17ROCPRIM_400000_NS6detail17trampoline_kernelINS0_14default_configENS1_22reduce_config_selectorIN6thrust23THRUST_200600_302600_NS5tupleIblNS6_9null_typeES8_S8_S8_S8_S8_S8_S8_EEEEZNS1_11reduce_implILb1ES3_NS6_12zip_iteratorINS7_INS6_11hip_rocprim26transform_input_iterator_tIbNSD_35transform_pair_of_input_iterators_tIbNS6_6detail15normal_iteratorINS6_10device_ptrIKsEEEESL_NS6_8equal_toIsEEEENSG_9not_fun_tINSD_8identityEEEEENSD_19counting_iterator_tIlEES8_S8_S8_S8_S8_S8_S8_S8_EEEEPS9_S9_NSD_9__find_if7functorIS9_EEEE10hipError_tPvRmT1_T2_T3_mT4_P12ihipStream_tbEUlT_E1_NS1_11comp_targetILNS1_3genE5ELNS1_11target_archE942ELNS1_3gpuE9ELNS1_3repE0EEENS1_30default_config_static_selectorELNS0_4arch9wavefront6targetE0EEEvS14_,comdat
.Lfunc_end565:
	.size	_ZN7rocprim17ROCPRIM_400000_NS6detail17trampoline_kernelINS0_14default_configENS1_22reduce_config_selectorIN6thrust23THRUST_200600_302600_NS5tupleIblNS6_9null_typeES8_S8_S8_S8_S8_S8_S8_EEEEZNS1_11reduce_implILb1ES3_NS6_12zip_iteratorINS7_INS6_11hip_rocprim26transform_input_iterator_tIbNSD_35transform_pair_of_input_iterators_tIbNS6_6detail15normal_iteratorINS6_10device_ptrIKsEEEESL_NS6_8equal_toIsEEEENSG_9not_fun_tINSD_8identityEEEEENSD_19counting_iterator_tIlEES8_S8_S8_S8_S8_S8_S8_S8_EEEEPS9_S9_NSD_9__find_if7functorIS9_EEEE10hipError_tPvRmT1_T2_T3_mT4_P12ihipStream_tbEUlT_E1_NS1_11comp_targetILNS1_3genE5ELNS1_11target_archE942ELNS1_3gpuE9ELNS1_3repE0EEENS1_30default_config_static_selectorELNS0_4arch9wavefront6targetE0EEEvS14_, .Lfunc_end565-_ZN7rocprim17ROCPRIM_400000_NS6detail17trampoline_kernelINS0_14default_configENS1_22reduce_config_selectorIN6thrust23THRUST_200600_302600_NS5tupleIblNS6_9null_typeES8_S8_S8_S8_S8_S8_S8_EEEEZNS1_11reduce_implILb1ES3_NS6_12zip_iteratorINS7_INS6_11hip_rocprim26transform_input_iterator_tIbNSD_35transform_pair_of_input_iterators_tIbNS6_6detail15normal_iteratorINS6_10device_ptrIKsEEEESL_NS6_8equal_toIsEEEENSG_9not_fun_tINSD_8identityEEEEENSD_19counting_iterator_tIlEES8_S8_S8_S8_S8_S8_S8_S8_EEEEPS9_S9_NSD_9__find_if7functorIS9_EEEE10hipError_tPvRmT1_T2_T3_mT4_P12ihipStream_tbEUlT_E1_NS1_11comp_targetILNS1_3genE5ELNS1_11target_archE942ELNS1_3gpuE9ELNS1_3repE0EEENS1_30default_config_static_selectorELNS0_4arch9wavefront6targetE0EEEvS14_
                                        ; -- End function
	.section	.AMDGPU.csdata,"",@progbits
; Kernel info:
; codeLenInByte = 0
; NumSgprs: 0
; NumVgprs: 0
; ScratchSize: 0
; MemoryBound: 0
; FloatMode: 240
; IeeeMode: 1
; LDSByteSize: 0 bytes/workgroup (compile time only)
; SGPRBlocks: 0
; VGPRBlocks: 0
; NumSGPRsForWavesPerEU: 1
; NumVGPRsForWavesPerEU: 1
; Occupancy: 16
; WaveLimiterHint : 0
; COMPUTE_PGM_RSRC2:SCRATCH_EN: 0
; COMPUTE_PGM_RSRC2:USER_SGPR: 15
; COMPUTE_PGM_RSRC2:TRAP_HANDLER: 0
; COMPUTE_PGM_RSRC2:TGID_X_EN: 1
; COMPUTE_PGM_RSRC2:TGID_Y_EN: 0
; COMPUTE_PGM_RSRC2:TGID_Z_EN: 0
; COMPUTE_PGM_RSRC2:TIDIG_COMP_CNT: 0
	.section	.text._ZN7rocprim17ROCPRIM_400000_NS6detail17trampoline_kernelINS0_14default_configENS1_22reduce_config_selectorIN6thrust23THRUST_200600_302600_NS5tupleIblNS6_9null_typeES8_S8_S8_S8_S8_S8_S8_EEEEZNS1_11reduce_implILb1ES3_NS6_12zip_iteratorINS7_INS6_11hip_rocprim26transform_input_iterator_tIbNSD_35transform_pair_of_input_iterators_tIbNS6_6detail15normal_iteratorINS6_10device_ptrIKsEEEESL_NS6_8equal_toIsEEEENSG_9not_fun_tINSD_8identityEEEEENSD_19counting_iterator_tIlEES8_S8_S8_S8_S8_S8_S8_S8_EEEEPS9_S9_NSD_9__find_if7functorIS9_EEEE10hipError_tPvRmT1_T2_T3_mT4_P12ihipStream_tbEUlT_E1_NS1_11comp_targetILNS1_3genE4ELNS1_11target_archE910ELNS1_3gpuE8ELNS1_3repE0EEENS1_30default_config_static_selectorELNS0_4arch9wavefront6targetE0EEEvS14_,"axG",@progbits,_ZN7rocprim17ROCPRIM_400000_NS6detail17trampoline_kernelINS0_14default_configENS1_22reduce_config_selectorIN6thrust23THRUST_200600_302600_NS5tupleIblNS6_9null_typeES8_S8_S8_S8_S8_S8_S8_EEEEZNS1_11reduce_implILb1ES3_NS6_12zip_iteratorINS7_INS6_11hip_rocprim26transform_input_iterator_tIbNSD_35transform_pair_of_input_iterators_tIbNS6_6detail15normal_iteratorINS6_10device_ptrIKsEEEESL_NS6_8equal_toIsEEEENSG_9not_fun_tINSD_8identityEEEEENSD_19counting_iterator_tIlEES8_S8_S8_S8_S8_S8_S8_S8_EEEEPS9_S9_NSD_9__find_if7functorIS9_EEEE10hipError_tPvRmT1_T2_T3_mT4_P12ihipStream_tbEUlT_E1_NS1_11comp_targetILNS1_3genE4ELNS1_11target_archE910ELNS1_3gpuE8ELNS1_3repE0EEENS1_30default_config_static_selectorELNS0_4arch9wavefront6targetE0EEEvS14_,comdat
	.protected	_ZN7rocprim17ROCPRIM_400000_NS6detail17trampoline_kernelINS0_14default_configENS1_22reduce_config_selectorIN6thrust23THRUST_200600_302600_NS5tupleIblNS6_9null_typeES8_S8_S8_S8_S8_S8_S8_EEEEZNS1_11reduce_implILb1ES3_NS6_12zip_iteratorINS7_INS6_11hip_rocprim26transform_input_iterator_tIbNSD_35transform_pair_of_input_iterators_tIbNS6_6detail15normal_iteratorINS6_10device_ptrIKsEEEESL_NS6_8equal_toIsEEEENSG_9not_fun_tINSD_8identityEEEEENSD_19counting_iterator_tIlEES8_S8_S8_S8_S8_S8_S8_S8_EEEEPS9_S9_NSD_9__find_if7functorIS9_EEEE10hipError_tPvRmT1_T2_T3_mT4_P12ihipStream_tbEUlT_E1_NS1_11comp_targetILNS1_3genE4ELNS1_11target_archE910ELNS1_3gpuE8ELNS1_3repE0EEENS1_30default_config_static_selectorELNS0_4arch9wavefront6targetE0EEEvS14_ ; -- Begin function _ZN7rocprim17ROCPRIM_400000_NS6detail17trampoline_kernelINS0_14default_configENS1_22reduce_config_selectorIN6thrust23THRUST_200600_302600_NS5tupleIblNS6_9null_typeES8_S8_S8_S8_S8_S8_S8_EEEEZNS1_11reduce_implILb1ES3_NS6_12zip_iteratorINS7_INS6_11hip_rocprim26transform_input_iterator_tIbNSD_35transform_pair_of_input_iterators_tIbNS6_6detail15normal_iteratorINS6_10device_ptrIKsEEEESL_NS6_8equal_toIsEEEENSG_9not_fun_tINSD_8identityEEEEENSD_19counting_iterator_tIlEES8_S8_S8_S8_S8_S8_S8_S8_EEEEPS9_S9_NSD_9__find_if7functorIS9_EEEE10hipError_tPvRmT1_T2_T3_mT4_P12ihipStream_tbEUlT_E1_NS1_11comp_targetILNS1_3genE4ELNS1_11target_archE910ELNS1_3gpuE8ELNS1_3repE0EEENS1_30default_config_static_selectorELNS0_4arch9wavefront6targetE0EEEvS14_
	.globl	_ZN7rocprim17ROCPRIM_400000_NS6detail17trampoline_kernelINS0_14default_configENS1_22reduce_config_selectorIN6thrust23THRUST_200600_302600_NS5tupleIblNS6_9null_typeES8_S8_S8_S8_S8_S8_S8_EEEEZNS1_11reduce_implILb1ES3_NS6_12zip_iteratorINS7_INS6_11hip_rocprim26transform_input_iterator_tIbNSD_35transform_pair_of_input_iterators_tIbNS6_6detail15normal_iteratorINS6_10device_ptrIKsEEEESL_NS6_8equal_toIsEEEENSG_9not_fun_tINSD_8identityEEEEENSD_19counting_iterator_tIlEES8_S8_S8_S8_S8_S8_S8_S8_EEEEPS9_S9_NSD_9__find_if7functorIS9_EEEE10hipError_tPvRmT1_T2_T3_mT4_P12ihipStream_tbEUlT_E1_NS1_11comp_targetILNS1_3genE4ELNS1_11target_archE910ELNS1_3gpuE8ELNS1_3repE0EEENS1_30default_config_static_selectorELNS0_4arch9wavefront6targetE0EEEvS14_
	.p2align	8
	.type	_ZN7rocprim17ROCPRIM_400000_NS6detail17trampoline_kernelINS0_14default_configENS1_22reduce_config_selectorIN6thrust23THRUST_200600_302600_NS5tupleIblNS6_9null_typeES8_S8_S8_S8_S8_S8_S8_EEEEZNS1_11reduce_implILb1ES3_NS6_12zip_iteratorINS7_INS6_11hip_rocprim26transform_input_iterator_tIbNSD_35transform_pair_of_input_iterators_tIbNS6_6detail15normal_iteratorINS6_10device_ptrIKsEEEESL_NS6_8equal_toIsEEEENSG_9not_fun_tINSD_8identityEEEEENSD_19counting_iterator_tIlEES8_S8_S8_S8_S8_S8_S8_S8_EEEEPS9_S9_NSD_9__find_if7functorIS9_EEEE10hipError_tPvRmT1_T2_T3_mT4_P12ihipStream_tbEUlT_E1_NS1_11comp_targetILNS1_3genE4ELNS1_11target_archE910ELNS1_3gpuE8ELNS1_3repE0EEENS1_30default_config_static_selectorELNS0_4arch9wavefront6targetE0EEEvS14_,@function
_ZN7rocprim17ROCPRIM_400000_NS6detail17trampoline_kernelINS0_14default_configENS1_22reduce_config_selectorIN6thrust23THRUST_200600_302600_NS5tupleIblNS6_9null_typeES8_S8_S8_S8_S8_S8_S8_EEEEZNS1_11reduce_implILb1ES3_NS6_12zip_iteratorINS7_INS6_11hip_rocprim26transform_input_iterator_tIbNSD_35transform_pair_of_input_iterators_tIbNS6_6detail15normal_iteratorINS6_10device_ptrIKsEEEESL_NS6_8equal_toIsEEEENSG_9not_fun_tINSD_8identityEEEEENSD_19counting_iterator_tIlEES8_S8_S8_S8_S8_S8_S8_S8_EEEEPS9_S9_NSD_9__find_if7functorIS9_EEEE10hipError_tPvRmT1_T2_T3_mT4_P12ihipStream_tbEUlT_E1_NS1_11comp_targetILNS1_3genE4ELNS1_11target_archE910ELNS1_3gpuE8ELNS1_3repE0EEENS1_30default_config_static_selectorELNS0_4arch9wavefront6targetE0EEEvS14_: ; @_ZN7rocprim17ROCPRIM_400000_NS6detail17trampoline_kernelINS0_14default_configENS1_22reduce_config_selectorIN6thrust23THRUST_200600_302600_NS5tupleIblNS6_9null_typeES8_S8_S8_S8_S8_S8_S8_EEEEZNS1_11reduce_implILb1ES3_NS6_12zip_iteratorINS7_INS6_11hip_rocprim26transform_input_iterator_tIbNSD_35transform_pair_of_input_iterators_tIbNS6_6detail15normal_iteratorINS6_10device_ptrIKsEEEESL_NS6_8equal_toIsEEEENSG_9not_fun_tINSD_8identityEEEEENSD_19counting_iterator_tIlEES8_S8_S8_S8_S8_S8_S8_S8_EEEEPS9_S9_NSD_9__find_if7functorIS9_EEEE10hipError_tPvRmT1_T2_T3_mT4_P12ihipStream_tbEUlT_E1_NS1_11comp_targetILNS1_3genE4ELNS1_11target_archE910ELNS1_3gpuE8ELNS1_3repE0EEENS1_30default_config_static_selectorELNS0_4arch9wavefront6targetE0EEEvS14_
; %bb.0:
	.section	.rodata,"a",@progbits
	.p2align	6, 0x0
	.amdhsa_kernel _ZN7rocprim17ROCPRIM_400000_NS6detail17trampoline_kernelINS0_14default_configENS1_22reduce_config_selectorIN6thrust23THRUST_200600_302600_NS5tupleIblNS6_9null_typeES8_S8_S8_S8_S8_S8_S8_EEEEZNS1_11reduce_implILb1ES3_NS6_12zip_iteratorINS7_INS6_11hip_rocprim26transform_input_iterator_tIbNSD_35transform_pair_of_input_iterators_tIbNS6_6detail15normal_iteratorINS6_10device_ptrIKsEEEESL_NS6_8equal_toIsEEEENSG_9not_fun_tINSD_8identityEEEEENSD_19counting_iterator_tIlEES8_S8_S8_S8_S8_S8_S8_S8_EEEEPS9_S9_NSD_9__find_if7functorIS9_EEEE10hipError_tPvRmT1_T2_T3_mT4_P12ihipStream_tbEUlT_E1_NS1_11comp_targetILNS1_3genE4ELNS1_11target_archE910ELNS1_3gpuE8ELNS1_3repE0EEENS1_30default_config_static_selectorELNS0_4arch9wavefront6targetE0EEEvS14_
		.amdhsa_group_segment_fixed_size 0
		.amdhsa_private_segment_fixed_size 0
		.amdhsa_kernarg_size 88
		.amdhsa_user_sgpr_count 15
		.amdhsa_user_sgpr_dispatch_ptr 0
		.amdhsa_user_sgpr_queue_ptr 0
		.amdhsa_user_sgpr_kernarg_segment_ptr 1
		.amdhsa_user_sgpr_dispatch_id 0
		.amdhsa_user_sgpr_private_segment_size 0
		.amdhsa_wavefront_size32 1
		.amdhsa_uses_dynamic_stack 0
		.amdhsa_enable_private_segment 0
		.amdhsa_system_sgpr_workgroup_id_x 1
		.amdhsa_system_sgpr_workgroup_id_y 0
		.amdhsa_system_sgpr_workgroup_id_z 0
		.amdhsa_system_sgpr_workgroup_info 0
		.amdhsa_system_vgpr_workitem_id 0
		.amdhsa_next_free_vgpr 1
		.amdhsa_next_free_sgpr 1
		.amdhsa_reserve_vcc 0
		.amdhsa_float_round_mode_32 0
		.amdhsa_float_round_mode_16_64 0
		.amdhsa_float_denorm_mode_32 3
		.amdhsa_float_denorm_mode_16_64 3
		.amdhsa_dx10_clamp 1
		.amdhsa_ieee_mode 1
		.amdhsa_fp16_overflow 0
		.amdhsa_workgroup_processor_mode 1
		.amdhsa_memory_ordered 1
		.amdhsa_forward_progress 0
		.amdhsa_shared_vgpr_count 0
		.amdhsa_exception_fp_ieee_invalid_op 0
		.amdhsa_exception_fp_denorm_src 0
		.amdhsa_exception_fp_ieee_div_zero 0
		.amdhsa_exception_fp_ieee_overflow 0
		.amdhsa_exception_fp_ieee_underflow 0
		.amdhsa_exception_fp_ieee_inexact 0
		.amdhsa_exception_int_div_zero 0
	.end_amdhsa_kernel
	.section	.text._ZN7rocprim17ROCPRIM_400000_NS6detail17trampoline_kernelINS0_14default_configENS1_22reduce_config_selectorIN6thrust23THRUST_200600_302600_NS5tupleIblNS6_9null_typeES8_S8_S8_S8_S8_S8_S8_EEEEZNS1_11reduce_implILb1ES3_NS6_12zip_iteratorINS7_INS6_11hip_rocprim26transform_input_iterator_tIbNSD_35transform_pair_of_input_iterators_tIbNS6_6detail15normal_iteratorINS6_10device_ptrIKsEEEESL_NS6_8equal_toIsEEEENSG_9not_fun_tINSD_8identityEEEEENSD_19counting_iterator_tIlEES8_S8_S8_S8_S8_S8_S8_S8_EEEEPS9_S9_NSD_9__find_if7functorIS9_EEEE10hipError_tPvRmT1_T2_T3_mT4_P12ihipStream_tbEUlT_E1_NS1_11comp_targetILNS1_3genE4ELNS1_11target_archE910ELNS1_3gpuE8ELNS1_3repE0EEENS1_30default_config_static_selectorELNS0_4arch9wavefront6targetE0EEEvS14_,"axG",@progbits,_ZN7rocprim17ROCPRIM_400000_NS6detail17trampoline_kernelINS0_14default_configENS1_22reduce_config_selectorIN6thrust23THRUST_200600_302600_NS5tupleIblNS6_9null_typeES8_S8_S8_S8_S8_S8_S8_EEEEZNS1_11reduce_implILb1ES3_NS6_12zip_iteratorINS7_INS6_11hip_rocprim26transform_input_iterator_tIbNSD_35transform_pair_of_input_iterators_tIbNS6_6detail15normal_iteratorINS6_10device_ptrIKsEEEESL_NS6_8equal_toIsEEEENSG_9not_fun_tINSD_8identityEEEEENSD_19counting_iterator_tIlEES8_S8_S8_S8_S8_S8_S8_S8_EEEEPS9_S9_NSD_9__find_if7functorIS9_EEEE10hipError_tPvRmT1_T2_T3_mT4_P12ihipStream_tbEUlT_E1_NS1_11comp_targetILNS1_3genE4ELNS1_11target_archE910ELNS1_3gpuE8ELNS1_3repE0EEENS1_30default_config_static_selectorELNS0_4arch9wavefront6targetE0EEEvS14_,comdat
.Lfunc_end566:
	.size	_ZN7rocprim17ROCPRIM_400000_NS6detail17trampoline_kernelINS0_14default_configENS1_22reduce_config_selectorIN6thrust23THRUST_200600_302600_NS5tupleIblNS6_9null_typeES8_S8_S8_S8_S8_S8_S8_EEEEZNS1_11reduce_implILb1ES3_NS6_12zip_iteratorINS7_INS6_11hip_rocprim26transform_input_iterator_tIbNSD_35transform_pair_of_input_iterators_tIbNS6_6detail15normal_iteratorINS6_10device_ptrIKsEEEESL_NS6_8equal_toIsEEEENSG_9not_fun_tINSD_8identityEEEEENSD_19counting_iterator_tIlEES8_S8_S8_S8_S8_S8_S8_S8_EEEEPS9_S9_NSD_9__find_if7functorIS9_EEEE10hipError_tPvRmT1_T2_T3_mT4_P12ihipStream_tbEUlT_E1_NS1_11comp_targetILNS1_3genE4ELNS1_11target_archE910ELNS1_3gpuE8ELNS1_3repE0EEENS1_30default_config_static_selectorELNS0_4arch9wavefront6targetE0EEEvS14_, .Lfunc_end566-_ZN7rocprim17ROCPRIM_400000_NS6detail17trampoline_kernelINS0_14default_configENS1_22reduce_config_selectorIN6thrust23THRUST_200600_302600_NS5tupleIblNS6_9null_typeES8_S8_S8_S8_S8_S8_S8_EEEEZNS1_11reduce_implILb1ES3_NS6_12zip_iteratorINS7_INS6_11hip_rocprim26transform_input_iterator_tIbNSD_35transform_pair_of_input_iterators_tIbNS6_6detail15normal_iteratorINS6_10device_ptrIKsEEEESL_NS6_8equal_toIsEEEENSG_9not_fun_tINSD_8identityEEEEENSD_19counting_iterator_tIlEES8_S8_S8_S8_S8_S8_S8_S8_EEEEPS9_S9_NSD_9__find_if7functorIS9_EEEE10hipError_tPvRmT1_T2_T3_mT4_P12ihipStream_tbEUlT_E1_NS1_11comp_targetILNS1_3genE4ELNS1_11target_archE910ELNS1_3gpuE8ELNS1_3repE0EEENS1_30default_config_static_selectorELNS0_4arch9wavefront6targetE0EEEvS14_
                                        ; -- End function
	.section	.AMDGPU.csdata,"",@progbits
; Kernel info:
; codeLenInByte = 0
; NumSgprs: 0
; NumVgprs: 0
; ScratchSize: 0
; MemoryBound: 0
; FloatMode: 240
; IeeeMode: 1
; LDSByteSize: 0 bytes/workgroup (compile time only)
; SGPRBlocks: 0
; VGPRBlocks: 0
; NumSGPRsForWavesPerEU: 1
; NumVGPRsForWavesPerEU: 1
; Occupancy: 16
; WaveLimiterHint : 0
; COMPUTE_PGM_RSRC2:SCRATCH_EN: 0
; COMPUTE_PGM_RSRC2:USER_SGPR: 15
; COMPUTE_PGM_RSRC2:TRAP_HANDLER: 0
; COMPUTE_PGM_RSRC2:TGID_X_EN: 1
; COMPUTE_PGM_RSRC2:TGID_Y_EN: 0
; COMPUTE_PGM_RSRC2:TGID_Z_EN: 0
; COMPUTE_PGM_RSRC2:TIDIG_COMP_CNT: 0
	.section	.text._ZN7rocprim17ROCPRIM_400000_NS6detail17trampoline_kernelINS0_14default_configENS1_22reduce_config_selectorIN6thrust23THRUST_200600_302600_NS5tupleIblNS6_9null_typeES8_S8_S8_S8_S8_S8_S8_EEEEZNS1_11reduce_implILb1ES3_NS6_12zip_iteratorINS7_INS6_11hip_rocprim26transform_input_iterator_tIbNSD_35transform_pair_of_input_iterators_tIbNS6_6detail15normal_iteratorINS6_10device_ptrIKsEEEESL_NS6_8equal_toIsEEEENSG_9not_fun_tINSD_8identityEEEEENSD_19counting_iterator_tIlEES8_S8_S8_S8_S8_S8_S8_S8_EEEEPS9_S9_NSD_9__find_if7functorIS9_EEEE10hipError_tPvRmT1_T2_T3_mT4_P12ihipStream_tbEUlT_E1_NS1_11comp_targetILNS1_3genE3ELNS1_11target_archE908ELNS1_3gpuE7ELNS1_3repE0EEENS1_30default_config_static_selectorELNS0_4arch9wavefront6targetE0EEEvS14_,"axG",@progbits,_ZN7rocprim17ROCPRIM_400000_NS6detail17trampoline_kernelINS0_14default_configENS1_22reduce_config_selectorIN6thrust23THRUST_200600_302600_NS5tupleIblNS6_9null_typeES8_S8_S8_S8_S8_S8_S8_EEEEZNS1_11reduce_implILb1ES3_NS6_12zip_iteratorINS7_INS6_11hip_rocprim26transform_input_iterator_tIbNSD_35transform_pair_of_input_iterators_tIbNS6_6detail15normal_iteratorINS6_10device_ptrIKsEEEESL_NS6_8equal_toIsEEEENSG_9not_fun_tINSD_8identityEEEEENSD_19counting_iterator_tIlEES8_S8_S8_S8_S8_S8_S8_S8_EEEEPS9_S9_NSD_9__find_if7functorIS9_EEEE10hipError_tPvRmT1_T2_T3_mT4_P12ihipStream_tbEUlT_E1_NS1_11comp_targetILNS1_3genE3ELNS1_11target_archE908ELNS1_3gpuE7ELNS1_3repE0EEENS1_30default_config_static_selectorELNS0_4arch9wavefront6targetE0EEEvS14_,comdat
	.protected	_ZN7rocprim17ROCPRIM_400000_NS6detail17trampoline_kernelINS0_14default_configENS1_22reduce_config_selectorIN6thrust23THRUST_200600_302600_NS5tupleIblNS6_9null_typeES8_S8_S8_S8_S8_S8_S8_EEEEZNS1_11reduce_implILb1ES3_NS6_12zip_iteratorINS7_INS6_11hip_rocprim26transform_input_iterator_tIbNSD_35transform_pair_of_input_iterators_tIbNS6_6detail15normal_iteratorINS6_10device_ptrIKsEEEESL_NS6_8equal_toIsEEEENSG_9not_fun_tINSD_8identityEEEEENSD_19counting_iterator_tIlEES8_S8_S8_S8_S8_S8_S8_S8_EEEEPS9_S9_NSD_9__find_if7functorIS9_EEEE10hipError_tPvRmT1_T2_T3_mT4_P12ihipStream_tbEUlT_E1_NS1_11comp_targetILNS1_3genE3ELNS1_11target_archE908ELNS1_3gpuE7ELNS1_3repE0EEENS1_30default_config_static_selectorELNS0_4arch9wavefront6targetE0EEEvS14_ ; -- Begin function _ZN7rocprim17ROCPRIM_400000_NS6detail17trampoline_kernelINS0_14default_configENS1_22reduce_config_selectorIN6thrust23THRUST_200600_302600_NS5tupleIblNS6_9null_typeES8_S8_S8_S8_S8_S8_S8_EEEEZNS1_11reduce_implILb1ES3_NS6_12zip_iteratorINS7_INS6_11hip_rocprim26transform_input_iterator_tIbNSD_35transform_pair_of_input_iterators_tIbNS6_6detail15normal_iteratorINS6_10device_ptrIKsEEEESL_NS6_8equal_toIsEEEENSG_9not_fun_tINSD_8identityEEEEENSD_19counting_iterator_tIlEES8_S8_S8_S8_S8_S8_S8_S8_EEEEPS9_S9_NSD_9__find_if7functorIS9_EEEE10hipError_tPvRmT1_T2_T3_mT4_P12ihipStream_tbEUlT_E1_NS1_11comp_targetILNS1_3genE3ELNS1_11target_archE908ELNS1_3gpuE7ELNS1_3repE0EEENS1_30default_config_static_selectorELNS0_4arch9wavefront6targetE0EEEvS14_
	.globl	_ZN7rocprim17ROCPRIM_400000_NS6detail17trampoline_kernelINS0_14default_configENS1_22reduce_config_selectorIN6thrust23THRUST_200600_302600_NS5tupleIblNS6_9null_typeES8_S8_S8_S8_S8_S8_S8_EEEEZNS1_11reduce_implILb1ES3_NS6_12zip_iteratorINS7_INS6_11hip_rocprim26transform_input_iterator_tIbNSD_35transform_pair_of_input_iterators_tIbNS6_6detail15normal_iteratorINS6_10device_ptrIKsEEEESL_NS6_8equal_toIsEEEENSG_9not_fun_tINSD_8identityEEEEENSD_19counting_iterator_tIlEES8_S8_S8_S8_S8_S8_S8_S8_EEEEPS9_S9_NSD_9__find_if7functorIS9_EEEE10hipError_tPvRmT1_T2_T3_mT4_P12ihipStream_tbEUlT_E1_NS1_11comp_targetILNS1_3genE3ELNS1_11target_archE908ELNS1_3gpuE7ELNS1_3repE0EEENS1_30default_config_static_selectorELNS0_4arch9wavefront6targetE0EEEvS14_
	.p2align	8
	.type	_ZN7rocprim17ROCPRIM_400000_NS6detail17trampoline_kernelINS0_14default_configENS1_22reduce_config_selectorIN6thrust23THRUST_200600_302600_NS5tupleIblNS6_9null_typeES8_S8_S8_S8_S8_S8_S8_EEEEZNS1_11reduce_implILb1ES3_NS6_12zip_iteratorINS7_INS6_11hip_rocprim26transform_input_iterator_tIbNSD_35transform_pair_of_input_iterators_tIbNS6_6detail15normal_iteratorINS6_10device_ptrIKsEEEESL_NS6_8equal_toIsEEEENSG_9not_fun_tINSD_8identityEEEEENSD_19counting_iterator_tIlEES8_S8_S8_S8_S8_S8_S8_S8_EEEEPS9_S9_NSD_9__find_if7functorIS9_EEEE10hipError_tPvRmT1_T2_T3_mT4_P12ihipStream_tbEUlT_E1_NS1_11comp_targetILNS1_3genE3ELNS1_11target_archE908ELNS1_3gpuE7ELNS1_3repE0EEENS1_30default_config_static_selectorELNS0_4arch9wavefront6targetE0EEEvS14_,@function
_ZN7rocprim17ROCPRIM_400000_NS6detail17trampoline_kernelINS0_14default_configENS1_22reduce_config_selectorIN6thrust23THRUST_200600_302600_NS5tupleIblNS6_9null_typeES8_S8_S8_S8_S8_S8_S8_EEEEZNS1_11reduce_implILb1ES3_NS6_12zip_iteratorINS7_INS6_11hip_rocprim26transform_input_iterator_tIbNSD_35transform_pair_of_input_iterators_tIbNS6_6detail15normal_iteratorINS6_10device_ptrIKsEEEESL_NS6_8equal_toIsEEEENSG_9not_fun_tINSD_8identityEEEEENSD_19counting_iterator_tIlEES8_S8_S8_S8_S8_S8_S8_S8_EEEEPS9_S9_NSD_9__find_if7functorIS9_EEEE10hipError_tPvRmT1_T2_T3_mT4_P12ihipStream_tbEUlT_E1_NS1_11comp_targetILNS1_3genE3ELNS1_11target_archE908ELNS1_3gpuE7ELNS1_3repE0EEENS1_30default_config_static_selectorELNS0_4arch9wavefront6targetE0EEEvS14_: ; @_ZN7rocprim17ROCPRIM_400000_NS6detail17trampoline_kernelINS0_14default_configENS1_22reduce_config_selectorIN6thrust23THRUST_200600_302600_NS5tupleIblNS6_9null_typeES8_S8_S8_S8_S8_S8_S8_EEEEZNS1_11reduce_implILb1ES3_NS6_12zip_iteratorINS7_INS6_11hip_rocprim26transform_input_iterator_tIbNSD_35transform_pair_of_input_iterators_tIbNS6_6detail15normal_iteratorINS6_10device_ptrIKsEEEESL_NS6_8equal_toIsEEEENSG_9not_fun_tINSD_8identityEEEEENSD_19counting_iterator_tIlEES8_S8_S8_S8_S8_S8_S8_S8_EEEEPS9_S9_NSD_9__find_if7functorIS9_EEEE10hipError_tPvRmT1_T2_T3_mT4_P12ihipStream_tbEUlT_E1_NS1_11comp_targetILNS1_3genE3ELNS1_11target_archE908ELNS1_3gpuE7ELNS1_3repE0EEENS1_30default_config_static_selectorELNS0_4arch9wavefront6targetE0EEEvS14_
; %bb.0:
	.section	.rodata,"a",@progbits
	.p2align	6, 0x0
	.amdhsa_kernel _ZN7rocprim17ROCPRIM_400000_NS6detail17trampoline_kernelINS0_14default_configENS1_22reduce_config_selectorIN6thrust23THRUST_200600_302600_NS5tupleIblNS6_9null_typeES8_S8_S8_S8_S8_S8_S8_EEEEZNS1_11reduce_implILb1ES3_NS6_12zip_iteratorINS7_INS6_11hip_rocprim26transform_input_iterator_tIbNSD_35transform_pair_of_input_iterators_tIbNS6_6detail15normal_iteratorINS6_10device_ptrIKsEEEESL_NS6_8equal_toIsEEEENSG_9not_fun_tINSD_8identityEEEEENSD_19counting_iterator_tIlEES8_S8_S8_S8_S8_S8_S8_S8_EEEEPS9_S9_NSD_9__find_if7functorIS9_EEEE10hipError_tPvRmT1_T2_T3_mT4_P12ihipStream_tbEUlT_E1_NS1_11comp_targetILNS1_3genE3ELNS1_11target_archE908ELNS1_3gpuE7ELNS1_3repE0EEENS1_30default_config_static_selectorELNS0_4arch9wavefront6targetE0EEEvS14_
		.amdhsa_group_segment_fixed_size 0
		.amdhsa_private_segment_fixed_size 0
		.amdhsa_kernarg_size 88
		.amdhsa_user_sgpr_count 15
		.amdhsa_user_sgpr_dispatch_ptr 0
		.amdhsa_user_sgpr_queue_ptr 0
		.amdhsa_user_sgpr_kernarg_segment_ptr 1
		.amdhsa_user_sgpr_dispatch_id 0
		.amdhsa_user_sgpr_private_segment_size 0
		.amdhsa_wavefront_size32 1
		.amdhsa_uses_dynamic_stack 0
		.amdhsa_enable_private_segment 0
		.amdhsa_system_sgpr_workgroup_id_x 1
		.amdhsa_system_sgpr_workgroup_id_y 0
		.amdhsa_system_sgpr_workgroup_id_z 0
		.amdhsa_system_sgpr_workgroup_info 0
		.amdhsa_system_vgpr_workitem_id 0
		.amdhsa_next_free_vgpr 1
		.amdhsa_next_free_sgpr 1
		.amdhsa_reserve_vcc 0
		.amdhsa_float_round_mode_32 0
		.amdhsa_float_round_mode_16_64 0
		.amdhsa_float_denorm_mode_32 3
		.amdhsa_float_denorm_mode_16_64 3
		.amdhsa_dx10_clamp 1
		.amdhsa_ieee_mode 1
		.amdhsa_fp16_overflow 0
		.amdhsa_workgroup_processor_mode 1
		.amdhsa_memory_ordered 1
		.amdhsa_forward_progress 0
		.amdhsa_shared_vgpr_count 0
		.amdhsa_exception_fp_ieee_invalid_op 0
		.amdhsa_exception_fp_denorm_src 0
		.amdhsa_exception_fp_ieee_div_zero 0
		.amdhsa_exception_fp_ieee_overflow 0
		.amdhsa_exception_fp_ieee_underflow 0
		.amdhsa_exception_fp_ieee_inexact 0
		.amdhsa_exception_int_div_zero 0
	.end_amdhsa_kernel
	.section	.text._ZN7rocprim17ROCPRIM_400000_NS6detail17trampoline_kernelINS0_14default_configENS1_22reduce_config_selectorIN6thrust23THRUST_200600_302600_NS5tupleIblNS6_9null_typeES8_S8_S8_S8_S8_S8_S8_EEEEZNS1_11reduce_implILb1ES3_NS6_12zip_iteratorINS7_INS6_11hip_rocprim26transform_input_iterator_tIbNSD_35transform_pair_of_input_iterators_tIbNS6_6detail15normal_iteratorINS6_10device_ptrIKsEEEESL_NS6_8equal_toIsEEEENSG_9not_fun_tINSD_8identityEEEEENSD_19counting_iterator_tIlEES8_S8_S8_S8_S8_S8_S8_S8_EEEEPS9_S9_NSD_9__find_if7functorIS9_EEEE10hipError_tPvRmT1_T2_T3_mT4_P12ihipStream_tbEUlT_E1_NS1_11comp_targetILNS1_3genE3ELNS1_11target_archE908ELNS1_3gpuE7ELNS1_3repE0EEENS1_30default_config_static_selectorELNS0_4arch9wavefront6targetE0EEEvS14_,"axG",@progbits,_ZN7rocprim17ROCPRIM_400000_NS6detail17trampoline_kernelINS0_14default_configENS1_22reduce_config_selectorIN6thrust23THRUST_200600_302600_NS5tupleIblNS6_9null_typeES8_S8_S8_S8_S8_S8_S8_EEEEZNS1_11reduce_implILb1ES3_NS6_12zip_iteratorINS7_INS6_11hip_rocprim26transform_input_iterator_tIbNSD_35transform_pair_of_input_iterators_tIbNS6_6detail15normal_iteratorINS6_10device_ptrIKsEEEESL_NS6_8equal_toIsEEEENSG_9not_fun_tINSD_8identityEEEEENSD_19counting_iterator_tIlEES8_S8_S8_S8_S8_S8_S8_S8_EEEEPS9_S9_NSD_9__find_if7functorIS9_EEEE10hipError_tPvRmT1_T2_T3_mT4_P12ihipStream_tbEUlT_E1_NS1_11comp_targetILNS1_3genE3ELNS1_11target_archE908ELNS1_3gpuE7ELNS1_3repE0EEENS1_30default_config_static_selectorELNS0_4arch9wavefront6targetE0EEEvS14_,comdat
.Lfunc_end567:
	.size	_ZN7rocprim17ROCPRIM_400000_NS6detail17trampoline_kernelINS0_14default_configENS1_22reduce_config_selectorIN6thrust23THRUST_200600_302600_NS5tupleIblNS6_9null_typeES8_S8_S8_S8_S8_S8_S8_EEEEZNS1_11reduce_implILb1ES3_NS6_12zip_iteratorINS7_INS6_11hip_rocprim26transform_input_iterator_tIbNSD_35transform_pair_of_input_iterators_tIbNS6_6detail15normal_iteratorINS6_10device_ptrIKsEEEESL_NS6_8equal_toIsEEEENSG_9not_fun_tINSD_8identityEEEEENSD_19counting_iterator_tIlEES8_S8_S8_S8_S8_S8_S8_S8_EEEEPS9_S9_NSD_9__find_if7functorIS9_EEEE10hipError_tPvRmT1_T2_T3_mT4_P12ihipStream_tbEUlT_E1_NS1_11comp_targetILNS1_3genE3ELNS1_11target_archE908ELNS1_3gpuE7ELNS1_3repE0EEENS1_30default_config_static_selectorELNS0_4arch9wavefront6targetE0EEEvS14_, .Lfunc_end567-_ZN7rocprim17ROCPRIM_400000_NS6detail17trampoline_kernelINS0_14default_configENS1_22reduce_config_selectorIN6thrust23THRUST_200600_302600_NS5tupleIblNS6_9null_typeES8_S8_S8_S8_S8_S8_S8_EEEEZNS1_11reduce_implILb1ES3_NS6_12zip_iteratorINS7_INS6_11hip_rocprim26transform_input_iterator_tIbNSD_35transform_pair_of_input_iterators_tIbNS6_6detail15normal_iteratorINS6_10device_ptrIKsEEEESL_NS6_8equal_toIsEEEENSG_9not_fun_tINSD_8identityEEEEENSD_19counting_iterator_tIlEES8_S8_S8_S8_S8_S8_S8_S8_EEEEPS9_S9_NSD_9__find_if7functorIS9_EEEE10hipError_tPvRmT1_T2_T3_mT4_P12ihipStream_tbEUlT_E1_NS1_11comp_targetILNS1_3genE3ELNS1_11target_archE908ELNS1_3gpuE7ELNS1_3repE0EEENS1_30default_config_static_selectorELNS0_4arch9wavefront6targetE0EEEvS14_
                                        ; -- End function
	.section	.AMDGPU.csdata,"",@progbits
; Kernel info:
; codeLenInByte = 0
; NumSgprs: 0
; NumVgprs: 0
; ScratchSize: 0
; MemoryBound: 0
; FloatMode: 240
; IeeeMode: 1
; LDSByteSize: 0 bytes/workgroup (compile time only)
; SGPRBlocks: 0
; VGPRBlocks: 0
; NumSGPRsForWavesPerEU: 1
; NumVGPRsForWavesPerEU: 1
; Occupancy: 16
; WaveLimiterHint : 0
; COMPUTE_PGM_RSRC2:SCRATCH_EN: 0
; COMPUTE_PGM_RSRC2:USER_SGPR: 15
; COMPUTE_PGM_RSRC2:TRAP_HANDLER: 0
; COMPUTE_PGM_RSRC2:TGID_X_EN: 1
; COMPUTE_PGM_RSRC2:TGID_Y_EN: 0
; COMPUTE_PGM_RSRC2:TGID_Z_EN: 0
; COMPUTE_PGM_RSRC2:TIDIG_COMP_CNT: 0
	.section	.text._ZN7rocprim17ROCPRIM_400000_NS6detail17trampoline_kernelINS0_14default_configENS1_22reduce_config_selectorIN6thrust23THRUST_200600_302600_NS5tupleIblNS6_9null_typeES8_S8_S8_S8_S8_S8_S8_EEEEZNS1_11reduce_implILb1ES3_NS6_12zip_iteratorINS7_INS6_11hip_rocprim26transform_input_iterator_tIbNSD_35transform_pair_of_input_iterators_tIbNS6_6detail15normal_iteratorINS6_10device_ptrIKsEEEESL_NS6_8equal_toIsEEEENSG_9not_fun_tINSD_8identityEEEEENSD_19counting_iterator_tIlEES8_S8_S8_S8_S8_S8_S8_S8_EEEEPS9_S9_NSD_9__find_if7functorIS9_EEEE10hipError_tPvRmT1_T2_T3_mT4_P12ihipStream_tbEUlT_E1_NS1_11comp_targetILNS1_3genE2ELNS1_11target_archE906ELNS1_3gpuE6ELNS1_3repE0EEENS1_30default_config_static_selectorELNS0_4arch9wavefront6targetE0EEEvS14_,"axG",@progbits,_ZN7rocprim17ROCPRIM_400000_NS6detail17trampoline_kernelINS0_14default_configENS1_22reduce_config_selectorIN6thrust23THRUST_200600_302600_NS5tupleIblNS6_9null_typeES8_S8_S8_S8_S8_S8_S8_EEEEZNS1_11reduce_implILb1ES3_NS6_12zip_iteratorINS7_INS6_11hip_rocprim26transform_input_iterator_tIbNSD_35transform_pair_of_input_iterators_tIbNS6_6detail15normal_iteratorINS6_10device_ptrIKsEEEESL_NS6_8equal_toIsEEEENSG_9not_fun_tINSD_8identityEEEEENSD_19counting_iterator_tIlEES8_S8_S8_S8_S8_S8_S8_S8_EEEEPS9_S9_NSD_9__find_if7functorIS9_EEEE10hipError_tPvRmT1_T2_T3_mT4_P12ihipStream_tbEUlT_E1_NS1_11comp_targetILNS1_3genE2ELNS1_11target_archE906ELNS1_3gpuE6ELNS1_3repE0EEENS1_30default_config_static_selectorELNS0_4arch9wavefront6targetE0EEEvS14_,comdat
	.protected	_ZN7rocprim17ROCPRIM_400000_NS6detail17trampoline_kernelINS0_14default_configENS1_22reduce_config_selectorIN6thrust23THRUST_200600_302600_NS5tupleIblNS6_9null_typeES8_S8_S8_S8_S8_S8_S8_EEEEZNS1_11reduce_implILb1ES3_NS6_12zip_iteratorINS7_INS6_11hip_rocprim26transform_input_iterator_tIbNSD_35transform_pair_of_input_iterators_tIbNS6_6detail15normal_iteratorINS6_10device_ptrIKsEEEESL_NS6_8equal_toIsEEEENSG_9not_fun_tINSD_8identityEEEEENSD_19counting_iterator_tIlEES8_S8_S8_S8_S8_S8_S8_S8_EEEEPS9_S9_NSD_9__find_if7functorIS9_EEEE10hipError_tPvRmT1_T2_T3_mT4_P12ihipStream_tbEUlT_E1_NS1_11comp_targetILNS1_3genE2ELNS1_11target_archE906ELNS1_3gpuE6ELNS1_3repE0EEENS1_30default_config_static_selectorELNS0_4arch9wavefront6targetE0EEEvS14_ ; -- Begin function _ZN7rocprim17ROCPRIM_400000_NS6detail17trampoline_kernelINS0_14default_configENS1_22reduce_config_selectorIN6thrust23THRUST_200600_302600_NS5tupleIblNS6_9null_typeES8_S8_S8_S8_S8_S8_S8_EEEEZNS1_11reduce_implILb1ES3_NS6_12zip_iteratorINS7_INS6_11hip_rocprim26transform_input_iterator_tIbNSD_35transform_pair_of_input_iterators_tIbNS6_6detail15normal_iteratorINS6_10device_ptrIKsEEEESL_NS6_8equal_toIsEEEENSG_9not_fun_tINSD_8identityEEEEENSD_19counting_iterator_tIlEES8_S8_S8_S8_S8_S8_S8_S8_EEEEPS9_S9_NSD_9__find_if7functorIS9_EEEE10hipError_tPvRmT1_T2_T3_mT4_P12ihipStream_tbEUlT_E1_NS1_11comp_targetILNS1_3genE2ELNS1_11target_archE906ELNS1_3gpuE6ELNS1_3repE0EEENS1_30default_config_static_selectorELNS0_4arch9wavefront6targetE0EEEvS14_
	.globl	_ZN7rocprim17ROCPRIM_400000_NS6detail17trampoline_kernelINS0_14default_configENS1_22reduce_config_selectorIN6thrust23THRUST_200600_302600_NS5tupleIblNS6_9null_typeES8_S8_S8_S8_S8_S8_S8_EEEEZNS1_11reduce_implILb1ES3_NS6_12zip_iteratorINS7_INS6_11hip_rocprim26transform_input_iterator_tIbNSD_35transform_pair_of_input_iterators_tIbNS6_6detail15normal_iteratorINS6_10device_ptrIKsEEEESL_NS6_8equal_toIsEEEENSG_9not_fun_tINSD_8identityEEEEENSD_19counting_iterator_tIlEES8_S8_S8_S8_S8_S8_S8_S8_EEEEPS9_S9_NSD_9__find_if7functorIS9_EEEE10hipError_tPvRmT1_T2_T3_mT4_P12ihipStream_tbEUlT_E1_NS1_11comp_targetILNS1_3genE2ELNS1_11target_archE906ELNS1_3gpuE6ELNS1_3repE0EEENS1_30default_config_static_selectorELNS0_4arch9wavefront6targetE0EEEvS14_
	.p2align	8
	.type	_ZN7rocprim17ROCPRIM_400000_NS6detail17trampoline_kernelINS0_14default_configENS1_22reduce_config_selectorIN6thrust23THRUST_200600_302600_NS5tupleIblNS6_9null_typeES8_S8_S8_S8_S8_S8_S8_EEEEZNS1_11reduce_implILb1ES3_NS6_12zip_iteratorINS7_INS6_11hip_rocprim26transform_input_iterator_tIbNSD_35transform_pair_of_input_iterators_tIbNS6_6detail15normal_iteratorINS6_10device_ptrIKsEEEESL_NS6_8equal_toIsEEEENSG_9not_fun_tINSD_8identityEEEEENSD_19counting_iterator_tIlEES8_S8_S8_S8_S8_S8_S8_S8_EEEEPS9_S9_NSD_9__find_if7functorIS9_EEEE10hipError_tPvRmT1_T2_T3_mT4_P12ihipStream_tbEUlT_E1_NS1_11comp_targetILNS1_3genE2ELNS1_11target_archE906ELNS1_3gpuE6ELNS1_3repE0EEENS1_30default_config_static_selectorELNS0_4arch9wavefront6targetE0EEEvS14_,@function
_ZN7rocprim17ROCPRIM_400000_NS6detail17trampoline_kernelINS0_14default_configENS1_22reduce_config_selectorIN6thrust23THRUST_200600_302600_NS5tupleIblNS6_9null_typeES8_S8_S8_S8_S8_S8_S8_EEEEZNS1_11reduce_implILb1ES3_NS6_12zip_iteratorINS7_INS6_11hip_rocprim26transform_input_iterator_tIbNSD_35transform_pair_of_input_iterators_tIbNS6_6detail15normal_iteratorINS6_10device_ptrIKsEEEESL_NS6_8equal_toIsEEEENSG_9not_fun_tINSD_8identityEEEEENSD_19counting_iterator_tIlEES8_S8_S8_S8_S8_S8_S8_S8_EEEEPS9_S9_NSD_9__find_if7functorIS9_EEEE10hipError_tPvRmT1_T2_T3_mT4_P12ihipStream_tbEUlT_E1_NS1_11comp_targetILNS1_3genE2ELNS1_11target_archE906ELNS1_3gpuE6ELNS1_3repE0EEENS1_30default_config_static_selectorELNS0_4arch9wavefront6targetE0EEEvS14_: ; @_ZN7rocprim17ROCPRIM_400000_NS6detail17trampoline_kernelINS0_14default_configENS1_22reduce_config_selectorIN6thrust23THRUST_200600_302600_NS5tupleIblNS6_9null_typeES8_S8_S8_S8_S8_S8_S8_EEEEZNS1_11reduce_implILb1ES3_NS6_12zip_iteratorINS7_INS6_11hip_rocprim26transform_input_iterator_tIbNSD_35transform_pair_of_input_iterators_tIbNS6_6detail15normal_iteratorINS6_10device_ptrIKsEEEESL_NS6_8equal_toIsEEEENSG_9not_fun_tINSD_8identityEEEEENSD_19counting_iterator_tIlEES8_S8_S8_S8_S8_S8_S8_S8_EEEEPS9_S9_NSD_9__find_if7functorIS9_EEEE10hipError_tPvRmT1_T2_T3_mT4_P12ihipStream_tbEUlT_E1_NS1_11comp_targetILNS1_3genE2ELNS1_11target_archE906ELNS1_3gpuE6ELNS1_3repE0EEENS1_30default_config_static_selectorELNS0_4arch9wavefront6targetE0EEEvS14_
; %bb.0:
	.section	.rodata,"a",@progbits
	.p2align	6, 0x0
	.amdhsa_kernel _ZN7rocprim17ROCPRIM_400000_NS6detail17trampoline_kernelINS0_14default_configENS1_22reduce_config_selectorIN6thrust23THRUST_200600_302600_NS5tupleIblNS6_9null_typeES8_S8_S8_S8_S8_S8_S8_EEEEZNS1_11reduce_implILb1ES3_NS6_12zip_iteratorINS7_INS6_11hip_rocprim26transform_input_iterator_tIbNSD_35transform_pair_of_input_iterators_tIbNS6_6detail15normal_iteratorINS6_10device_ptrIKsEEEESL_NS6_8equal_toIsEEEENSG_9not_fun_tINSD_8identityEEEEENSD_19counting_iterator_tIlEES8_S8_S8_S8_S8_S8_S8_S8_EEEEPS9_S9_NSD_9__find_if7functorIS9_EEEE10hipError_tPvRmT1_T2_T3_mT4_P12ihipStream_tbEUlT_E1_NS1_11comp_targetILNS1_3genE2ELNS1_11target_archE906ELNS1_3gpuE6ELNS1_3repE0EEENS1_30default_config_static_selectorELNS0_4arch9wavefront6targetE0EEEvS14_
		.amdhsa_group_segment_fixed_size 0
		.amdhsa_private_segment_fixed_size 0
		.amdhsa_kernarg_size 88
		.amdhsa_user_sgpr_count 15
		.amdhsa_user_sgpr_dispatch_ptr 0
		.amdhsa_user_sgpr_queue_ptr 0
		.amdhsa_user_sgpr_kernarg_segment_ptr 1
		.amdhsa_user_sgpr_dispatch_id 0
		.amdhsa_user_sgpr_private_segment_size 0
		.amdhsa_wavefront_size32 1
		.amdhsa_uses_dynamic_stack 0
		.amdhsa_enable_private_segment 0
		.amdhsa_system_sgpr_workgroup_id_x 1
		.amdhsa_system_sgpr_workgroup_id_y 0
		.amdhsa_system_sgpr_workgroup_id_z 0
		.amdhsa_system_sgpr_workgroup_info 0
		.amdhsa_system_vgpr_workitem_id 0
		.amdhsa_next_free_vgpr 1
		.amdhsa_next_free_sgpr 1
		.amdhsa_reserve_vcc 0
		.amdhsa_float_round_mode_32 0
		.amdhsa_float_round_mode_16_64 0
		.amdhsa_float_denorm_mode_32 3
		.amdhsa_float_denorm_mode_16_64 3
		.amdhsa_dx10_clamp 1
		.amdhsa_ieee_mode 1
		.amdhsa_fp16_overflow 0
		.amdhsa_workgroup_processor_mode 1
		.amdhsa_memory_ordered 1
		.amdhsa_forward_progress 0
		.amdhsa_shared_vgpr_count 0
		.amdhsa_exception_fp_ieee_invalid_op 0
		.amdhsa_exception_fp_denorm_src 0
		.amdhsa_exception_fp_ieee_div_zero 0
		.amdhsa_exception_fp_ieee_overflow 0
		.amdhsa_exception_fp_ieee_underflow 0
		.amdhsa_exception_fp_ieee_inexact 0
		.amdhsa_exception_int_div_zero 0
	.end_amdhsa_kernel
	.section	.text._ZN7rocprim17ROCPRIM_400000_NS6detail17trampoline_kernelINS0_14default_configENS1_22reduce_config_selectorIN6thrust23THRUST_200600_302600_NS5tupleIblNS6_9null_typeES8_S8_S8_S8_S8_S8_S8_EEEEZNS1_11reduce_implILb1ES3_NS6_12zip_iteratorINS7_INS6_11hip_rocprim26transform_input_iterator_tIbNSD_35transform_pair_of_input_iterators_tIbNS6_6detail15normal_iteratorINS6_10device_ptrIKsEEEESL_NS6_8equal_toIsEEEENSG_9not_fun_tINSD_8identityEEEEENSD_19counting_iterator_tIlEES8_S8_S8_S8_S8_S8_S8_S8_EEEEPS9_S9_NSD_9__find_if7functorIS9_EEEE10hipError_tPvRmT1_T2_T3_mT4_P12ihipStream_tbEUlT_E1_NS1_11comp_targetILNS1_3genE2ELNS1_11target_archE906ELNS1_3gpuE6ELNS1_3repE0EEENS1_30default_config_static_selectorELNS0_4arch9wavefront6targetE0EEEvS14_,"axG",@progbits,_ZN7rocprim17ROCPRIM_400000_NS6detail17trampoline_kernelINS0_14default_configENS1_22reduce_config_selectorIN6thrust23THRUST_200600_302600_NS5tupleIblNS6_9null_typeES8_S8_S8_S8_S8_S8_S8_EEEEZNS1_11reduce_implILb1ES3_NS6_12zip_iteratorINS7_INS6_11hip_rocprim26transform_input_iterator_tIbNSD_35transform_pair_of_input_iterators_tIbNS6_6detail15normal_iteratorINS6_10device_ptrIKsEEEESL_NS6_8equal_toIsEEEENSG_9not_fun_tINSD_8identityEEEEENSD_19counting_iterator_tIlEES8_S8_S8_S8_S8_S8_S8_S8_EEEEPS9_S9_NSD_9__find_if7functorIS9_EEEE10hipError_tPvRmT1_T2_T3_mT4_P12ihipStream_tbEUlT_E1_NS1_11comp_targetILNS1_3genE2ELNS1_11target_archE906ELNS1_3gpuE6ELNS1_3repE0EEENS1_30default_config_static_selectorELNS0_4arch9wavefront6targetE0EEEvS14_,comdat
.Lfunc_end568:
	.size	_ZN7rocprim17ROCPRIM_400000_NS6detail17trampoline_kernelINS0_14default_configENS1_22reduce_config_selectorIN6thrust23THRUST_200600_302600_NS5tupleIblNS6_9null_typeES8_S8_S8_S8_S8_S8_S8_EEEEZNS1_11reduce_implILb1ES3_NS6_12zip_iteratorINS7_INS6_11hip_rocprim26transform_input_iterator_tIbNSD_35transform_pair_of_input_iterators_tIbNS6_6detail15normal_iteratorINS6_10device_ptrIKsEEEESL_NS6_8equal_toIsEEEENSG_9not_fun_tINSD_8identityEEEEENSD_19counting_iterator_tIlEES8_S8_S8_S8_S8_S8_S8_S8_EEEEPS9_S9_NSD_9__find_if7functorIS9_EEEE10hipError_tPvRmT1_T2_T3_mT4_P12ihipStream_tbEUlT_E1_NS1_11comp_targetILNS1_3genE2ELNS1_11target_archE906ELNS1_3gpuE6ELNS1_3repE0EEENS1_30default_config_static_selectorELNS0_4arch9wavefront6targetE0EEEvS14_, .Lfunc_end568-_ZN7rocprim17ROCPRIM_400000_NS6detail17trampoline_kernelINS0_14default_configENS1_22reduce_config_selectorIN6thrust23THRUST_200600_302600_NS5tupleIblNS6_9null_typeES8_S8_S8_S8_S8_S8_S8_EEEEZNS1_11reduce_implILb1ES3_NS6_12zip_iteratorINS7_INS6_11hip_rocprim26transform_input_iterator_tIbNSD_35transform_pair_of_input_iterators_tIbNS6_6detail15normal_iteratorINS6_10device_ptrIKsEEEESL_NS6_8equal_toIsEEEENSG_9not_fun_tINSD_8identityEEEEENSD_19counting_iterator_tIlEES8_S8_S8_S8_S8_S8_S8_S8_EEEEPS9_S9_NSD_9__find_if7functorIS9_EEEE10hipError_tPvRmT1_T2_T3_mT4_P12ihipStream_tbEUlT_E1_NS1_11comp_targetILNS1_3genE2ELNS1_11target_archE906ELNS1_3gpuE6ELNS1_3repE0EEENS1_30default_config_static_selectorELNS0_4arch9wavefront6targetE0EEEvS14_
                                        ; -- End function
	.section	.AMDGPU.csdata,"",@progbits
; Kernel info:
; codeLenInByte = 0
; NumSgprs: 0
; NumVgprs: 0
; ScratchSize: 0
; MemoryBound: 0
; FloatMode: 240
; IeeeMode: 1
; LDSByteSize: 0 bytes/workgroup (compile time only)
; SGPRBlocks: 0
; VGPRBlocks: 0
; NumSGPRsForWavesPerEU: 1
; NumVGPRsForWavesPerEU: 1
; Occupancy: 16
; WaveLimiterHint : 0
; COMPUTE_PGM_RSRC2:SCRATCH_EN: 0
; COMPUTE_PGM_RSRC2:USER_SGPR: 15
; COMPUTE_PGM_RSRC2:TRAP_HANDLER: 0
; COMPUTE_PGM_RSRC2:TGID_X_EN: 1
; COMPUTE_PGM_RSRC2:TGID_Y_EN: 0
; COMPUTE_PGM_RSRC2:TGID_Z_EN: 0
; COMPUTE_PGM_RSRC2:TIDIG_COMP_CNT: 0
	.section	.text._ZN7rocprim17ROCPRIM_400000_NS6detail17trampoline_kernelINS0_14default_configENS1_22reduce_config_selectorIN6thrust23THRUST_200600_302600_NS5tupleIblNS6_9null_typeES8_S8_S8_S8_S8_S8_S8_EEEEZNS1_11reduce_implILb1ES3_NS6_12zip_iteratorINS7_INS6_11hip_rocprim26transform_input_iterator_tIbNSD_35transform_pair_of_input_iterators_tIbNS6_6detail15normal_iteratorINS6_10device_ptrIKsEEEESL_NS6_8equal_toIsEEEENSG_9not_fun_tINSD_8identityEEEEENSD_19counting_iterator_tIlEES8_S8_S8_S8_S8_S8_S8_S8_EEEEPS9_S9_NSD_9__find_if7functorIS9_EEEE10hipError_tPvRmT1_T2_T3_mT4_P12ihipStream_tbEUlT_E1_NS1_11comp_targetILNS1_3genE10ELNS1_11target_archE1201ELNS1_3gpuE5ELNS1_3repE0EEENS1_30default_config_static_selectorELNS0_4arch9wavefront6targetE0EEEvS14_,"axG",@progbits,_ZN7rocprim17ROCPRIM_400000_NS6detail17trampoline_kernelINS0_14default_configENS1_22reduce_config_selectorIN6thrust23THRUST_200600_302600_NS5tupleIblNS6_9null_typeES8_S8_S8_S8_S8_S8_S8_EEEEZNS1_11reduce_implILb1ES3_NS6_12zip_iteratorINS7_INS6_11hip_rocprim26transform_input_iterator_tIbNSD_35transform_pair_of_input_iterators_tIbNS6_6detail15normal_iteratorINS6_10device_ptrIKsEEEESL_NS6_8equal_toIsEEEENSG_9not_fun_tINSD_8identityEEEEENSD_19counting_iterator_tIlEES8_S8_S8_S8_S8_S8_S8_S8_EEEEPS9_S9_NSD_9__find_if7functorIS9_EEEE10hipError_tPvRmT1_T2_T3_mT4_P12ihipStream_tbEUlT_E1_NS1_11comp_targetILNS1_3genE10ELNS1_11target_archE1201ELNS1_3gpuE5ELNS1_3repE0EEENS1_30default_config_static_selectorELNS0_4arch9wavefront6targetE0EEEvS14_,comdat
	.protected	_ZN7rocprim17ROCPRIM_400000_NS6detail17trampoline_kernelINS0_14default_configENS1_22reduce_config_selectorIN6thrust23THRUST_200600_302600_NS5tupleIblNS6_9null_typeES8_S8_S8_S8_S8_S8_S8_EEEEZNS1_11reduce_implILb1ES3_NS6_12zip_iteratorINS7_INS6_11hip_rocprim26transform_input_iterator_tIbNSD_35transform_pair_of_input_iterators_tIbNS6_6detail15normal_iteratorINS6_10device_ptrIKsEEEESL_NS6_8equal_toIsEEEENSG_9not_fun_tINSD_8identityEEEEENSD_19counting_iterator_tIlEES8_S8_S8_S8_S8_S8_S8_S8_EEEEPS9_S9_NSD_9__find_if7functorIS9_EEEE10hipError_tPvRmT1_T2_T3_mT4_P12ihipStream_tbEUlT_E1_NS1_11comp_targetILNS1_3genE10ELNS1_11target_archE1201ELNS1_3gpuE5ELNS1_3repE0EEENS1_30default_config_static_selectorELNS0_4arch9wavefront6targetE0EEEvS14_ ; -- Begin function _ZN7rocprim17ROCPRIM_400000_NS6detail17trampoline_kernelINS0_14default_configENS1_22reduce_config_selectorIN6thrust23THRUST_200600_302600_NS5tupleIblNS6_9null_typeES8_S8_S8_S8_S8_S8_S8_EEEEZNS1_11reduce_implILb1ES3_NS6_12zip_iteratorINS7_INS6_11hip_rocprim26transform_input_iterator_tIbNSD_35transform_pair_of_input_iterators_tIbNS6_6detail15normal_iteratorINS6_10device_ptrIKsEEEESL_NS6_8equal_toIsEEEENSG_9not_fun_tINSD_8identityEEEEENSD_19counting_iterator_tIlEES8_S8_S8_S8_S8_S8_S8_S8_EEEEPS9_S9_NSD_9__find_if7functorIS9_EEEE10hipError_tPvRmT1_T2_T3_mT4_P12ihipStream_tbEUlT_E1_NS1_11comp_targetILNS1_3genE10ELNS1_11target_archE1201ELNS1_3gpuE5ELNS1_3repE0EEENS1_30default_config_static_selectorELNS0_4arch9wavefront6targetE0EEEvS14_
	.globl	_ZN7rocprim17ROCPRIM_400000_NS6detail17trampoline_kernelINS0_14default_configENS1_22reduce_config_selectorIN6thrust23THRUST_200600_302600_NS5tupleIblNS6_9null_typeES8_S8_S8_S8_S8_S8_S8_EEEEZNS1_11reduce_implILb1ES3_NS6_12zip_iteratorINS7_INS6_11hip_rocprim26transform_input_iterator_tIbNSD_35transform_pair_of_input_iterators_tIbNS6_6detail15normal_iteratorINS6_10device_ptrIKsEEEESL_NS6_8equal_toIsEEEENSG_9not_fun_tINSD_8identityEEEEENSD_19counting_iterator_tIlEES8_S8_S8_S8_S8_S8_S8_S8_EEEEPS9_S9_NSD_9__find_if7functorIS9_EEEE10hipError_tPvRmT1_T2_T3_mT4_P12ihipStream_tbEUlT_E1_NS1_11comp_targetILNS1_3genE10ELNS1_11target_archE1201ELNS1_3gpuE5ELNS1_3repE0EEENS1_30default_config_static_selectorELNS0_4arch9wavefront6targetE0EEEvS14_
	.p2align	8
	.type	_ZN7rocprim17ROCPRIM_400000_NS6detail17trampoline_kernelINS0_14default_configENS1_22reduce_config_selectorIN6thrust23THRUST_200600_302600_NS5tupleIblNS6_9null_typeES8_S8_S8_S8_S8_S8_S8_EEEEZNS1_11reduce_implILb1ES3_NS6_12zip_iteratorINS7_INS6_11hip_rocprim26transform_input_iterator_tIbNSD_35transform_pair_of_input_iterators_tIbNS6_6detail15normal_iteratorINS6_10device_ptrIKsEEEESL_NS6_8equal_toIsEEEENSG_9not_fun_tINSD_8identityEEEEENSD_19counting_iterator_tIlEES8_S8_S8_S8_S8_S8_S8_S8_EEEEPS9_S9_NSD_9__find_if7functorIS9_EEEE10hipError_tPvRmT1_T2_T3_mT4_P12ihipStream_tbEUlT_E1_NS1_11comp_targetILNS1_3genE10ELNS1_11target_archE1201ELNS1_3gpuE5ELNS1_3repE0EEENS1_30default_config_static_selectorELNS0_4arch9wavefront6targetE0EEEvS14_,@function
_ZN7rocprim17ROCPRIM_400000_NS6detail17trampoline_kernelINS0_14default_configENS1_22reduce_config_selectorIN6thrust23THRUST_200600_302600_NS5tupleIblNS6_9null_typeES8_S8_S8_S8_S8_S8_S8_EEEEZNS1_11reduce_implILb1ES3_NS6_12zip_iteratorINS7_INS6_11hip_rocprim26transform_input_iterator_tIbNSD_35transform_pair_of_input_iterators_tIbNS6_6detail15normal_iteratorINS6_10device_ptrIKsEEEESL_NS6_8equal_toIsEEEENSG_9not_fun_tINSD_8identityEEEEENSD_19counting_iterator_tIlEES8_S8_S8_S8_S8_S8_S8_S8_EEEEPS9_S9_NSD_9__find_if7functorIS9_EEEE10hipError_tPvRmT1_T2_T3_mT4_P12ihipStream_tbEUlT_E1_NS1_11comp_targetILNS1_3genE10ELNS1_11target_archE1201ELNS1_3gpuE5ELNS1_3repE0EEENS1_30default_config_static_selectorELNS0_4arch9wavefront6targetE0EEEvS14_: ; @_ZN7rocprim17ROCPRIM_400000_NS6detail17trampoline_kernelINS0_14default_configENS1_22reduce_config_selectorIN6thrust23THRUST_200600_302600_NS5tupleIblNS6_9null_typeES8_S8_S8_S8_S8_S8_S8_EEEEZNS1_11reduce_implILb1ES3_NS6_12zip_iteratorINS7_INS6_11hip_rocprim26transform_input_iterator_tIbNSD_35transform_pair_of_input_iterators_tIbNS6_6detail15normal_iteratorINS6_10device_ptrIKsEEEESL_NS6_8equal_toIsEEEENSG_9not_fun_tINSD_8identityEEEEENSD_19counting_iterator_tIlEES8_S8_S8_S8_S8_S8_S8_S8_EEEEPS9_S9_NSD_9__find_if7functorIS9_EEEE10hipError_tPvRmT1_T2_T3_mT4_P12ihipStream_tbEUlT_E1_NS1_11comp_targetILNS1_3genE10ELNS1_11target_archE1201ELNS1_3gpuE5ELNS1_3repE0EEENS1_30default_config_static_selectorELNS0_4arch9wavefront6targetE0EEEvS14_
; %bb.0:
	.section	.rodata,"a",@progbits
	.p2align	6, 0x0
	.amdhsa_kernel _ZN7rocprim17ROCPRIM_400000_NS6detail17trampoline_kernelINS0_14default_configENS1_22reduce_config_selectorIN6thrust23THRUST_200600_302600_NS5tupleIblNS6_9null_typeES8_S8_S8_S8_S8_S8_S8_EEEEZNS1_11reduce_implILb1ES3_NS6_12zip_iteratorINS7_INS6_11hip_rocprim26transform_input_iterator_tIbNSD_35transform_pair_of_input_iterators_tIbNS6_6detail15normal_iteratorINS6_10device_ptrIKsEEEESL_NS6_8equal_toIsEEEENSG_9not_fun_tINSD_8identityEEEEENSD_19counting_iterator_tIlEES8_S8_S8_S8_S8_S8_S8_S8_EEEEPS9_S9_NSD_9__find_if7functorIS9_EEEE10hipError_tPvRmT1_T2_T3_mT4_P12ihipStream_tbEUlT_E1_NS1_11comp_targetILNS1_3genE10ELNS1_11target_archE1201ELNS1_3gpuE5ELNS1_3repE0EEENS1_30default_config_static_selectorELNS0_4arch9wavefront6targetE0EEEvS14_
		.amdhsa_group_segment_fixed_size 0
		.amdhsa_private_segment_fixed_size 0
		.amdhsa_kernarg_size 88
		.amdhsa_user_sgpr_count 15
		.amdhsa_user_sgpr_dispatch_ptr 0
		.amdhsa_user_sgpr_queue_ptr 0
		.amdhsa_user_sgpr_kernarg_segment_ptr 1
		.amdhsa_user_sgpr_dispatch_id 0
		.amdhsa_user_sgpr_private_segment_size 0
		.amdhsa_wavefront_size32 1
		.amdhsa_uses_dynamic_stack 0
		.amdhsa_enable_private_segment 0
		.amdhsa_system_sgpr_workgroup_id_x 1
		.amdhsa_system_sgpr_workgroup_id_y 0
		.amdhsa_system_sgpr_workgroup_id_z 0
		.amdhsa_system_sgpr_workgroup_info 0
		.amdhsa_system_vgpr_workitem_id 0
		.amdhsa_next_free_vgpr 1
		.amdhsa_next_free_sgpr 1
		.amdhsa_reserve_vcc 0
		.amdhsa_float_round_mode_32 0
		.amdhsa_float_round_mode_16_64 0
		.amdhsa_float_denorm_mode_32 3
		.amdhsa_float_denorm_mode_16_64 3
		.amdhsa_dx10_clamp 1
		.amdhsa_ieee_mode 1
		.amdhsa_fp16_overflow 0
		.amdhsa_workgroup_processor_mode 1
		.amdhsa_memory_ordered 1
		.amdhsa_forward_progress 0
		.amdhsa_shared_vgpr_count 0
		.amdhsa_exception_fp_ieee_invalid_op 0
		.amdhsa_exception_fp_denorm_src 0
		.amdhsa_exception_fp_ieee_div_zero 0
		.amdhsa_exception_fp_ieee_overflow 0
		.amdhsa_exception_fp_ieee_underflow 0
		.amdhsa_exception_fp_ieee_inexact 0
		.amdhsa_exception_int_div_zero 0
	.end_amdhsa_kernel
	.section	.text._ZN7rocprim17ROCPRIM_400000_NS6detail17trampoline_kernelINS0_14default_configENS1_22reduce_config_selectorIN6thrust23THRUST_200600_302600_NS5tupleIblNS6_9null_typeES8_S8_S8_S8_S8_S8_S8_EEEEZNS1_11reduce_implILb1ES3_NS6_12zip_iteratorINS7_INS6_11hip_rocprim26transform_input_iterator_tIbNSD_35transform_pair_of_input_iterators_tIbNS6_6detail15normal_iteratorINS6_10device_ptrIKsEEEESL_NS6_8equal_toIsEEEENSG_9not_fun_tINSD_8identityEEEEENSD_19counting_iterator_tIlEES8_S8_S8_S8_S8_S8_S8_S8_EEEEPS9_S9_NSD_9__find_if7functorIS9_EEEE10hipError_tPvRmT1_T2_T3_mT4_P12ihipStream_tbEUlT_E1_NS1_11comp_targetILNS1_3genE10ELNS1_11target_archE1201ELNS1_3gpuE5ELNS1_3repE0EEENS1_30default_config_static_selectorELNS0_4arch9wavefront6targetE0EEEvS14_,"axG",@progbits,_ZN7rocprim17ROCPRIM_400000_NS6detail17trampoline_kernelINS0_14default_configENS1_22reduce_config_selectorIN6thrust23THRUST_200600_302600_NS5tupleIblNS6_9null_typeES8_S8_S8_S8_S8_S8_S8_EEEEZNS1_11reduce_implILb1ES3_NS6_12zip_iteratorINS7_INS6_11hip_rocprim26transform_input_iterator_tIbNSD_35transform_pair_of_input_iterators_tIbNS6_6detail15normal_iteratorINS6_10device_ptrIKsEEEESL_NS6_8equal_toIsEEEENSG_9not_fun_tINSD_8identityEEEEENSD_19counting_iterator_tIlEES8_S8_S8_S8_S8_S8_S8_S8_EEEEPS9_S9_NSD_9__find_if7functorIS9_EEEE10hipError_tPvRmT1_T2_T3_mT4_P12ihipStream_tbEUlT_E1_NS1_11comp_targetILNS1_3genE10ELNS1_11target_archE1201ELNS1_3gpuE5ELNS1_3repE0EEENS1_30default_config_static_selectorELNS0_4arch9wavefront6targetE0EEEvS14_,comdat
.Lfunc_end569:
	.size	_ZN7rocprim17ROCPRIM_400000_NS6detail17trampoline_kernelINS0_14default_configENS1_22reduce_config_selectorIN6thrust23THRUST_200600_302600_NS5tupleIblNS6_9null_typeES8_S8_S8_S8_S8_S8_S8_EEEEZNS1_11reduce_implILb1ES3_NS6_12zip_iteratorINS7_INS6_11hip_rocprim26transform_input_iterator_tIbNSD_35transform_pair_of_input_iterators_tIbNS6_6detail15normal_iteratorINS6_10device_ptrIKsEEEESL_NS6_8equal_toIsEEEENSG_9not_fun_tINSD_8identityEEEEENSD_19counting_iterator_tIlEES8_S8_S8_S8_S8_S8_S8_S8_EEEEPS9_S9_NSD_9__find_if7functorIS9_EEEE10hipError_tPvRmT1_T2_T3_mT4_P12ihipStream_tbEUlT_E1_NS1_11comp_targetILNS1_3genE10ELNS1_11target_archE1201ELNS1_3gpuE5ELNS1_3repE0EEENS1_30default_config_static_selectorELNS0_4arch9wavefront6targetE0EEEvS14_, .Lfunc_end569-_ZN7rocprim17ROCPRIM_400000_NS6detail17trampoline_kernelINS0_14default_configENS1_22reduce_config_selectorIN6thrust23THRUST_200600_302600_NS5tupleIblNS6_9null_typeES8_S8_S8_S8_S8_S8_S8_EEEEZNS1_11reduce_implILb1ES3_NS6_12zip_iteratorINS7_INS6_11hip_rocprim26transform_input_iterator_tIbNSD_35transform_pair_of_input_iterators_tIbNS6_6detail15normal_iteratorINS6_10device_ptrIKsEEEESL_NS6_8equal_toIsEEEENSG_9not_fun_tINSD_8identityEEEEENSD_19counting_iterator_tIlEES8_S8_S8_S8_S8_S8_S8_S8_EEEEPS9_S9_NSD_9__find_if7functorIS9_EEEE10hipError_tPvRmT1_T2_T3_mT4_P12ihipStream_tbEUlT_E1_NS1_11comp_targetILNS1_3genE10ELNS1_11target_archE1201ELNS1_3gpuE5ELNS1_3repE0EEENS1_30default_config_static_selectorELNS0_4arch9wavefront6targetE0EEEvS14_
                                        ; -- End function
	.section	.AMDGPU.csdata,"",@progbits
; Kernel info:
; codeLenInByte = 0
; NumSgprs: 0
; NumVgprs: 0
; ScratchSize: 0
; MemoryBound: 0
; FloatMode: 240
; IeeeMode: 1
; LDSByteSize: 0 bytes/workgroup (compile time only)
; SGPRBlocks: 0
; VGPRBlocks: 0
; NumSGPRsForWavesPerEU: 1
; NumVGPRsForWavesPerEU: 1
; Occupancy: 16
; WaveLimiterHint : 0
; COMPUTE_PGM_RSRC2:SCRATCH_EN: 0
; COMPUTE_PGM_RSRC2:USER_SGPR: 15
; COMPUTE_PGM_RSRC2:TRAP_HANDLER: 0
; COMPUTE_PGM_RSRC2:TGID_X_EN: 1
; COMPUTE_PGM_RSRC2:TGID_Y_EN: 0
; COMPUTE_PGM_RSRC2:TGID_Z_EN: 0
; COMPUTE_PGM_RSRC2:TIDIG_COMP_CNT: 0
	.section	.text._ZN7rocprim17ROCPRIM_400000_NS6detail17trampoline_kernelINS0_14default_configENS1_22reduce_config_selectorIN6thrust23THRUST_200600_302600_NS5tupleIblNS6_9null_typeES8_S8_S8_S8_S8_S8_S8_EEEEZNS1_11reduce_implILb1ES3_NS6_12zip_iteratorINS7_INS6_11hip_rocprim26transform_input_iterator_tIbNSD_35transform_pair_of_input_iterators_tIbNS6_6detail15normal_iteratorINS6_10device_ptrIKsEEEESL_NS6_8equal_toIsEEEENSG_9not_fun_tINSD_8identityEEEEENSD_19counting_iterator_tIlEES8_S8_S8_S8_S8_S8_S8_S8_EEEEPS9_S9_NSD_9__find_if7functorIS9_EEEE10hipError_tPvRmT1_T2_T3_mT4_P12ihipStream_tbEUlT_E1_NS1_11comp_targetILNS1_3genE10ELNS1_11target_archE1200ELNS1_3gpuE4ELNS1_3repE0EEENS1_30default_config_static_selectorELNS0_4arch9wavefront6targetE0EEEvS14_,"axG",@progbits,_ZN7rocprim17ROCPRIM_400000_NS6detail17trampoline_kernelINS0_14default_configENS1_22reduce_config_selectorIN6thrust23THRUST_200600_302600_NS5tupleIblNS6_9null_typeES8_S8_S8_S8_S8_S8_S8_EEEEZNS1_11reduce_implILb1ES3_NS6_12zip_iteratorINS7_INS6_11hip_rocprim26transform_input_iterator_tIbNSD_35transform_pair_of_input_iterators_tIbNS6_6detail15normal_iteratorINS6_10device_ptrIKsEEEESL_NS6_8equal_toIsEEEENSG_9not_fun_tINSD_8identityEEEEENSD_19counting_iterator_tIlEES8_S8_S8_S8_S8_S8_S8_S8_EEEEPS9_S9_NSD_9__find_if7functorIS9_EEEE10hipError_tPvRmT1_T2_T3_mT4_P12ihipStream_tbEUlT_E1_NS1_11comp_targetILNS1_3genE10ELNS1_11target_archE1200ELNS1_3gpuE4ELNS1_3repE0EEENS1_30default_config_static_selectorELNS0_4arch9wavefront6targetE0EEEvS14_,comdat
	.protected	_ZN7rocprim17ROCPRIM_400000_NS6detail17trampoline_kernelINS0_14default_configENS1_22reduce_config_selectorIN6thrust23THRUST_200600_302600_NS5tupleIblNS6_9null_typeES8_S8_S8_S8_S8_S8_S8_EEEEZNS1_11reduce_implILb1ES3_NS6_12zip_iteratorINS7_INS6_11hip_rocprim26transform_input_iterator_tIbNSD_35transform_pair_of_input_iterators_tIbNS6_6detail15normal_iteratorINS6_10device_ptrIKsEEEESL_NS6_8equal_toIsEEEENSG_9not_fun_tINSD_8identityEEEEENSD_19counting_iterator_tIlEES8_S8_S8_S8_S8_S8_S8_S8_EEEEPS9_S9_NSD_9__find_if7functorIS9_EEEE10hipError_tPvRmT1_T2_T3_mT4_P12ihipStream_tbEUlT_E1_NS1_11comp_targetILNS1_3genE10ELNS1_11target_archE1200ELNS1_3gpuE4ELNS1_3repE0EEENS1_30default_config_static_selectorELNS0_4arch9wavefront6targetE0EEEvS14_ ; -- Begin function _ZN7rocprim17ROCPRIM_400000_NS6detail17trampoline_kernelINS0_14default_configENS1_22reduce_config_selectorIN6thrust23THRUST_200600_302600_NS5tupleIblNS6_9null_typeES8_S8_S8_S8_S8_S8_S8_EEEEZNS1_11reduce_implILb1ES3_NS6_12zip_iteratorINS7_INS6_11hip_rocprim26transform_input_iterator_tIbNSD_35transform_pair_of_input_iterators_tIbNS6_6detail15normal_iteratorINS6_10device_ptrIKsEEEESL_NS6_8equal_toIsEEEENSG_9not_fun_tINSD_8identityEEEEENSD_19counting_iterator_tIlEES8_S8_S8_S8_S8_S8_S8_S8_EEEEPS9_S9_NSD_9__find_if7functorIS9_EEEE10hipError_tPvRmT1_T2_T3_mT4_P12ihipStream_tbEUlT_E1_NS1_11comp_targetILNS1_3genE10ELNS1_11target_archE1200ELNS1_3gpuE4ELNS1_3repE0EEENS1_30default_config_static_selectorELNS0_4arch9wavefront6targetE0EEEvS14_
	.globl	_ZN7rocprim17ROCPRIM_400000_NS6detail17trampoline_kernelINS0_14default_configENS1_22reduce_config_selectorIN6thrust23THRUST_200600_302600_NS5tupleIblNS6_9null_typeES8_S8_S8_S8_S8_S8_S8_EEEEZNS1_11reduce_implILb1ES3_NS6_12zip_iteratorINS7_INS6_11hip_rocprim26transform_input_iterator_tIbNSD_35transform_pair_of_input_iterators_tIbNS6_6detail15normal_iteratorINS6_10device_ptrIKsEEEESL_NS6_8equal_toIsEEEENSG_9not_fun_tINSD_8identityEEEEENSD_19counting_iterator_tIlEES8_S8_S8_S8_S8_S8_S8_S8_EEEEPS9_S9_NSD_9__find_if7functorIS9_EEEE10hipError_tPvRmT1_T2_T3_mT4_P12ihipStream_tbEUlT_E1_NS1_11comp_targetILNS1_3genE10ELNS1_11target_archE1200ELNS1_3gpuE4ELNS1_3repE0EEENS1_30default_config_static_selectorELNS0_4arch9wavefront6targetE0EEEvS14_
	.p2align	8
	.type	_ZN7rocprim17ROCPRIM_400000_NS6detail17trampoline_kernelINS0_14default_configENS1_22reduce_config_selectorIN6thrust23THRUST_200600_302600_NS5tupleIblNS6_9null_typeES8_S8_S8_S8_S8_S8_S8_EEEEZNS1_11reduce_implILb1ES3_NS6_12zip_iteratorINS7_INS6_11hip_rocprim26transform_input_iterator_tIbNSD_35transform_pair_of_input_iterators_tIbNS6_6detail15normal_iteratorINS6_10device_ptrIKsEEEESL_NS6_8equal_toIsEEEENSG_9not_fun_tINSD_8identityEEEEENSD_19counting_iterator_tIlEES8_S8_S8_S8_S8_S8_S8_S8_EEEEPS9_S9_NSD_9__find_if7functorIS9_EEEE10hipError_tPvRmT1_T2_T3_mT4_P12ihipStream_tbEUlT_E1_NS1_11comp_targetILNS1_3genE10ELNS1_11target_archE1200ELNS1_3gpuE4ELNS1_3repE0EEENS1_30default_config_static_selectorELNS0_4arch9wavefront6targetE0EEEvS14_,@function
_ZN7rocprim17ROCPRIM_400000_NS6detail17trampoline_kernelINS0_14default_configENS1_22reduce_config_selectorIN6thrust23THRUST_200600_302600_NS5tupleIblNS6_9null_typeES8_S8_S8_S8_S8_S8_S8_EEEEZNS1_11reduce_implILb1ES3_NS6_12zip_iteratorINS7_INS6_11hip_rocprim26transform_input_iterator_tIbNSD_35transform_pair_of_input_iterators_tIbNS6_6detail15normal_iteratorINS6_10device_ptrIKsEEEESL_NS6_8equal_toIsEEEENSG_9not_fun_tINSD_8identityEEEEENSD_19counting_iterator_tIlEES8_S8_S8_S8_S8_S8_S8_S8_EEEEPS9_S9_NSD_9__find_if7functorIS9_EEEE10hipError_tPvRmT1_T2_T3_mT4_P12ihipStream_tbEUlT_E1_NS1_11comp_targetILNS1_3genE10ELNS1_11target_archE1200ELNS1_3gpuE4ELNS1_3repE0EEENS1_30default_config_static_selectorELNS0_4arch9wavefront6targetE0EEEvS14_: ; @_ZN7rocprim17ROCPRIM_400000_NS6detail17trampoline_kernelINS0_14default_configENS1_22reduce_config_selectorIN6thrust23THRUST_200600_302600_NS5tupleIblNS6_9null_typeES8_S8_S8_S8_S8_S8_S8_EEEEZNS1_11reduce_implILb1ES3_NS6_12zip_iteratorINS7_INS6_11hip_rocprim26transform_input_iterator_tIbNSD_35transform_pair_of_input_iterators_tIbNS6_6detail15normal_iteratorINS6_10device_ptrIKsEEEESL_NS6_8equal_toIsEEEENSG_9not_fun_tINSD_8identityEEEEENSD_19counting_iterator_tIlEES8_S8_S8_S8_S8_S8_S8_S8_EEEEPS9_S9_NSD_9__find_if7functorIS9_EEEE10hipError_tPvRmT1_T2_T3_mT4_P12ihipStream_tbEUlT_E1_NS1_11comp_targetILNS1_3genE10ELNS1_11target_archE1200ELNS1_3gpuE4ELNS1_3repE0EEENS1_30default_config_static_selectorELNS0_4arch9wavefront6targetE0EEEvS14_
; %bb.0:
	.section	.rodata,"a",@progbits
	.p2align	6, 0x0
	.amdhsa_kernel _ZN7rocprim17ROCPRIM_400000_NS6detail17trampoline_kernelINS0_14default_configENS1_22reduce_config_selectorIN6thrust23THRUST_200600_302600_NS5tupleIblNS6_9null_typeES8_S8_S8_S8_S8_S8_S8_EEEEZNS1_11reduce_implILb1ES3_NS6_12zip_iteratorINS7_INS6_11hip_rocprim26transform_input_iterator_tIbNSD_35transform_pair_of_input_iterators_tIbNS6_6detail15normal_iteratorINS6_10device_ptrIKsEEEESL_NS6_8equal_toIsEEEENSG_9not_fun_tINSD_8identityEEEEENSD_19counting_iterator_tIlEES8_S8_S8_S8_S8_S8_S8_S8_EEEEPS9_S9_NSD_9__find_if7functorIS9_EEEE10hipError_tPvRmT1_T2_T3_mT4_P12ihipStream_tbEUlT_E1_NS1_11comp_targetILNS1_3genE10ELNS1_11target_archE1200ELNS1_3gpuE4ELNS1_3repE0EEENS1_30default_config_static_selectorELNS0_4arch9wavefront6targetE0EEEvS14_
		.amdhsa_group_segment_fixed_size 0
		.amdhsa_private_segment_fixed_size 0
		.amdhsa_kernarg_size 88
		.amdhsa_user_sgpr_count 15
		.amdhsa_user_sgpr_dispatch_ptr 0
		.amdhsa_user_sgpr_queue_ptr 0
		.amdhsa_user_sgpr_kernarg_segment_ptr 1
		.amdhsa_user_sgpr_dispatch_id 0
		.amdhsa_user_sgpr_private_segment_size 0
		.amdhsa_wavefront_size32 1
		.amdhsa_uses_dynamic_stack 0
		.amdhsa_enable_private_segment 0
		.amdhsa_system_sgpr_workgroup_id_x 1
		.amdhsa_system_sgpr_workgroup_id_y 0
		.amdhsa_system_sgpr_workgroup_id_z 0
		.amdhsa_system_sgpr_workgroup_info 0
		.amdhsa_system_vgpr_workitem_id 0
		.amdhsa_next_free_vgpr 1
		.amdhsa_next_free_sgpr 1
		.amdhsa_reserve_vcc 0
		.amdhsa_float_round_mode_32 0
		.amdhsa_float_round_mode_16_64 0
		.amdhsa_float_denorm_mode_32 3
		.amdhsa_float_denorm_mode_16_64 3
		.amdhsa_dx10_clamp 1
		.amdhsa_ieee_mode 1
		.amdhsa_fp16_overflow 0
		.amdhsa_workgroup_processor_mode 1
		.amdhsa_memory_ordered 1
		.amdhsa_forward_progress 0
		.amdhsa_shared_vgpr_count 0
		.amdhsa_exception_fp_ieee_invalid_op 0
		.amdhsa_exception_fp_denorm_src 0
		.amdhsa_exception_fp_ieee_div_zero 0
		.amdhsa_exception_fp_ieee_overflow 0
		.amdhsa_exception_fp_ieee_underflow 0
		.amdhsa_exception_fp_ieee_inexact 0
		.amdhsa_exception_int_div_zero 0
	.end_amdhsa_kernel
	.section	.text._ZN7rocprim17ROCPRIM_400000_NS6detail17trampoline_kernelINS0_14default_configENS1_22reduce_config_selectorIN6thrust23THRUST_200600_302600_NS5tupleIblNS6_9null_typeES8_S8_S8_S8_S8_S8_S8_EEEEZNS1_11reduce_implILb1ES3_NS6_12zip_iteratorINS7_INS6_11hip_rocprim26transform_input_iterator_tIbNSD_35transform_pair_of_input_iterators_tIbNS6_6detail15normal_iteratorINS6_10device_ptrIKsEEEESL_NS6_8equal_toIsEEEENSG_9not_fun_tINSD_8identityEEEEENSD_19counting_iterator_tIlEES8_S8_S8_S8_S8_S8_S8_S8_EEEEPS9_S9_NSD_9__find_if7functorIS9_EEEE10hipError_tPvRmT1_T2_T3_mT4_P12ihipStream_tbEUlT_E1_NS1_11comp_targetILNS1_3genE10ELNS1_11target_archE1200ELNS1_3gpuE4ELNS1_3repE0EEENS1_30default_config_static_selectorELNS0_4arch9wavefront6targetE0EEEvS14_,"axG",@progbits,_ZN7rocprim17ROCPRIM_400000_NS6detail17trampoline_kernelINS0_14default_configENS1_22reduce_config_selectorIN6thrust23THRUST_200600_302600_NS5tupleIblNS6_9null_typeES8_S8_S8_S8_S8_S8_S8_EEEEZNS1_11reduce_implILb1ES3_NS6_12zip_iteratorINS7_INS6_11hip_rocprim26transform_input_iterator_tIbNSD_35transform_pair_of_input_iterators_tIbNS6_6detail15normal_iteratorINS6_10device_ptrIKsEEEESL_NS6_8equal_toIsEEEENSG_9not_fun_tINSD_8identityEEEEENSD_19counting_iterator_tIlEES8_S8_S8_S8_S8_S8_S8_S8_EEEEPS9_S9_NSD_9__find_if7functorIS9_EEEE10hipError_tPvRmT1_T2_T3_mT4_P12ihipStream_tbEUlT_E1_NS1_11comp_targetILNS1_3genE10ELNS1_11target_archE1200ELNS1_3gpuE4ELNS1_3repE0EEENS1_30default_config_static_selectorELNS0_4arch9wavefront6targetE0EEEvS14_,comdat
.Lfunc_end570:
	.size	_ZN7rocprim17ROCPRIM_400000_NS6detail17trampoline_kernelINS0_14default_configENS1_22reduce_config_selectorIN6thrust23THRUST_200600_302600_NS5tupleIblNS6_9null_typeES8_S8_S8_S8_S8_S8_S8_EEEEZNS1_11reduce_implILb1ES3_NS6_12zip_iteratorINS7_INS6_11hip_rocprim26transform_input_iterator_tIbNSD_35transform_pair_of_input_iterators_tIbNS6_6detail15normal_iteratorINS6_10device_ptrIKsEEEESL_NS6_8equal_toIsEEEENSG_9not_fun_tINSD_8identityEEEEENSD_19counting_iterator_tIlEES8_S8_S8_S8_S8_S8_S8_S8_EEEEPS9_S9_NSD_9__find_if7functorIS9_EEEE10hipError_tPvRmT1_T2_T3_mT4_P12ihipStream_tbEUlT_E1_NS1_11comp_targetILNS1_3genE10ELNS1_11target_archE1200ELNS1_3gpuE4ELNS1_3repE0EEENS1_30default_config_static_selectorELNS0_4arch9wavefront6targetE0EEEvS14_, .Lfunc_end570-_ZN7rocprim17ROCPRIM_400000_NS6detail17trampoline_kernelINS0_14default_configENS1_22reduce_config_selectorIN6thrust23THRUST_200600_302600_NS5tupleIblNS6_9null_typeES8_S8_S8_S8_S8_S8_S8_EEEEZNS1_11reduce_implILb1ES3_NS6_12zip_iteratorINS7_INS6_11hip_rocprim26transform_input_iterator_tIbNSD_35transform_pair_of_input_iterators_tIbNS6_6detail15normal_iteratorINS6_10device_ptrIKsEEEESL_NS6_8equal_toIsEEEENSG_9not_fun_tINSD_8identityEEEEENSD_19counting_iterator_tIlEES8_S8_S8_S8_S8_S8_S8_S8_EEEEPS9_S9_NSD_9__find_if7functorIS9_EEEE10hipError_tPvRmT1_T2_T3_mT4_P12ihipStream_tbEUlT_E1_NS1_11comp_targetILNS1_3genE10ELNS1_11target_archE1200ELNS1_3gpuE4ELNS1_3repE0EEENS1_30default_config_static_selectorELNS0_4arch9wavefront6targetE0EEEvS14_
                                        ; -- End function
	.section	.AMDGPU.csdata,"",@progbits
; Kernel info:
; codeLenInByte = 0
; NumSgprs: 0
; NumVgprs: 0
; ScratchSize: 0
; MemoryBound: 0
; FloatMode: 240
; IeeeMode: 1
; LDSByteSize: 0 bytes/workgroup (compile time only)
; SGPRBlocks: 0
; VGPRBlocks: 0
; NumSGPRsForWavesPerEU: 1
; NumVGPRsForWavesPerEU: 1
; Occupancy: 16
; WaveLimiterHint : 0
; COMPUTE_PGM_RSRC2:SCRATCH_EN: 0
; COMPUTE_PGM_RSRC2:USER_SGPR: 15
; COMPUTE_PGM_RSRC2:TRAP_HANDLER: 0
; COMPUTE_PGM_RSRC2:TGID_X_EN: 1
; COMPUTE_PGM_RSRC2:TGID_Y_EN: 0
; COMPUTE_PGM_RSRC2:TGID_Z_EN: 0
; COMPUTE_PGM_RSRC2:TIDIG_COMP_CNT: 0
	.section	.text._ZN7rocprim17ROCPRIM_400000_NS6detail17trampoline_kernelINS0_14default_configENS1_22reduce_config_selectorIN6thrust23THRUST_200600_302600_NS5tupleIblNS6_9null_typeES8_S8_S8_S8_S8_S8_S8_EEEEZNS1_11reduce_implILb1ES3_NS6_12zip_iteratorINS7_INS6_11hip_rocprim26transform_input_iterator_tIbNSD_35transform_pair_of_input_iterators_tIbNS6_6detail15normal_iteratorINS6_10device_ptrIKsEEEESL_NS6_8equal_toIsEEEENSG_9not_fun_tINSD_8identityEEEEENSD_19counting_iterator_tIlEES8_S8_S8_S8_S8_S8_S8_S8_EEEEPS9_S9_NSD_9__find_if7functorIS9_EEEE10hipError_tPvRmT1_T2_T3_mT4_P12ihipStream_tbEUlT_E1_NS1_11comp_targetILNS1_3genE9ELNS1_11target_archE1100ELNS1_3gpuE3ELNS1_3repE0EEENS1_30default_config_static_selectorELNS0_4arch9wavefront6targetE0EEEvS14_,"axG",@progbits,_ZN7rocprim17ROCPRIM_400000_NS6detail17trampoline_kernelINS0_14default_configENS1_22reduce_config_selectorIN6thrust23THRUST_200600_302600_NS5tupleIblNS6_9null_typeES8_S8_S8_S8_S8_S8_S8_EEEEZNS1_11reduce_implILb1ES3_NS6_12zip_iteratorINS7_INS6_11hip_rocprim26transform_input_iterator_tIbNSD_35transform_pair_of_input_iterators_tIbNS6_6detail15normal_iteratorINS6_10device_ptrIKsEEEESL_NS6_8equal_toIsEEEENSG_9not_fun_tINSD_8identityEEEEENSD_19counting_iterator_tIlEES8_S8_S8_S8_S8_S8_S8_S8_EEEEPS9_S9_NSD_9__find_if7functorIS9_EEEE10hipError_tPvRmT1_T2_T3_mT4_P12ihipStream_tbEUlT_E1_NS1_11comp_targetILNS1_3genE9ELNS1_11target_archE1100ELNS1_3gpuE3ELNS1_3repE0EEENS1_30default_config_static_selectorELNS0_4arch9wavefront6targetE0EEEvS14_,comdat
	.protected	_ZN7rocprim17ROCPRIM_400000_NS6detail17trampoline_kernelINS0_14default_configENS1_22reduce_config_selectorIN6thrust23THRUST_200600_302600_NS5tupleIblNS6_9null_typeES8_S8_S8_S8_S8_S8_S8_EEEEZNS1_11reduce_implILb1ES3_NS6_12zip_iteratorINS7_INS6_11hip_rocprim26transform_input_iterator_tIbNSD_35transform_pair_of_input_iterators_tIbNS6_6detail15normal_iteratorINS6_10device_ptrIKsEEEESL_NS6_8equal_toIsEEEENSG_9not_fun_tINSD_8identityEEEEENSD_19counting_iterator_tIlEES8_S8_S8_S8_S8_S8_S8_S8_EEEEPS9_S9_NSD_9__find_if7functorIS9_EEEE10hipError_tPvRmT1_T2_T3_mT4_P12ihipStream_tbEUlT_E1_NS1_11comp_targetILNS1_3genE9ELNS1_11target_archE1100ELNS1_3gpuE3ELNS1_3repE0EEENS1_30default_config_static_selectorELNS0_4arch9wavefront6targetE0EEEvS14_ ; -- Begin function _ZN7rocprim17ROCPRIM_400000_NS6detail17trampoline_kernelINS0_14default_configENS1_22reduce_config_selectorIN6thrust23THRUST_200600_302600_NS5tupleIblNS6_9null_typeES8_S8_S8_S8_S8_S8_S8_EEEEZNS1_11reduce_implILb1ES3_NS6_12zip_iteratorINS7_INS6_11hip_rocprim26transform_input_iterator_tIbNSD_35transform_pair_of_input_iterators_tIbNS6_6detail15normal_iteratorINS6_10device_ptrIKsEEEESL_NS6_8equal_toIsEEEENSG_9not_fun_tINSD_8identityEEEEENSD_19counting_iterator_tIlEES8_S8_S8_S8_S8_S8_S8_S8_EEEEPS9_S9_NSD_9__find_if7functorIS9_EEEE10hipError_tPvRmT1_T2_T3_mT4_P12ihipStream_tbEUlT_E1_NS1_11comp_targetILNS1_3genE9ELNS1_11target_archE1100ELNS1_3gpuE3ELNS1_3repE0EEENS1_30default_config_static_selectorELNS0_4arch9wavefront6targetE0EEEvS14_
	.globl	_ZN7rocprim17ROCPRIM_400000_NS6detail17trampoline_kernelINS0_14default_configENS1_22reduce_config_selectorIN6thrust23THRUST_200600_302600_NS5tupleIblNS6_9null_typeES8_S8_S8_S8_S8_S8_S8_EEEEZNS1_11reduce_implILb1ES3_NS6_12zip_iteratorINS7_INS6_11hip_rocprim26transform_input_iterator_tIbNSD_35transform_pair_of_input_iterators_tIbNS6_6detail15normal_iteratorINS6_10device_ptrIKsEEEESL_NS6_8equal_toIsEEEENSG_9not_fun_tINSD_8identityEEEEENSD_19counting_iterator_tIlEES8_S8_S8_S8_S8_S8_S8_S8_EEEEPS9_S9_NSD_9__find_if7functorIS9_EEEE10hipError_tPvRmT1_T2_T3_mT4_P12ihipStream_tbEUlT_E1_NS1_11comp_targetILNS1_3genE9ELNS1_11target_archE1100ELNS1_3gpuE3ELNS1_3repE0EEENS1_30default_config_static_selectorELNS0_4arch9wavefront6targetE0EEEvS14_
	.p2align	8
	.type	_ZN7rocprim17ROCPRIM_400000_NS6detail17trampoline_kernelINS0_14default_configENS1_22reduce_config_selectorIN6thrust23THRUST_200600_302600_NS5tupleIblNS6_9null_typeES8_S8_S8_S8_S8_S8_S8_EEEEZNS1_11reduce_implILb1ES3_NS6_12zip_iteratorINS7_INS6_11hip_rocprim26transform_input_iterator_tIbNSD_35transform_pair_of_input_iterators_tIbNS6_6detail15normal_iteratorINS6_10device_ptrIKsEEEESL_NS6_8equal_toIsEEEENSG_9not_fun_tINSD_8identityEEEEENSD_19counting_iterator_tIlEES8_S8_S8_S8_S8_S8_S8_S8_EEEEPS9_S9_NSD_9__find_if7functorIS9_EEEE10hipError_tPvRmT1_T2_T3_mT4_P12ihipStream_tbEUlT_E1_NS1_11comp_targetILNS1_3genE9ELNS1_11target_archE1100ELNS1_3gpuE3ELNS1_3repE0EEENS1_30default_config_static_selectorELNS0_4arch9wavefront6targetE0EEEvS14_,@function
_ZN7rocprim17ROCPRIM_400000_NS6detail17trampoline_kernelINS0_14default_configENS1_22reduce_config_selectorIN6thrust23THRUST_200600_302600_NS5tupleIblNS6_9null_typeES8_S8_S8_S8_S8_S8_S8_EEEEZNS1_11reduce_implILb1ES3_NS6_12zip_iteratorINS7_INS6_11hip_rocprim26transform_input_iterator_tIbNSD_35transform_pair_of_input_iterators_tIbNS6_6detail15normal_iteratorINS6_10device_ptrIKsEEEESL_NS6_8equal_toIsEEEENSG_9not_fun_tINSD_8identityEEEEENSD_19counting_iterator_tIlEES8_S8_S8_S8_S8_S8_S8_S8_EEEEPS9_S9_NSD_9__find_if7functorIS9_EEEE10hipError_tPvRmT1_T2_T3_mT4_P12ihipStream_tbEUlT_E1_NS1_11comp_targetILNS1_3genE9ELNS1_11target_archE1100ELNS1_3gpuE3ELNS1_3repE0EEENS1_30default_config_static_selectorELNS0_4arch9wavefront6targetE0EEEvS14_: ; @_ZN7rocprim17ROCPRIM_400000_NS6detail17trampoline_kernelINS0_14default_configENS1_22reduce_config_selectorIN6thrust23THRUST_200600_302600_NS5tupleIblNS6_9null_typeES8_S8_S8_S8_S8_S8_S8_EEEEZNS1_11reduce_implILb1ES3_NS6_12zip_iteratorINS7_INS6_11hip_rocprim26transform_input_iterator_tIbNSD_35transform_pair_of_input_iterators_tIbNS6_6detail15normal_iteratorINS6_10device_ptrIKsEEEESL_NS6_8equal_toIsEEEENSG_9not_fun_tINSD_8identityEEEEENSD_19counting_iterator_tIlEES8_S8_S8_S8_S8_S8_S8_S8_EEEEPS9_S9_NSD_9__find_if7functorIS9_EEEE10hipError_tPvRmT1_T2_T3_mT4_P12ihipStream_tbEUlT_E1_NS1_11comp_targetILNS1_3genE9ELNS1_11target_archE1100ELNS1_3gpuE3ELNS1_3repE0EEENS1_30default_config_static_selectorELNS0_4arch9wavefront6targetE0EEEvS14_
; %bb.0:
	s_mov_b32 s10, s15
	s_clause 0x4
	s_load_b32 s25, s[0:1], 0x4
	s_load_b128 s[16:19], s[0:1], 0x8
	s_load_b128 s[12:15], s[0:1], 0x28
	s_load_b32 s24, s[0:1], 0x40
	s_load_b64 s[20:21], s[0:1], 0x48
	s_waitcnt lgkmcnt(0)
	s_cmp_lt_i32 s25, 4
	s_cbranch_scc1 .LBB571_19
; %bb.1:
	s_cmp_gt_i32 s25, 7
	s_cbranch_scc0 .LBB571_20
; %bb.2:
	s_cmp_eq_u32 s25, 8
	s_mov_b32 s27, 0
	s_cbranch_scc0 .LBB571_21
; %bb.3:
	s_mov_b32 s11, 0
	s_lshl_b32 s6, s10, 11
	s_mov_b32 s7, s11
	s_lshr_b64 s[4:5], s[14:15], 11
	s_lshl_b64 s[2:3], s[6:7], 1
	s_delay_alu instid0(SALU_CYCLE_1)
	s_add_u32 s8, s16, s2
	s_addc_u32 s9, s17, s3
	s_add_u32 s22, s18, s2
	s_addc_u32 s23, s19, s3
	;; [unrolled: 2-line block ×3, first 2 shown]
	s_cmp_lg_u64 s[4:5], s[10:11]
	s_cbranch_scc0 .LBB571_40
; %bb.4:
	v_dual_mov_b32 v18, 0x300 :: v_dual_lshlrev_b32 v1, 1, v0
	v_mov_b32_e32 v17, 0x100
	v_mov_b32_e32 v19, 0x500
	s_clause 0xf
	global_load_u16 v2, v1, s[22:23]
	global_load_u16 v3, v1, s[22:23] offset:512
	global_load_u16 v4, v1, s[22:23] offset:1024
	global_load_u16 v5, v1, s[8:9]
	global_load_u16 v6, v1, s[8:9] offset:512
	global_load_u16 v7, v1, s[8:9] offset:1024
	;; [unrolled: 1-line block ×12, first 2 shown]
	s_waitcnt vmcnt(12)
	v_cmp_ne_u16_e64 s2, v5, v2
	s_waitcnt vmcnt(11)
	v_cmp_ne_u16_e32 vcc_lo, v6, v3
	s_waitcnt vmcnt(10)
	v_cmp_ne_u16_e64 s3, v7, v4
	s_waitcnt vmcnt(7)
	v_cmp_ne_u16_e64 s4, v9, v10
	v_cndmask_b32_e32 v3, 0x200, v17, vcc_lo
	s_waitcnt vmcnt(6)
	v_cmp_ne_u16_e64 s5, v8, v11
	s_delay_alu instid0(VALU_DEP_2) | instskip(NEXT) | instid1(VALU_DEP_2)
	v_cndmask_b32_e64 v3, v3, 0, s2
	v_cndmask_b32_e64 v2, 0x400, v18, s5
	s_or_b32 s2, s2, vcc_lo
	s_waitcnt vmcnt(4)
	v_cmp_ne_u16_e32 vcc_lo, v12, v13
	s_or_b32 s2, s2, s3
	s_delay_alu instid0(SALU_CYCLE_1)
	v_cndmask_b32_e64 v2, v2, v3, s2
	s_or_b32 s3, s2, s5
	v_cndmask_b32_e32 v4, 0x600, v19, vcc_lo
	s_waitcnt vmcnt(2)
	v_cmp_ne_u16_e64 s2, v15, v14
	s_or_b32 s3, s3, s4
	s_waitcnt vmcnt(0)
	v_cmp_ne_u16_e64 s4, v16, v1
	v_cndmask_b32_e64 v2, v4, v2, s3
	s_or_b32 s3, s3, vcc_lo
	s_delay_alu instid0(SALU_CYCLE_1) | instskip(NEXT) | instid1(VALU_DEP_1)
	s_or_b32 vcc_lo, s3, s2
	v_cndmask_b32_e32 v1, 0x700, v2, vcc_lo
	s_or_b32 s3, vcc_lo, s4
	v_add_co_u32 v2, s2, s26, v0
	v_cndmask_b32_e64 v5, 0, 1, s3
	v_add_co_ci_u32_e64 v3, null, s28, 0, s2
	s_delay_alu instid0(VALU_DEP_3) | instskip(NEXT) | instid1(VALU_DEP_3)
	v_add_co_u32 v1, vcc_lo, v2, v1
	v_mov_b32_dpp v6, v5 quad_perm:[1,0,3,2] row_mask:0xf bank_mask:0xf
	s_delay_alu instid0(VALU_DEP_3) | instskip(NEXT) | instid1(VALU_DEP_3)
	v_add_co_ci_u32_e32 v2, vcc_lo, 0, v3, vcc_lo
	v_mov_b32_dpp v3, v1 quad_perm:[1,0,3,2] row_mask:0xf bank_mask:0xf
	s_mov_b32 s4, exec_lo
	s_delay_alu instid0(VALU_DEP_3) | instskip(NEXT) | instid1(VALU_DEP_3)
	v_and_b32_e32 v7, 1, v6
	v_mov_b32_dpp v4, v2 quad_perm:[1,0,3,2] row_mask:0xf bank_mask:0xf
	s_delay_alu instid0(VALU_DEP_2)
	v_cmpx_eq_u32_e32 1, v7
; %bb.5:
	v_cndmask_b32_e64 v5, v6, 1, s3
	s_delay_alu instid0(VALU_DEP_3) | instskip(NEXT) | instid1(VALU_DEP_2)
	v_cmp_lt_i64_e32 vcc_lo, v[1:2], v[3:4]
	v_and_b32_e32 v6, 1, v5
	v_and_b32_e32 v5, 0xff, v5
	s_and_b32 vcc_lo, s3, vcc_lo
	s_and_not1_b32 s3, s3, exec_lo
	v_dual_cndmask_b32 v2, v4, v2 :: v_dual_cndmask_b32 v1, v3, v1
	v_cmp_eq_u32_e64 s2, 1, v6
	s_delay_alu instid0(VALU_DEP_1) | instskip(NEXT) | instid1(SALU_CYCLE_1)
	s_and_b32 s2, s2, exec_lo
	s_or_b32 s3, s3, s2
; %bb.6:
	s_or_b32 exec_lo, exec_lo, s4
	v_mov_b32_dpp v6, v5 quad_perm:[2,3,0,1] row_mask:0xf bank_mask:0xf
	v_mov_b32_dpp v3, v1 quad_perm:[2,3,0,1] row_mask:0xf bank_mask:0xf
	;; [unrolled: 1-line block ×3, first 2 shown]
	s_mov_b32 s4, exec_lo
	s_delay_alu instid0(VALU_DEP_3) | instskip(NEXT) | instid1(VALU_DEP_1)
	v_and_b32_e32 v7, 1, v6
	v_cmpx_eq_u32_e32 1, v7
; %bb.7:
	v_cndmask_b32_e64 v5, v6, 1, s3
	v_cmp_lt_i64_e32 vcc_lo, v[1:2], v[3:4]
	s_delay_alu instid0(VALU_DEP_2)
	v_and_b32_e32 v6, 1, v5
	v_and_b32_e32 v5, 0xff, v5
	s_and_b32 vcc_lo, s3, vcc_lo
	s_and_not1_b32 s3, s3, exec_lo
	v_dual_cndmask_b32 v2, v4, v2 :: v_dual_cndmask_b32 v1, v3, v1
	v_cmp_eq_u32_e64 s2, 1, v6
	s_delay_alu instid0(VALU_DEP_1) | instskip(NEXT) | instid1(SALU_CYCLE_1)
	s_and_b32 s2, s2, exec_lo
	s_or_b32 s3, s3, s2
; %bb.8:
	s_or_b32 exec_lo, exec_lo, s4
	v_mov_b32_dpp v6, v5 row_ror:4 row_mask:0xf bank_mask:0xf
	v_mov_b32_dpp v3, v1 row_ror:4 row_mask:0xf bank_mask:0xf
	;; [unrolled: 1-line block ×3, first 2 shown]
	s_mov_b32 s4, exec_lo
	s_delay_alu instid0(VALU_DEP_3) | instskip(NEXT) | instid1(VALU_DEP_1)
	v_and_b32_e32 v7, 1, v6
	v_cmpx_eq_u32_e32 1, v7
; %bb.9:
	v_cndmask_b32_e64 v5, v6, 1, s3
	v_cmp_lt_i64_e32 vcc_lo, v[1:2], v[3:4]
	s_delay_alu instid0(VALU_DEP_2)
	v_and_b32_e32 v6, 1, v5
	v_and_b32_e32 v5, 0xff, v5
	s_and_b32 vcc_lo, s3, vcc_lo
	s_and_not1_b32 s3, s3, exec_lo
	v_dual_cndmask_b32 v2, v4, v2 :: v_dual_cndmask_b32 v1, v3, v1
	v_cmp_eq_u32_e64 s2, 1, v6
	s_delay_alu instid0(VALU_DEP_1) | instskip(NEXT) | instid1(SALU_CYCLE_1)
	s_and_b32 s2, s2, exec_lo
	s_or_b32 s3, s3, s2
; %bb.10:
	s_or_b32 exec_lo, exec_lo, s4
	v_mov_b32_dpp v6, v5 row_ror:8 row_mask:0xf bank_mask:0xf
	v_mov_b32_dpp v3, v1 row_ror:8 row_mask:0xf bank_mask:0xf
	;; [unrolled: 1-line block ×3, first 2 shown]
	s_mov_b32 s4, exec_lo
	s_delay_alu instid0(VALU_DEP_3) | instskip(NEXT) | instid1(VALU_DEP_1)
	v_and_b32_e32 v7, 1, v6
	v_cmpx_eq_u32_e32 1, v7
; %bb.11:
	v_cndmask_b32_e64 v5, v6, 1, s3
	v_cmp_lt_i64_e32 vcc_lo, v[1:2], v[3:4]
	s_delay_alu instid0(VALU_DEP_2)
	v_and_b32_e32 v6, 1, v5
	v_and_b32_e32 v5, 0xff, v5
	s_and_b32 vcc_lo, s3, vcc_lo
	s_and_not1_b32 s3, s3, exec_lo
	v_dual_cndmask_b32 v2, v4, v2 :: v_dual_cndmask_b32 v1, v3, v1
	v_cmp_eq_u32_e64 s2, 1, v6
	s_delay_alu instid0(VALU_DEP_1) | instskip(NEXT) | instid1(SALU_CYCLE_1)
	s_and_b32 s2, s2, exec_lo
	s_or_b32 s3, s3, s2
; %bb.12:
	s_or_b32 exec_lo, exec_lo, s4
	ds_swizzle_b32 v6, v5 offset:swizzle(BROADCAST,32,15)
	ds_swizzle_b32 v3, v1 offset:swizzle(BROADCAST,32,15)
	;; [unrolled: 1-line block ×3, first 2 shown]
	s_mov_b32 s2, exec_lo
	s_waitcnt lgkmcnt(2)
	v_and_b32_e32 v7, 1, v6
	s_delay_alu instid0(VALU_DEP_1)
	v_cmpx_eq_u32_e32 1, v7
	s_cbranch_execz .LBB571_14
; %bb.13:
	s_waitcnt lgkmcnt(0)
	v_cmp_lt_i64_e32 vcc_lo, v[1:2], v[3:4]
	v_and_b32_e32 v5, 0xff, v6
	s_delay_alu instid0(VALU_DEP_1)
	v_cndmask_b32_e64 v5, v5, 1, s3
	s_and_b32 vcc_lo, s3, vcc_lo
	v_dual_cndmask_b32 v1, v3, v1 :: v_dual_cndmask_b32 v2, v4, v2
.LBB571_14:
	s_or_b32 exec_lo, exec_lo, s2
	s_waitcnt lgkmcnt(1)
	v_mov_b32_e32 v3, 0
	s_mov_b32 s2, exec_lo
	ds_bpermute_b32 v6, v3, v5 offset:124
	ds_bpermute_b32 v1, v3, v1 offset:124
	;; [unrolled: 1-line block ×3, first 2 shown]
	v_mbcnt_lo_u32_b32 v3, -1, 0
	s_delay_alu instid0(VALU_DEP_1)
	v_cmpx_eq_u32_e32 0, v3
	s_cbranch_execz .LBB571_16
; %bb.15:
	s_waitcnt lgkmcnt(3)
	v_lshrrev_b32_e32 v4, 1, v0
	s_delay_alu instid0(VALU_DEP_1)
	v_and_b32_e32 v4, 0x70, v4
	s_waitcnt lgkmcnt(2)
	ds_store_b8 v4, v6 offset:384
	s_waitcnt lgkmcnt(1)
	ds_store_b64 v4, v[1:2] offset:392
.LBB571_16:
	s_or_b32 exec_lo, exec_lo, s2
	s_delay_alu instid0(SALU_CYCLE_1)
	s_mov_b32 s4, exec_lo
	s_waitcnt lgkmcnt(0)
	s_barrier
	buffer_gl0_inv
	v_cmpx_gt_u32_e32 32, v0
	s_cbranch_execz .LBB571_18
; %bb.17:
	v_and_b32_e32 v6, 7, v3
	s_delay_alu instid0(VALU_DEP_1)
	v_lshlrev_b32_e32 v1, 4, v6
	v_cmp_ne_u32_e32 vcc_lo, 7, v6
	ds_load_u8 v7, v1 offset:384
	ds_load_b64 v[1:2], v1 offset:392
	v_add_co_ci_u32_e32 v4, vcc_lo, 0, v3, vcc_lo
	v_cmp_gt_u32_e32 vcc_lo, 6, v6
	s_delay_alu instid0(VALU_DEP_2)
	v_lshlrev_b32_e32 v5, 2, v4
	v_cndmask_b32_e64 v10, 0, 1, vcc_lo
	s_waitcnt lgkmcnt(1)
	v_and_b32_e32 v4, 0xff, v7
	v_and_b32_e32 v11, 1, v7
	ds_bpermute_b32 v8, v5, v4
	s_waitcnt lgkmcnt(1)
	ds_bpermute_b32 v4, v5, v1
	ds_bpermute_b32 v5, v5, v2
	v_cmp_eq_u32_e64 s3, 1, v11
	s_waitcnt lgkmcnt(2)
	v_and_b32_e32 v9, 1, v8
	s_waitcnt lgkmcnt(0)
	v_cmp_lt_i64_e64 s2, v[4:5], v[1:2]
	s_delay_alu instid0(VALU_DEP_2) | instskip(SKIP_2) | instid1(VALU_DEP_4)
	v_cmp_eq_u32_e32 vcc_lo, 1, v9
	v_lshlrev_b32_e32 v9, 1, v10
	v_cndmask_b32_e64 v7, v7, 1, vcc_lo
	s_and_b32 vcc_lo, vcc_lo, s2
	v_dual_cndmask_b32 v1, v1, v4 :: v_dual_cndmask_b32 v2, v2, v5
	s_delay_alu instid0(VALU_DEP_2) | instskip(SKIP_2) | instid1(VALU_DEP_4)
	v_cndmask_b32_e64 v7, v8, v7, s3
	v_add_lshl_u32 v8, v9, v3, 2
	v_cmp_gt_u32_e32 vcc_lo, 4, v6
	v_cndmask_b32_e64 v1, v4, v1, s3
	v_cndmask_b32_e64 v2, v5, v2, s3
	v_and_b32_e32 v9, 0xff, v7
	v_and_b32_e32 v10, 1, v7
	v_cndmask_b32_e64 v6, 0, 1, vcc_lo
	ds_bpermute_b32 v4, v8, v1
	ds_bpermute_b32 v5, v8, v2
	;; [unrolled: 1-line block ×3, first 2 shown]
	v_cmp_eq_u32_e64 s3, 1, v10
	s_waitcnt lgkmcnt(1)
	v_cmp_lt_i64_e64 s2, v[4:5], v[1:2]
	s_waitcnt lgkmcnt(0)
	v_and_b32_e32 v8, 1, v9
	s_delay_alu instid0(VALU_DEP_1) | instskip(SKIP_1) | instid1(VALU_DEP_4)
	v_cmp_eq_u32_e32 vcc_lo, 1, v8
	v_cndmask_b32_e64 v7, v7, 1, vcc_lo
	s_and_b32 vcc_lo, vcc_lo, s2
	v_dual_cndmask_b32 v1, v1, v4 :: v_dual_cndmask_b32 v2, v2, v5
	s_delay_alu instid0(VALU_DEP_2) | instskip(NEXT) | instid1(VALU_DEP_2)
	v_cndmask_b32_e64 v7, v9, v7, s3
	v_cndmask_b32_e64 v1, v4, v1, s3
	v_lshlrev_b32_e32 v6, 2, v6
	s_delay_alu instid0(VALU_DEP_4) | instskip(NEXT) | instid1(VALU_DEP_2)
	v_cndmask_b32_e64 v2, v5, v2, s3
	v_add_lshl_u32 v6, v6, v3, 2
	v_and_b32_e32 v3, 0xff, v7
	ds_bpermute_b32 v4, v6, v2
	ds_bpermute_b32 v5, v6, v3
	;; [unrolled: 1-line block ×3, first 2 shown]
	s_waitcnt lgkmcnt(1)
	v_and_b32_e32 v6, 1, v5
	s_waitcnt lgkmcnt(0)
	v_cmp_lt_i64_e32 vcc_lo, v[3:4], v[1:2]
	s_delay_alu instid0(VALU_DEP_2) | instskip(SKIP_1) | instid1(VALU_DEP_2)
	v_cmp_eq_u32_e64 s2, 1, v6
	v_and_b32_e32 v6, 1, v7
	v_cndmask_b32_e64 v7, v7, 1, s2
	s_and_b32 vcc_lo, s2, vcc_lo
	s_delay_alu instid0(VALU_DEP_2) | instskip(SKIP_1) | instid1(VALU_DEP_2)
	v_cmp_eq_u32_e64 s2, 1, v6
	v_dual_cndmask_b32 v1, v1, v3 :: v_dual_cndmask_b32 v2, v2, v4
	v_cndmask_b32_e64 v5, v5, v7, s2
	s_delay_alu instid0(VALU_DEP_2) | instskip(NEXT) | instid1(VALU_DEP_3)
	v_cndmask_b32_e64 v1, v3, v1, s2
	v_cndmask_b32_e64 v2, v4, v2, s2
	s_delay_alu instid0(VALU_DEP_3)
	v_and_b32_e32 v6, 0xff, v5
.LBB571_18:
	s_or_b32 exec_lo, exec_lo, s4
	s_branch .LBB571_85
.LBB571_19:
	s_mov_b32 s26, 0
                                        ; implicit-def: $vgpr3_vgpr4
                                        ; implicit-def: $vgpr5
	s_cbranch_execnz .LBB571_129
	s_branch .LBB571_200
.LBB571_20:
	s_mov_b32 s27, -1
.LBB571_21:
	s_mov_b32 s26, 0
                                        ; implicit-def: $vgpr3_vgpr4
                                        ; implicit-def: $vgpr5
	s_and_b32 vcc_lo, exec_lo, s27
	s_cbranch_vccz .LBB571_90
.LBB571_22:
	s_cmp_eq_u32 s25, 4
	s_cbranch_scc0 .LBB571_39
; %bb.23:
	s_mov_b32 s11, 0
	s_lshl_b32 s22, s10, 10
	s_mov_b32 s23, s11
	s_lshr_b64 s[28:29], s[14:15], 10
	s_lshl_b64 s[2:3], s[22:23], 1
	s_delay_alu instid0(SALU_CYCLE_1)
	s_add_u32 s6, s16, s2
	s_addc_u32 s7, s17, s3
	s_add_u32 s8, s18, s2
	s_addc_u32 s9, s19, s3
	;; [unrolled: 2-line block ×3, first 2 shown]
	s_cmp_lg_u64 s[28:29], s[10:11]
	s_cbranch_scc0 .LBB571_91
; %bb.24:
	v_mov_b32_e32 v9, 0x100
	v_lshlrev_b32_e32 v1, 1, v0
	global_load_u16 v2, v1, s[8:9] offset:512
	s_waitcnt lgkmcnt(1)
	global_load_u16 v3, v1, s[6:7] offset:512
	s_waitcnt lgkmcnt(0)
	s_clause 0x5
	global_load_u16 v4, v1, s[6:7]
	global_load_u16 v5, v1, s[8:9]
	global_load_u16 v6, v1, s[6:7] offset:1024
	global_load_u16 v7, v1, s[8:9] offset:1024
	;; [unrolled: 1-line block ×4, first 2 shown]
	s_waitcnt vmcnt(6)
	v_cmp_ne_u16_e32 vcc_lo, v3, v2
	s_waitcnt vmcnt(4)
	v_cmp_ne_u16_e64 s2, v4, v5
	s_waitcnt vmcnt(2)
	v_cmp_ne_u16_e64 s3, v6, v7
	v_cndmask_b32_e32 v2, 0x200, v9, vcc_lo
	s_waitcnt vmcnt(0)
	v_cmp_ne_u16_e64 s4, v1, v8
	s_delay_alu instid0(VALU_DEP_2) | instskip(SKIP_1) | instid1(SALU_CYCLE_1)
	v_cndmask_b32_e64 v2, v2, 0, s2
	s_or_b32 s2, s2, vcc_lo
	s_or_b32 vcc_lo, s2, s3
	s_delay_alu instid0(VALU_DEP_1) | instskip(SKIP_4) | instid1(VALU_DEP_3)
	v_cndmask_b32_e32 v1, 0x300, v2, vcc_lo
	s_or_b32 s3, vcc_lo, s4
	v_add_co_u32 v2, s2, s5, v0
	v_cndmask_b32_e64 v5, 0, 1, s3
	v_add_co_ci_u32_e64 v3, null, s23, 0, s2
	v_add_co_u32 v1, vcc_lo, v2, v1
	s_delay_alu instid0(VALU_DEP_3) | instskip(NEXT) | instid1(VALU_DEP_3)
	v_mov_b32_dpp v6, v5 quad_perm:[1,0,3,2] row_mask:0xf bank_mask:0xf
	v_add_co_ci_u32_e32 v2, vcc_lo, 0, v3, vcc_lo
	s_delay_alu instid0(VALU_DEP_3) | instskip(SKIP_1) | instid1(VALU_DEP_3)
	v_mov_b32_dpp v3, v1 quad_perm:[1,0,3,2] row_mask:0xf bank_mask:0xf
	s_mov_b32 s4, exec_lo
	v_and_b32_e32 v7, 1, v6
	s_delay_alu instid0(VALU_DEP_3) | instskip(NEXT) | instid1(VALU_DEP_2)
	v_mov_b32_dpp v4, v2 quad_perm:[1,0,3,2] row_mask:0xf bank_mask:0xf
	v_cmpx_eq_u32_e32 1, v7
; %bb.25:
	v_cndmask_b32_e64 v5, v6, 1, s3
	s_delay_alu instid0(VALU_DEP_3) | instskip(NEXT) | instid1(VALU_DEP_2)
	v_cmp_lt_i64_e32 vcc_lo, v[1:2], v[3:4]
	v_and_b32_e32 v6, 1, v5
	v_and_b32_e32 v5, 0xff, v5
	s_and_b32 vcc_lo, s3, vcc_lo
	s_and_not1_b32 s3, s3, exec_lo
	v_dual_cndmask_b32 v2, v4, v2 :: v_dual_cndmask_b32 v1, v3, v1
	v_cmp_eq_u32_e64 s2, 1, v6
	s_delay_alu instid0(VALU_DEP_1) | instskip(NEXT) | instid1(SALU_CYCLE_1)
	s_and_b32 s2, s2, exec_lo
	s_or_b32 s3, s3, s2
; %bb.26:
	s_or_b32 exec_lo, exec_lo, s4
	v_mov_b32_dpp v6, v5 quad_perm:[2,3,0,1] row_mask:0xf bank_mask:0xf
	v_mov_b32_dpp v3, v1 quad_perm:[2,3,0,1] row_mask:0xf bank_mask:0xf
	;; [unrolled: 1-line block ×3, first 2 shown]
	s_mov_b32 s4, exec_lo
	s_delay_alu instid0(VALU_DEP_3) | instskip(NEXT) | instid1(VALU_DEP_1)
	v_and_b32_e32 v7, 1, v6
	v_cmpx_eq_u32_e32 1, v7
; %bb.27:
	v_cndmask_b32_e64 v5, v6, 1, s3
	v_cmp_lt_i64_e32 vcc_lo, v[1:2], v[3:4]
	s_delay_alu instid0(VALU_DEP_2)
	v_and_b32_e32 v6, 1, v5
	v_and_b32_e32 v5, 0xff, v5
	s_and_b32 vcc_lo, s3, vcc_lo
	s_and_not1_b32 s3, s3, exec_lo
	v_dual_cndmask_b32 v2, v4, v2 :: v_dual_cndmask_b32 v1, v3, v1
	v_cmp_eq_u32_e64 s2, 1, v6
	s_delay_alu instid0(VALU_DEP_1) | instskip(NEXT) | instid1(SALU_CYCLE_1)
	s_and_b32 s2, s2, exec_lo
	s_or_b32 s3, s3, s2
; %bb.28:
	s_or_b32 exec_lo, exec_lo, s4
	v_mov_b32_dpp v6, v5 row_ror:4 row_mask:0xf bank_mask:0xf
	v_mov_b32_dpp v3, v1 row_ror:4 row_mask:0xf bank_mask:0xf
	;; [unrolled: 1-line block ×3, first 2 shown]
	s_mov_b32 s4, exec_lo
	s_delay_alu instid0(VALU_DEP_3) | instskip(NEXT) | instid1(VALU_DEP_1)
	v_and_b32_e32 v7, 1, v6
	v_cmpx_eq_u32_e32 1, v7
; %bb.29:
	v_cndmask_b32_e64 v5, v6, 1, s3
	v_cmp_lt_i64_e32 vcc_lo, v[1:2], v[3:4]
	s_delay_alu instid0(VALU_DEP_2)
	v_and_b32_e32 v6, 1, v5
	v_and_b32_e32 v5, 0xff, v5
	s_and_b32 vcc_lo, s3, vcc_lo
	s_and_not1_b32 s3, s3, exec_lo
	v_dual_cndmask_b32 v2, v4, v2 :: v_dual_cndmask_b32 v1, v3, v1
	v_cmp_eq_u32_e64 s2, 1, v6
	s_delay_alu instid0(VALU_DEP_1) | instskip(NEXT) | instid1(SALU_CYCLE_1)
	s_and_b32 s2, s2, exec_lo
	s_or_b32 s3, s3, s2
; %bb.30:
	s_or_b32 exec_lo, exec_lo, s4
	v_mov_b32_dpp v6, v5 row_ror:8 row_mask:0xf bank_mask:0xf
	v_mov_b32_dpp v3, v1 row_ror:8 row_mask:0xf bank_mask:0xf
	;; [unrolled: 1-line block ×3, first 2 shown]
	s_mov_b32 s4, exec_lo
	s_delay_alu instid0(VALU_DEP_3) | instskip(NEXT) | instid1(VALU_DEP_1)
	v_and_b32_e32 v7, 1, v6
	v_cmpx_eq_u32_e32 1, v7
; %bb.31:
	v_cndmask_b32_e64 v5, v6, 1, s3
	v_cmp_lt_i64_e32 vcc_lo, v[1:2], v[3:4]
	s_delay_alu instid0(VALU_DEP_2)
	v_and_b32_e32 v6, 1, v5
	v_and_b32_e32 v5, 0xff, v5
	s_and_b32 vcc_lo, s3, vcc_lo
	s_and_not1_b32 s3, s3, exec_lo
	v_dual_cndmask_b32 v2, v4, v2 :: v_dual_cndmask_b32 v1, v3, v1
	v_cmp_eq_u32_e64 s2, 1, v6
	s_delay_alu instid0(VALU_DEP_1) | instskip(NEXT) | instid1(SALU_CYCLE_1)
	s_and_b32 s2, s2, exec_lo
	s_or_b32 s3, s3, s2
; %bb.32:
	s_or_b32 exec_lo, exec_lo, s4
	ds_swizzle_b32 v6, v5 offset:swizzle(BROADCAST,32,15)
	ds_swizzle_b32 v3, v1 offset:swizzle(BROADCAST,32,15)
	;; [unrolled: 1-line block ×3, first 2 shown]
	s_mov_b32 s2, exec_lo
	s_waitcnt lgkmcnt(2)
	v_and_b32_e32 v7, 1, v6
	s_delay_alu instid0(VALU_DEP_1)
	v_cmpx_eq_u32_e32 1, v7
	s_cbranch_execz .LBB571_34
; %bb.33:
	s_waitcnt lgkmcnt(0)
	v_cmp_lt_i64_e32 vcc_lo, v[1:2], v[3:4]
	v_and_b32_e32 v5, 0xff, v6
	s_delay_alu instid0(VALU_DEP_1)
	v_cndmask_b32_e64 v5, v5, 1, s3
	s_and_b32 vcc_lo, s3, vcc_lo
	v_dual_cndmask_b32 v1, v3, v1 :: v_dual_cndmask_b32 v2, v4, v2
.LBB571_34:
	s_or_b32 exec_lo, exec_lo, s2
	s_waitcnt lgkmcnt(1)
	v_mov_b32_e32 v3, 0
	s_mov_b32 s2, exec_lo
	ds_bpermute_b32 v6, v3, v5 offset:124
	ds_bpermute_b32 v1, v3, v1 offset:124
	;; [unrolled: 1-line block ×3, first 2 shown]
	v_mbcnt_lo_u32_b32 v3, -1, 0
	s_delay_alu instid0(VALU_DEP_1)
	v_cmpx_eq_u32_e32 0, v3
	s_cbranch_execz .LBB571_36
; %bb.35:
	s_waitcnt lgkmcnt(3)
	v_lshrrev_b32_e32 v4, 1, v0
	s_delay_alu instid0(VALU_DEP_1)
	v_and_b32_e32 v4, 0x70, v4
	s_waitcnt lgkmcnt(2)
	ds_store_b8 v4, v6 offset:256
	s_waitcnt lgkmcnt(1)
	ds_store_b64 v4, v[1:2] offset:264
.LBB571_36:
	s_or_b32 exec_lo, exec_lo, s2
	s_delay_alu instid0(SALU_CYCLE_1)
	s_mov_b32 s4, exec_lo
	s_waitcnt lgkmcnt(0)
	s_barrier
	buffer_gl0_inv
	v_cmpx_gt_u32_e32 32, v0
	s_cbranch_execz .LBB571_38
; %bb.37:
	v_and_b32_e32 v6, 7, v3
	s_delay_alu instid0(VALU_DEP_1)
	v_lshlrev_b32_e32 v1, 4, v6
	v_cmp_ne_u32_e32 vcc_lo, 7, v6
	ds_load_u8 v7, v1 offset:256
	ds_load_b64 v[1:2], v1 offset:264
	v_add_co_ci_u32_e32 v4, vcc_lo, 0, v3, vcc_lo
	v_cmp_gt_u32_e32 vcc_lo, 6, v6
	s_delay_alu instid0(VALU_DEP_2)
	v_lshlrev_b32_e32 v5, 2, v4
	v_cndmask_b32_e64 v10, 0, 1, vcc_lo
	s_waitcnt lgkmcnt(1)
	v_and_b32_e32 v4, 0xff, v7
	v_and_b32_e32 v11, 1, v7
	ds_bpermute_b32 v8, v5, v4
	s_waitcnt lgkmcnt(1)
	ds_bpermute_b32 v4, v5, v1
	ds_bpermute_b32 v5, v5, v2
	v_cmp_eq_u32_e64 s3, 1, v11
	s_waitcnt lgkmcnt(2)
	v_and_b32_e32 v9, 1, v8
	s_waitcnt lgkmcnt(0)
	v_cmp_lt_i64_e64 s2, v[4:5], v[1:2]
	s_delay_alu instid0(VALU_DEP_2) | instskip(SKIP_2) | instid1(VALU_DEP_4)
	v_cmp_eq_u32_e32 vcc_lo, 1, v9
	v_lshlrev_b32_e32 v9, 1, v10
	v_cndmask_b32_e64 v7, v7, 1, vcc_lo
	s_and_b32 vcc_lo, vcc_lo, s2
	v_dual_cndmask_b32 v1, v1, v4 :: v_dual_cndmask_b32 v2, v2, v5
	s_delay_alu instid0(VALU_DEP_2) | instskip(SKIP_2) | instid1(VALU_DEP_4)
	v_cndmask_b32_e64 v7, v8, v7, s3
	v_add_lshl_u32 v8, v9, v3, 2
	v_cmp_gt_u32_e32 vcc_lo, 4, v6
	v_cndmask_b32_e64 v1, v4, v1, s3
	v_cndmask_b32_e64 v2, v5, v2, s3
	v_and_b32_e32 v9, 0xff, v7
	v_and_b32_e32 v10, 1, v7
	v_cndmask_b32_e64 v6, 0, 1, vcc_lo
	ds_bpermute_b32 v4, v8, v1
	ds_bpermute_b32 v5, v8, v2
	;; [unrolled: 1-line block ×3, first 2 shown]
	v_cmp_eq_u32_e64 s3, 1, v10
	s_waitcnt lgkmcnt(1)
	v_cmp_lt_i64_e64 s2, v[4:5], v[1:2]
	s_waitcnt lgkmcnt(0)
	v_and_b32_e32 v8, 1, v9
	s_delay_alu instid0(VALU_DEP_1) | instskip(SKIP_1) | instid1(VALU_DEP_4)
	v_cmp_eq_u32_e32 vcc_lo, 1, v8
	v_cndmask_b32_e64 v7, v7, 1, vcc_lo
	s_and_b32 vcc_lo, vcc_lo, s2
	v_dual_cndmask_b32 v1, v1, v4 :: v_dual_cndmask_b32 v2, v2, v5
	s_delay_alu instid0(VALU_DEP_2) | instskip(NEXT) | instid1(VALU_DEP_2)
	v_cndmask_b32_e64 v7, v9, v7, s3
	v_cndmask_b32_e64 v1, v4, v1, s3
	v_lshlrev_b32_e32 v6, 2, v6
	s_delay_alu instid0(VALU_DEP_4) | instskip(NEXT) | instid1(VALU_DEP_2)
	v_cndmask_b32_e64 v2, v5, v2, s3
	v_add_lshl_u32 v6, v6, v3, 2
	v_and_b32_e32 v3, 0xff, v7
	ds_bpermute_b32 v4, v6, v2
	ds_bpermute_b32 v5, v6, v3
	;; [unrolled: 1-line block ×3, first 2 shown]
	s_waitcnt lgkmcnt(1)
	v_and_b32_e32 v6, 1, v5
	s_waitcnt lgkmcnt(0)
	v_cmp_lt_i64_e32 vcc_lo, v[3:4], v[1:2]
	s_delay_alu instid0(VALU_DEP_2) | instskip(SKIP_1) | instid1(VALU_DEP_2)
	v_cmp_eq_u32_e64 s2, 1, v6
	v_and_b32_e32 v6, 1, v7
	v_cndmask_b32_e64 v7, v7, 1, s2
	s_and_b32 vcc_lo, s2, vcc_lo
	s_delay_alu instid0(VALU_DEP_2) | instskip(SKIP_1) | instid1(VALU_DEP_2)
	v_cmp_eq_u32_e64 s2, 1, v6
	v_dual_cndmask_b32 v1, v1, v3 :: v_dual_cndmask_b32 v2, v2, v4
	v_cndmask_b32_e64 v5, v5, v7, s2
	s_delay_alu instid0(VALU_DEP_2) | instskip(NEXT) | instid1(VALU_DEP_3)
	v_cndmask_b32_e64 v1, v3, v1, s2
	v_cndmask_b32_e64 v2, v4, v2, s2
	s_delay_alu instid0(VALU_DEP_3)
	v_and_b32_e32 v6, 0xff, v5
.LBB571_38:
	s_or_b32 exec_lo, exec_lo, s4
	s_branch .LBB571_124
.LBB571_39:
                                        ; implicit-def: $vgpr3_vgpr4
                                        ; implicit-def: $vgpr5
	s_branch .LBB571_200
.LBB571_40:
                                        ; implicit-def: $vgpr1_vgpr2
                                        ; implicit-def: $vgpr6
	s_cbranch_execz .LBB571_85
; %bb.41:
	v_mov_b32_e32 v9, 0
	v_dual_mov_b32 v10, 0 :: v_dual_mov_b32 v21, 0
	s_delay_alu instid0(VALU_DEP_2) | instskip(SKIP_2) | instid1(VALU_DEP_3)
	v_mov_b32_e32 v1, v9
	v_mov_b32_e32 v17, 0
	s_sub_i32 s29, s14, s6
	v_mov_b32_e32 v2, v10
	s_mov_b32 s2, exec_lo
	v_cmpx_gt_u32_e64 s29, v0
	s_cbranch_execz .LBB571_43
; %bb.42:
	v_lshlrev_b32_e32 v1, 1, v0
	s_clause 0x1
	global_load_u16 v3, v1, s[8:9]
	global_load_u16 v4, v1, s[22:23]
	v_add_co_u32 v1, s3, s26, v0
	s_delay_alu instid0(VALU_DEP_1)
	v_add_co_ci_u32_e64 v2, null, s28, 0, s3
	s_waitcnt vmcnt(0)
	v_cmp_ne_u16_e32 vcc_lo, v3, v4
	v_cndmask_b32_e64 v17, 0, 1, vcc_lo
.LBB571_43:
	s_or_b32 exec_lo, exec_lo, s2
	v_or_b32_e32 v3, 0x100, v0
	s_delay_alu instid0(VALU_DEP_1) | instskip(NEXT) | instid1(VALU_DEP_1)
	v_cmp_gt_u32_e64 s7, s29, v3
	s_and_saveexec_b32 s2, s7
	s_cbranch_execz .LBB571_45
; %bb.44:
	v_lshlrev_b32_e32 v4, 1, v0
	v_add_co_u32 v9, s3, s26, v3
	s_delay_alu instid0(VALU_DEP_1)
	v_add_co_ci_u32_e64 v10, null, s28, 0, s3
	s_clause 0x1
	global_load_u16 v5, v4, s[8:9] offset:512
	global_load_u16 v4, v4, s[22:23] offset:512
	s_waitcnt vmcnt(0)
	v_cmp_ne_u16_e32 vcc_lo, v5, v4
	v_cndmask_b32_e64 v21, 0, 1, vcc_lo
.LBB571_45:
	s_or_b32 exec_lo, exec_lo, s2
	v_dual_mov_b32 v7, 0 :: v_dual_mov_b32 v20, 0
	v_mov_b32_e32 v8, 0
	v_or_b32_e32 v3, 0x200, v0
	v_mov_b32_e32 v24, 0
	s_delay_alu instid0(VALU_DEP_3) | instskip(NEXT) | instid1(VALU_DEP_3)
	v_dual_mov_b32 v16, v8 :: v_dual_mov_b32 v15, v7
	v_cmp_gt_u32_e64 s6, s29, v3
	s_delay_alu instid0(VALU_DEP_1)
	s_and_saveexec_b32 s2, s6
	s_cbranch_execz .LBB571_47
; %bb.46:
	v_lshlrev_b32_e32 v4, 1, v0
	v_add_co_u32 v15, s3, s26, v3
	s_delay_alu instid0(VALU_DEP_1)
	v_add_co_ci_u32_e64 v16, null, s28, 0, s3
	s_clause 0x1
	global_load_u16 v5, v4, s[8:9] offset:1024
	global_load_u16 v4, v4, s[22:23] offset:1024
	s_waitcnt vmcnt(0)
	v_cmp_ne_u16_e32 vcc_lo, v5, v4
	v_cndmask_b32_e64 v24, 0, 1, vcc_lo
.LBB571_47:
	s_or_b32 exec_lo, exec_lo, s2
	v_or_b32_e32 v3, 0x300, v0
	s_delay_alu instid0(VALU_DEP_1) | instskip(NEXT) | instid1(VALU_DEP_1)
	v_cmp_gt_u32_e64 s5, s29, v3
	s_and_saveexec_b32 s2, s5
	s_cbranch_execz .LBB571_49
; %bb.48:
	v_lshlrev_b32_e32 v4, 1, v0
	v_add_co_u32 v7, s3, s26, v3
	s_delay_alu instid0(VALU_DEP_1)
	v_add_co_ci_u32_e64 v8, null, s28, 0, s3
	s_clause 0x1
	global_load_u16 v5, v4, s[8:9] offset:1536
	global_load_u16 v4, v4, s[22:23] offset:1536
	s_waitcnt vmcnt(0)
	v_cmp_ne_u16_e32 vcc_lo, v5, v4
	v_cndmask_b32_e64 v20, 0, 1, vcc_lo
.LBB571_49:
	s_or_b32 exec_lo, exec_lo, s2
	v_mov_b32_e32 v5, 0
	v_dual_mov_b32 v6, 0 :: v_dual_mov_b32 v19, 0
	v_or_b32_e32 v3, 0x400, v0
	s_delay_alu instid0(VALU_DEP_2) | instskip(NEXT) | instid1(VALU_DEP_4)
	v_dual_mov_b32 v23, 0 :: v_dual_mov_b32 v14, v6
	v_mov_b32_e32 v13, v5
	s_delay_alu instid0(VALU_DEP_3) | instskip(NEXT) | instid1(VALU_DEP_1)
	v_cmp_gt_u32_e64 s4, s29, v3
	s_and_saveexec_b32 s2, s4
	s_cbranch_execz .LBB571_51
; %bb.50:
	v_lshlrev_b32_e32 v4, 1, v0
	v_add_co_u32 v13, s3, s26, v3
	s_delay_alu instid0(VALU_DEP_1)
	v_add_co_ci_u32_e64 v14, null, s28, 0, s3
	s_clause 0x1
	global_load_u16 v11, v4, s[8:9] offset:2048
	global_load_u16 v4, v4, s[22:23] offset:2048
	s_waitcnt vmcnt(0)
	v_cmp_ne_u16_e32 vcc_lo, v11, v4
	v_cndmask_b32_e64 v23, 0, 1, vcc_lo
.LBB571_51:
	s_or_b32 exec_lo, exec_lo, s2
	v_or_b32_e32 v3, 0x500, v0
	s_delay_alu instid0(VALU_DEP_1) | instskip(NEXT) | instid1(VALU_DEP_1)
	v_cmp_gt_u32_e64 s3, s29, v3
	s_and_saveexec_b32 s2, s3
	s_cbranch_execz .LBB571_53
; %bb.52:
	v_lshlrev_b32_e32 v4, 1, v0
	v_add_co_u32 v5, s30, s26, v3
	s_delay_alu instid0(VALU_DEP_1)
	v_add_co_ci_u32_e64 v6, null, s28, 0, s30
	s_clause 0x1
	global_load_u16 v11, v4, s[8:9] offset:2560
	global_load_u16 v4, v4, s[22:23] offset:2560
	s_waitcnt vmcnt(0)
	v_cmp_ne_u16_e32 vcc_lo, v11, v4
	v_cndmask_b32_e64 v19, 0, 1, vcc_lo
.LBB571_53:
	s_or_b32 exec_lo, exec_lo, s2
	v_dual_mov_b32 v3, 0 :: v_dual_mov_b32 v18, 0
	v_mov_b32_e32 v4, 0
	v_or_b32_e32 v25, 0x600, v0
	v_mov_b32_e32 v22, 0
	s_delay_alu instid0(VALU_DEP_3) | instskip(NEXT) | instid1(VALU_DEP_3)
	v_dual_mov_b32 v12, v4 :: v_dual_mov_b32 v11, v3
	v_cmp_gt_u32_e64 s2, s29, v25
	s_delay_alu instid0(VALU_DEP_1)
	s_and_saveexec_b32 s30, s2
	s_cbranch_execz .LBB571_55
; %bb.54:
	v_lshlrev_b32_e32 v11, 1, v0
	s_clause 0x1
	global_load_u16 v22, v11, s[8:9] offset:3072
	global_load_u16 v26, v11, s[22:23] offset:3072
	v_add_co_u32 v11, s31, s26, v25
	s_delay_alu instid0(VALU_DEP_1)
	v_add_co_ci_u32_e64 v12, null, s28, 0, s31
	s_waitcnt vmcnt(0)
	v_cmp_ne_u16_e32 vcc_lo, v22, v26
	v_cndmask_b32_e64 v22, 0, 1, vcc_lo
.LBB571_55:
	s_or_b32 exec_lo, exec_lo, s30
	v_or_b32_e32 v25, 0x700, v0
	s_delay_alu instid0(VALU_DEP_1)
	v_cmp_gt_u32_e32 vcc_lo, s29, v25
	s_and_saveexec_b32 s30, vcc_lo
	s_cbranch_execnz .LBB571_232
; %bb.56:
	s_or_b32 exec_lo, exec_lo, s30
	s_and_saveexec_b32 s9, s7
	s_cbranch_execnz .LBB571_233
.LBB571_57:
	s_or_b32 exec_lo, exec_lo, s9
	s_and_saveexec_b32 s8, s6
	s_cbranch_execnz .LBB571_234
.LBB571_58:
	s_or_b32 exec_lo, exec_lo, s8
	s_and_saveexec_b32 s7, s5
	s_cbranch_execnz .LBB571_235
.LBB571_59:
	s_or_b32 exec_lo, exec_lo, s7
	s_and_saveexec_b32 s6, s4
	s_cbranch_execnz .LBB571_236
.LBB571_60:
	s_or_b32 exec_lo, exec_lo, s6
	s_and_saveexec_b32 s5, s3
	s_cbranch_execnz .LBB571_237
.LBB571_61:
	s_or_b32 exec_lo, exec_lo, s5
	s_and_saveexec_b32 s4, s2
	s_cbranch_execnz .LBB571_238
.LBB571_62:
	s_or_b32 exec_lo, exec_lo, s4
	s_and_saveexec_b32 s3, vcc_lo
.LBB571_63:
	v_and_b32_e32 v5, 1, v18
	v_cmp_lt_i64_e32 vcc_lo, v[3:4], v[1:2]
	s_delay_alu instid0(VALU_DEP_2) | instskip(NEXT) | instid1(VALU_DEP_1)
	v_cmp_eq_u32_e64 s2, 1, v5
	s_and_b32 vcc_lo, s2, vcc_lo
	v_cndmask_b32_e64 v6, v17, 1, s2
	v_dual_cndmask_b32 v2, v2, v4 :: v_dual_and_b32 v5, 1, v17
	v_cndmask_b32_e32 v1, v1, v3, vcc_lo
	s_delay_alu instid0(VALU_DEP_2) | instskip(NEXT) | instid1(VALU_DEP_3)
	v_cmp_eq_u32_e32 vcc_lo, 1, v5
	v_cndmask_b32_e32 v2, v4, v2, vcc_lo
	v_cndmask_b32_e32 v17, v18, v6, vcc_lo
	s_delay_alu instid0(VALU_DEP_4)
	v_cndmask_b32_e32 v1, v3, v1, vcc_lo
.LBB571_64:
	s_or_b32 exec_lo, exec_lo, s3
	v_mbcnt_lo_u32_b32 v5, -1, 0
	v_and_b32_e32 v7, 0xe0, v0
	s_min_u32 s3, s29, 0x100
	v_and_b32_e32 v6, 0xffff, v17
	s_delay_alu instid0(VALU_DEP_3) | instskip(NEXT) | instid1(VALU_DEP_3)
	v_cmp_ne_u32_e32 vcc_lo, 31, v5
	v_sub_nc_u32_e64 v8, s3, v7 clamp
	v_add_nc_u32_e32 v7, 1, v5
	v_add_co_ci_u32_e32 v3, vcc_lo, 0, v5, vcc_lo
	s_delay_alu instid0(VALU_DEP_2) | instskip(NEXT) | instid1(VALU_DEP_2)
	v_cmp_lt_u32_e32 vcc_lo, v7, v8
	v_dual_mov_b32 v7, v6 :: v_dual_lshlrev_b32 v4, 2, v3
	ds_bpermute_b32 v9, v4, v6
	ds_bpermute_b32 v3, v4, v1
	;; [unrolled: 1-line block ×3, first 2 shown]
	s_and_saveexec_b32 s2, vcc_lo
	s_delay_alu instid0(SALU_CYCLE_1)
	s_xor_b32 s4, exec_lo, s2
	s_cbranch_execz .LBB571_66
; %bb.65:
	s_waitcnt lgkmcnt(2)
	v_and_b32_e32 v7, 1, v9
	s_waitcnt lgkmcnt(0)
	v_cmp_lt_i64_e32 vcc_lo, v[3:4], v[1:2]
	s_delay_alu instid0(VALU_DEP_2) | instskip(SKIP_1) | instid1(VALU_DEP_2)
	v_cmp_eq_u32_e64 s2, 1, v7
	v_and_b32_e32 v7, 1, v17
	v_cndmask_b32_e64 v6, v6, 1, s2
	s_and_b32 vcc_lo, s2, vcc_lo
	s_delay_alu instid0(VALU_DEP_2) | instskip(SKIP_1) | instid1(VALU_DEP_2)
	v_cmp_eq_u32_e64 s2, 1, v7
	v_dual_cndmask_b32 v2, v2, v4 :: v_dual_cndmask_b32 v1, v1, v3
	v_cndmask_b32_e64 v7, v9, v6, s2
	s_delay_alu instid0(VALU_DEP_2) | instskip(NEXT) | instid1(VALU_DEP_3)
	v_cndmask_b32_e64 v2, v4, v2, s2
	v_cndmask_b32_e64 v1, v3, v1, s2
	s_delay_alu instid0(VALU_DEP_3)
	v_and_b32_e32 v6, 0xff, v7
.LBB571_66:
	s_or_b32 exec_lo, exec_lo, s4
	v_cmp_gt_u32_e32 vcc_lo, 30, v5
	v_add_nc_u32_e32 v10, 2, v5
	s_mov_b32 s4, exec_lo
	s_waitcnt lgkmcnt(1)
	v_cndmask_b32_e64 v3, 0, 1, vcc_lo
	s_delay_alu instid0(VALU_DEP_1) | instskip(SKIP_1) | instid1(VALU_DEP_1)
	v_lshlrev_b32_e32 v3, 1, v3
	s_waitcnt lgkmcnt(0)
	v_add_lshl_u32 v4, v3, v5, 2
	ds_bpermute_b32 v9, v4, v6
	ds_bpermute_b32 v3, v4, v1
	ds_bpermute_b32 v4, v4, v2
	v_cmpx_lt_u32_e64 v10, v8
	s_cbranch_execz .LBB571_68
; %bb.67:
	s_waitcnt lgkmcnt(2)
	v_and_b32_e32 v6, 1, v9
	s_waitcnt lgkmcnt(0)
	v_cmp_lt_i64_e32 vcc_lo, v[3:4], v[1:2]
	s_delay_alu instid0(VALU_DEP_2) | instskip(SKIP_1) | instid1(VALU_DEP_2)
	v_cmp_eq_u32_e64 s2, 1, v6
	v_and_b32_e32 v6, 1, v7
	v_cndmask_b32_e64 v7, v7, 1, s2
	s_and_b32 vcc_lo, s2, vcc_lo
	s_delay_alu instid0(VALU_DEP_2) | instskip(SKIP_1) | instid1(VALU_DEP_2)
	v_cmp_eq_u32_e64 s2, 1, v6
	v_dual_cndmask_b32 v1, v1, v3 :: v_dual_cndmask_b32 v2, v2, v4
	v_cndmask_b32_e64 v7, v9, v7, s2
	s_delay_alu instid0(VALU_DEP_2) | instskip(NEXT) | instid1(VALU_DEP_3)
	v_cndmask_b32_e64 v1, v3, v1, s2
	v_cndmask_b32_e64 v2, v4, v2, s2
	s_delay_alu instid0(VALU_DEP_3)
	v_and_b32_e32 v6, 0xff, v7
.LBB571_68:
	s_or_b32 exec_lo, exec_lo, s4
	v_cmp_gt_u32_e32 vcc_lo, 28, v5
	v_add_nc_u32_e32 v10, 4, v5
	s_mov_b32 s4, exec_lo
	s_waitcnt lgkmcnt(1)
	v_cndmask_b32_e64 v3, 0, 1, vcc_lo
	s_delay_alu instid0(VALU_DEP_1) | instskip(SKIP_1) | instid1(VALU_DEP_1)
	v_lshlrev_b32_e32 v3, 2, v3
	s_waitcnt lgkmcnt(0)
	v_add_lshl_u32 v4, v3, v5, 2
	ds_bpermute_b32 v9, v4, v6
	ds_bpermute_b32 v3, v4, v1
	ds_bpermute_b32 v4, v4, v2
	v_cmpx_lt_u32_e64 v10, v8
	;; [unrolled: 35-line block ×4, first 2 shown]
	s_cbranch_execz .LBB571_74
; %bb.73:
	s_waitcnt lgkmcnt(2)
	v_and_b32_e32 v6, 1, v9
	s_waitcnt lgkmcnt(0)
	v_cmp_lt_i64_e32 vcc_lo, v[3:4], v[1:2]
	s_delay_alu instid0(VALU_DEP_2) | instskip(SKIP_1) | instid1(VALU_DEP_2)
	v_cmp_eq_u32_e64 s2, 1, v6
	v_and_b32_e32 v6, 1, v7
	v_cndmask_b32_e64 v7, v7, 1, s2
	s_and_b32 vcc_lo, s2, vcc_lo
	s_delay_alu instid0(VALU_DEP_2) | instskip(SKIP_1) | instid1(VALU_DEP_2)
	v_cmp_eq_u32_e64 s2, 1, v6
	v_dual_cndmask_b32 v1, v1, v3 :: v_dual_cndmask_b32 v2, v2, v4
	v_cndmask_b32_e64 v7, v9, v7, s2
	s_delay_alu instid0(VALU_DEP_2) | instskip(NEXT) | instid1(VALU_DEP_3)
	v_cndmask_b32_e64 v1, v3, v1, s2
	v_cndmask_b32_e64 v2, v4, v2, s2
	s_delay_alu instid0(VALU_DEP_3)
	v_and_b32_e32 v6, 0xff, v7
.LBB571_74:
	s_or_b32 exec_lo, exec_lo, s4
	s_delay_alu instid0(SALU_CYCLE_1)
	s_mov_b32 s2, exec_lo
	v_cmpx_eq_u32_e32 0, v5
	s_cbranch_execz .LBB571_76
; %bb.75:
	s_waitcnt lgkmcnt(1)
	v_lshrrev_b32_e32 v3, 1, v0
	s_delay_alu instid0(VALU_DEP_1)
	v_and_b32_e32 v3, 0x70, v3
	ds_store_b8 v3, v7 offset:512
	ds_store_b64 v3, v[1:2] offset:520
.LBB571_76:
	s_or_b32 exec_lo, exec_lo, s2
	s_delay_alu instid0(SALU_CYCLE_1)
	s_mov_b32 s4, exec_lo
	s_waitcnt lgkmcnt(0)
	s_barrier
	buffer_gl0_inv
	v_cmpx_gt_u32_e32 8, v0
	s_cbranch_execz .LBB571_84
; %bb.77:
	v_lshlrev_b32_e32 v1, 4, v5
	v_and_b32_e32 v8, 7, v5
	s_add_i32 s3, s3, 31
	s_mov_b32 s5, exec_lo
	s_lshr_b32 s3, s3, 5
	ds_load_u8 v7, v1 offset:512
	ds_load_b64 v[1:2], v1 offset:520
	v_cmp_ne_u32_e32 vcc_lo, 7, v8
	v_add_nc_u32_e32 v10, 1, v8
	v_add_co_ci_u32_e32 v3, vcc_lo, 0, v5, vcc_lo
	s_delay_alu instid0(VALU_DEP_1)
	v_lshlrev_b32_e32 v4, 2, v3
	s_waitcnt lgkmcnt(1)
	v_and_b32_e32 v6, 0xff, v7
	s_waitcnt lgkmcnt(0)
	ds_bpermute_b32 v3, v4, v1
	ds_bpermute_b32 v9, v4, v6
	;; [unrolled: 1-line block ×3, first 2 shown]
	v_cmpx_gt_u32_e64 s3, v10
	s_cbranch_execz .LBB571_79
; %bb.78:
	s_waitcnt lgkmcnt(1)
	v_and_b32_e32 v6, 1, v9
	s_waitcnt lgkmcnt(0)
	v_cmp_lt_i64_e32 vcc_lo, v[3:4], v[1:2]
	s_delay_alu instid0(VALU_DEP_2) | instskip(SKIP_1) | instid1(VALU_DEP_2)
	v_cmp_eq_u32_e64 s2, 1, v6
	v_and_b32_e32 v6, 1, v7
	v_cndmask_b32_e64 v7, v7, 1, s2
	s_and_b32 vcc_lo, s2, vcc_lo
	s_delay_alu instid0(VALU_DEP_2) | instskip(SKIP_1) | instid1(VALU_DEP_2)
	v_cmp_eq_u32_e64 s2, 1, v6
	v_dual_cndmask_b32 v1, v1, v3 :: v_dual_cndmask_b32 v2, v2, v4
	v_cndmask_b32_e64 v7, v9, v7, s2
	s_delay_alu instid0(VALU_DEP_2) | instskip(NEXT) | instid1(VALU_DEP_3)
	v_cndmask_b32_e64 v1, v3, v1, s2
	v_cndmask_b32_e64 v2, v4, v2, s2
	s_delay_alu instid0(VALU_DEP_3)
	v_and_b32_e32 v6, 0xff, v7
.LBB571_79:
	s_or_b32 exec_lo, exec_lo, s5
	v_cmp_gt_u32_e32 vcc_lo, 6, v8
	v_add_nc_u32_e32 v10, 2, v8
	s_mov_b32 s5, exec_lo
	s_waitcnt lgkmcnt(2)
	v_cndmask_b32_e64 v3, 0, 1, vcc_lo
	s_delay_alu instid0(VALU_DEP_1) | instskip(SKIP_1) | instid1(VALU_DEP_1)
	v_lshlrev_b32_e32 v3, 1, v3
	s_waitcnt lgkmcnt(0)
	v_add_lshl_u32 v4, v3, v5, 2
	ds_bpermute_b32 v9, v4, v6
	ds_bpermute_b32 v3, v4, v1
	;; [unrolled: 1-line block ×3, first 2 shown]
	v_cmpx_gt_u32_e64 s3, v10
	s_cbranch_execz .LBB571_81
; %bb.80:
	s_waitcnt lgkmcnt(2)
	v_and_b32_e32 v6, 1, v9
	s_waitcnt lgkmcnt(0)
	v_cmp_lt_i64_e32 vcc_lo, v[3:4], v[1:2]
	s_delay_alu instid0(VALU_DEP_2) | instskip(SKIP_1) | instid1(VALU_DEP_2)
	v_cmp_eq_u32_e64 s2, 1, v6
	v_and_b32_e32 v6, 1, v7
	v_cndmask_b32_e64 v7, v7, 1, s2
	s_and_b32 vcc_lo, s2, vcc_lo
	s_delay_alu instid0(VALU_DEP_2) | instskip(SKIP_1) | instid1(VALU_DEP_2)
	v_cmp_eq_u32_e64 s2, 1, v6
	v_dual_cndmask_b32 v1, v1, v3 :: v_dual_cndmask_b32 v2, v2, v4
	v_cndmask_b32_e64 v7, v9, v7, s2
	s_delay_alu instid0(VALU_DEP_2) | instskip(NEXT) | instid1(VALU_DEP_3)
	v_cndmask_b32_e64 v1, v3, v1, s2
	v_cndmask_b32_e64 v2, v4, v2, s2
	s_delay_alu instid0(VALU_DEP_3)
	v_and_b32_e32 v6, 0xff, v7
.LBB571_81:
	s_or_b32 exec_lo, exec_lo, s5
	v_cmp_gt_u32_e32 vcc_lo, 4, v8
	v_add_nc_u32_e32 v8, 4, v8
	s_waitcnt lgkmcnt(1)
	v_cndmask_b32_e64 v3, 0, 1, vcc_lo
	s_delay_alu instid0(VALU_DEP_2) | instskip(NEXT) | instid1(VALU_DEP_2)
	v_cmp_gt_u32_e32 vcc_lo, s3, v8
	v_lshlrev_b32_e32 v3, 2, v3
	s_waitcnt lgkmcnt(0)
	s_delay_alu instid0(VALU_DEP_1)
	v_add_lshl_u32 v4, v3, v5, 2
	ds_bpermute_b32 v5, v4, v6
	ds_bpermute_b32 v3, v4, v1
	;; [unrolled: 1-line block ×3, first 2 shown]
	s_and_saveexec_b32 s3, vcc_lo
	s_cbranch_execz .LBB571_83
; %bb.82:
	s_waitcnt lgkmcnt(2)
	v_and_b32_e32 v6, 1, v5
	s_waitcnt lgkmcnt(0)
	v_cmp_lt_i64_e32 vcc_lo, v[3:4], v[1:2]
	s_delay_alu instid0(VALU_DEP_2) | instskip(SKIP_1) | instid1(VALU_DEP_2)
	v_cmp_eq_u32_e64 s2, 1, v6
	v_and_b32_e32 v6, 1, v7
	v_cndmask_b32_e64 v7, v7, 1, s2
	s_and_b32 vcc_lo, s2, vcc_lo
	s_delay_alu instid0(VALU_DEP_2) | instskip(SKIP_1) | instid1(VALU_DEP_2)
	v_cmp_eq_u32_e64 s2, 1, v6
	v_dual_cndmask_b32 v1, v1, v3 :: v_dual_cndmask_b32 v2, v2, v4
	v_cndmask_b32_e64 v5, v5, v7, s2
	s_delay_alu instid0(VALU_DEP_2) | instskip(NEXT) | instid1(VALU_DEP_3)
	v_cndmask_b32_e64 v1, v3, v1, s2
	v_cndmask_b32_e64 v2, v4, v2, s2
	s_delay_alu instid0(VALU_DEP_3)
	v_and_b32_e32 v6, 0xff, v5
.LBB571_83:
	s_or_b32 exec_lo, exec_lo, s3
.LBB571_84:
	s_delay_alu instid0(SALU_CYCLE_1)
	s_or_b32 exec_lo, exec_lo, s4
.LBB571_85:
	s_mov_b32 s26, 0
                                        ; implicit-def: $vgpr3_vgpr4
                                        ; implicit-def: $vgpr5
	s_mov_b32 s2, exec_lo
	v_cmpx_eq_u32_e32 0, v0
	s_xor_b32 s4, exec_lo, s2
	s_cbranch_execz .LBB571_89
; %bb.86:
	s_waitcnt lgkmcnt(0)
	v_dual_mov_b32 v3, s20 :: v_dual_mov_b32 v4, s21
	v_mov_b32_e32 v5, s24
	s_cmp_eq_u64 s[14:15], 0
	s_cbranch_scc1 .LBB571_88
; %bb.87:
	v_and_b32_e32 v3, 1, v6
	v_cmp_gt_i64_e32 vcc_lo, s[20:21], v[1:2]
	s_bitcmp1_b32 s24, 0
	s_cselect_b32 s3, -1, 0
	s_delay_alu instid0(VALU_DEP_2) | instskip(NEXT) | instid1(VALU_DEP_1)
	v_cmp_eq_u32_e64 s2, 1, v3
	s_and_b32 vcc_lo, s2, vcc_lo
	v_cndmask_b32_e64 v3, s24, 1, s2
	v_cndmask_b32_e32 v7, s20, v1, vcc_lo
	v_cndmask_b32_e32 v4, s21, v2, vcc_lo
	s_delay_alu instid0(VALU_DEP_3) | instskip(NEXT) | instid1(VALU_DEP_3)
	v_cndmask_b32_e64 v5, v6, v3, s3
	v_cndmask_b32_e64 v3, v1, v7, s3
	s_delay_alu instid0(VALU_DEP_3)
	v_cndmask_b32_e64 v4, v2, v4, s3
.LBB571_88:
	s_mov_b32 s26, exec_lo
.LBB571_89:
	s_or_b32 exec_lo, exec_lo, s4
	s_delay_alu instid0(SALU_CYCLE_1)
	s_and_b32 vcc_lo, exec_lo, s27
	s_cbranch_vccnz .LBB571_22
.LBB571_90:
	s_branch .LBB571_200
.LBB571_91:
                                        ; implicit-def: $vgpr1_vgpr2
                                        ; implicit-def: $vgpr6
	s_cbranch_execz .LBB571_124
; %bb.92:
	s_waitcnt lgkmcnt(2)
	v_mov_b32_e32 v5, 0
	v_dual_mov_b32 v6, 0 :: v_dual_mov_b32 v11, 0
	s_delay_alu instid0(VALU_DEP_2) | instskip(SKIP_2) | instid1(VALU_DEP_3)
	v_mov_b32_e32 v1, v5
	v_mov_b32_e32 v9, 0
	s_sub_i32 s22, s14, s22
	v_mov_b32_e32 v2, v6
	s_mov_b32 s2, exec_lo
	v_cmpx_gt_u32_e64 s22, v0
	s_cbranch_execz .LBB571_94
; %bb.93:
	v_lshlrev_b32_e32 v1, 1, v0
	s_waitcnt lgkmcnt(1)
	global_load_u16 v3, v1, s[6:7]
	s_waitcnt lgkmcnt(0)
	global_load_u16 v4, v1, s[8:9]
	v_add_co_u32 v1, s3, s5, v0
	s_delay_alu instid0(VALU_DEP_1)
	v_add_co_ci_u32_e64 v2, null, s23, 0, s3
	s_waitcnt vmcnt(0)
	v_cmp_ne_u16_e32 vcc_lo, v3, v4
	v_cndmask_b32_e64 v9, 0, 1, vcc_lo
.LBB571_94:
	s_or_b32 exec_lo, exec_lo, s2
	s_waitcnt lgkmcnt(1)
	v_or_b32_e32 v3, 0x100, v0
	s_delay_alu instid0(VALU_DEP_1) | instskip(NEXT) | instid1(VALU_DEP_1)
	v_cmp_gt_u32_e64 s3, s22, v3
	s_and_saveexec_b32 s2, s3
	s_cbranch_execz .LBB571_96
; %bb.95:
	s_waitcnt lgkmcnt(0)
	v_lshlrev_b32_e32 v4, 1, v0
	v_add_co_u32 v5, s4, s5, v3
	s_delay_alu instid0(VALU_DEP_1)
	v_add_co_ci_u32_e64 v6, null, s23, 0, s4
	s_clause 0x1
	global_load_u16 v7, v4, s[6:7] offset:512
	global_load_u16 v4, v4, s[8:9] offset:512
	s_waitcnt vmcnt(0)
	v_cmp_ne_u16_e32 vcc_lo, v7, v4
	v_cndmask_b32_e64 v11, 0, 1, vcc_lo
.LBB571_96:
	s_or_b32 exec_lo, exec_lo, s2
	s_waitcnt lgkmcnt(0)
	v_dual_mov_b32 v3, 0 :: v_dual_mov_b32 v10, 0
	v_mov_b32_e32 v4, 0
	v_or_b32_e32 v13, 0x200, v0
	v_mov_b32_e32 v12, 0
	s_delay_alu instid0(VALU_DEP_3) | instskip(NEXT) | instid1(VALU_DEP_3)
	v_dual_mov_b32 v8, v4 :: v_dual_mov_b32 v7, v3
	v_cmp_gt_u32_e64 s2, s22, v13
	s_delay_alu instid0(VALU_DEP_1)
	s_and_saveexec_b32 s4, s2
	s_cbranch_execz .LBB571_98
; %bb.97:
	v_lshlrev_b32_e32 v7, 1, v0
	s_clause 0x1
	global_load_u16 v12, v7, s[6:7] offset:1024
	global_load_u16 v14, v7, s[8:9] offset:1024
	v_add_co_u32 v7, s27, s5, v13
	s_delay_alu instid0(VALU_DEP_1)
	v_add_co_ci_u32_e64 v8, null, s23, 0, s27
	s_waitcnt vmcnt(0)
	v_cmp_ne_u16_e32 vcc_lo, v12, v14
	v_cndmask_b32_e64 v12, 0, 1, vcc_lo
.LBB571_98:
	s_or_b32 exec_lo, exec_lo, s4
	v_or_b32_e32 v13, 0x300, v0
	s_delay_alu instid0(VALU_DEP_1)
	v_cmp_gt_u32_e32 vcc_lo, s22, v13
	s_and_saveexec_b32 s27, vcc_lo
	s_cbranch_execnz .LBB571_239
; %bb.99:
	s_or_b32 exec_lo, exec_lo, s27
	s_and_saveexec_b32 s5, s3
	s_cbranch_execnz .LBB571_240
.LBB571_100:
	s_or_b32 exec_lo, exec_lo, s5
	s_and_saveexec_b32 s4, s2
	s_cbranch_execnz .LBB571_241
.LBB571_101:
	s_or_b32 exec_lo, exec_lo, s4
	s_and_saveexec_b32 s3, vcc_lo
.LBB571_102:
	v_and_b32_e32 v5, 1, v10
	v_cmp_lt_i64_e32 vcc_lo, v[3:4], v[1:2]
	s_delay_alu instid0(VALU_DEP_2) | instskip(NEXT) | instid1(VALU_DEP_1)
	v_cmp_eq_u32_e64 s2, 1, v5
	s_and_b32 vcc_lo, s2, vcc_lo
	v_cndmask_b32_e64 v6, v9, 1, s2
	v_dual_cndmask_b32 v2, v2, v4 :: v_dual_and_b32 v5, 1, v9
	v_cndmask_b32_e32 v1, v1, v3, vcc_lo
	s_delay_alu instid0(VALU_DEP_2) | instskip(NEXT) | instid1(VALU_DEP_3)
	v_cmp_eq_u32_e32 vcc_lo, 1, v5
	v_cndmask_b32_e32 v2, v4, v2, vcc_lo
	v_cndmask_b32_e32 v9, v10, v6, vcc_lo
	s_delay_alu instid0(VALU_DEP_4)
	v_cndmask_b32_e32 v1, v3, v1, vcc_lo
.LBB571_103:
	s_or_b32 exec_lo, exec_lo, s3
	v_mbcnt_lo_u32_b32 v5, -1, 0
	v_and_b32_e32 v7, 0xe0, v0
	s_min_u32 s3, s22, 0x100
	v_and_b32_e32 v6, 0xffff, v9
	s_delay_alu instid0(VALU_DEP_3) | instskip(NEXT) | instid1(VALU_DEP_3)
	v_cmp_ne_u32_e32 vcc_lo, 31, v5
	v_sub_nc_u32_e64 v8, s3, v7 clamp
	v_add_nc_u32_e32 v7, 1, v5
	v_add_co_ci_u32_e32 v3, vcc_lo, 0, v5, vcc_lo
	s_delay_alu instid0(VALU_DEP_2) | instskip(NEXT) | instid1(VALU_DEP_2)
	v_cmp_lt_u32_e32 vcc_lo, v7, v8
	v_dual_mov_b32 v7, v6 :: v_dual_lshlrev_b32 v4, 2, v3
	ds_bpermute_b32 v10, v4, v6
	ds_bpermute_b32 v3, v4, v1
	;; [unrolled: 1-line block ×3, first 2 shown]
	s_and_saveexec_b32 s2, vcc_lo
	s_delay_alu instid0(SALU_CYCLE_1)
	s_xor_b32 s4, exec_lo, s2
	s_cbranch_execz .LBB571_105
; %bb.104:
	s_waitcnt lgkmcnt(2)
	v_and_b32_e32 v7, 1, v10
	s_waitcnt lgkmcnt(0)
	v_cmp_lt_i64_e32 vcc_lo, v[3:4], v[1:2]
	s_delay_alu instid0(VALU_DEP_2) | instskip(SKIP_1) | instid1(VALU_DEP_2)
	v_cmp_eq_u32_e64 s2, 1, v7
	v_and_b32_e32 v7, 1, v9
	v_cndmask_b32_e64 v6, v6, 1, s2
	s_and_b32 vcc_lo, s2, vcc_lo
	s_delay_alu instid0(VALU_DEP_2) | instskip(SKIP_1) | instid1(VALU_DEP_2)
	v_cmp_eq_u32_e64 s2, 1, v7
	v_dual_cndmask_b32 v2, v2, v4 :: v_dual_cndmask_b32 v1, v1, v3
	v_cndmask_b32_e64 v7, v10, v6, s2
	s_delay_alu instid0(VALU_DEP_2) | instskip(NEXT) | instid1(VALU_DEP_3)
	v_cndmask_b32_e64 v2, v4, v2, s2
	v_cndmask_b32_e64 v1, v3, v1, s2
	s_delay_alu instid0(VALU_DEP_3)
	v_and_b32_e32 v6, 0xff, v7
.LBB571_105:
	s_or_b32 exec_lo, exec_lo, s4
	v_cmp_gt_u32_e32 vcc_lo, 30, v5
	s_waitcnt lgkmcnt(2)
	v_add_nc_u32_e32 v10, 2, v5
	s_mov_b32 s4, exec_lo
	s_waitcnt lgkmcnt(1)
	v_cndmask_b32_e64 v3, 0, 1, vcc_lo
	s_delay_alu instid0(VALU_DEP_1) | instskip(SKIP_1) | instid1(VALU_DEP_1)
	v_lshlrev_b32_e32 v3, 1, v3
	s_waitcnt lgkmcnt(0)
	v_add_lshl_u32 v4, v3, v5, 2
	ds_bpermute_b32 v9, v4, v6
	ds_bpermute_b32 v3, v4, v1
	ds_bpermute_b32 v4, v4, v2
	v_cmpx_lt_u32_e64 v10, v8
	s_cbranch_execz .LBB571_107
; %bb.106:
	s_waitcnt lgkmcnt(2)
	v_and_b32_e32 v6, 1, v9
	s_waitcnt lgkmcnt(0)
	v_cmp_lt_i64_e32 vcc_lo, v[3:4], v[1:2]
	s_delay_alu instid0(VALU_DEP_2) | instskip(SKIP_1) | instid1(VALU_DEP_2)
	v_cmp_eq_u32_e64 s2, 1, v6
	v_and_b32_e32 v6, 1, v7
	v_cndmask_b32_e64 v7, v7, 1, s2
	s_and_b32 vcc_lo, s2, vcc_lo
	s_delay_alu instid0(VALU_DEP_2) | instskip(SKIP_1) | instid1(VALU_DEP_2)
	v_cmp_eq_u32_e64 s2, 1, v6
	v_dual_cndmask_b32 v1, v1, v3 :: v_dual_cndmask_b32 v2, v2, v4
	v_cndmask_b32_e64 v7, v9, v7, s2
	s_delay_alu instid0(VALU_DEP_2) | instskip(NEXT) | instid1(VALU_DEP_3)
	v_cndmask_b32_e64 v1, v3, v1, s2
	v_cndmask_b32_e64 v2, v4, v2, s2
	s_delay_alu instid0(VALU_DEP_3)
	v_and_b32_e32 v6, 0xff, v7
.LBB571_107:
	s_or_b32 exec_lo, exec_lo, s4
	v_cmp_gt_u32_e32 vcc_lo, 28, v5
	v_add_nc_u32_e32 v10, 4, v5
	s_mov_b32 s4, exec_lo
	s_waitcnt lgkmcnt(1)
	v_cndmask_b32_e64 v3, 0, 1, vcc_lo
	s_delay_alu instid0(VALU_DEP_1) | instskip(SKIP_1) | instid1(VALU_DEP_1)
	v_lshlrev_b32_e32 v3, 2, v3
	s_waitcnt lgkmcnt(0)
	v_add_lshl_u32 v4, v3, v5, 2
	ds_bpermute_b32 v9, v4, v6
	ds_bpermute_b32 v3, v4, v1
	ds_bpermute_b32 v4, v4, v2
	v_cmpx_lt_u32_e64 v10, v8
	s_cbranch_execz .LBB571_109
; %bb.108:
	s_waitcnt lgkmcnt(2)
	v_and_b32_e32 v6, 1, v9
	s_waitcnt lgkmcnt(0)
	v_cmp_lt_i64_e32 vcc_lo, v[3:4], v[1:2]
	s_delay_alu instid0(VALU_DEP_2) | instskip(SKIP_1) | instid1(VALU_DEP_2)
	v_cmp_eq_u32_e64 s2, 1, v6
	v_and_b32_e32 v6, 1, v7
	v_cndmask_b32_e64 v7, v7, 1, s2
	s_and_b32 vcc_lo, s2, vcc_lo
	s_delay_alu instid0(VALU_DEP_2) | instskip(SKIP_1) | instid1(VALU_DEP_2)
	v_cmp_eq_u32_e64 s2, 1, v6
	v_dual_cndmask_b32 v1, v1, v3 :: v_dual_cndmask_b32 v2, v2, v4
	v_cndmask_b32_e64 v7, v9, v7, s2
	s_delay_alu instid0(VALU_DEP_2) | instskip(NEXT) | instid1(VALU_DEP_3)
	v_cndmask_b32_e64 v1, v3, v1, s2
	v_cndmask_b32_e64 v2, v4, v2, s2
	s_delay_alu instid0(VALU_DEP_3)
	v_and_b32_e32 v6, 0xff, v7
.LBB571_109:
	s_or_b32 exec_lo, exec_lo, s4
	v_cmp_gt_u32_e32 vcc_lo, 24, v5
	;; [unrolled: 35-line block ×3, first 2 shown]
	v_add_nc_u32_e32 v10, 16, v5
	s_mov_b32 s4, exec_lo
	s_waitcnt lgkmcnt(1)
	v_cndmask_b32_e64 v3, 0, 1, vcc_lo
	s_delay_alu instid0(VALU_DEP_1) | instskip(SKIP_1) | instid1(VALU_DEP_1)
	v_lshlrev_b32_e32 v3, 4, v3
	s_waitcnt lgkmcnt(0)
	v_add_lshl_u32 v4, v3, v5, 2
	ds_bpermute_b32 v9, v4, v6
	ds_bpermute_b32 v3, v4, v1
	;; [unrolled: 1-line block ×3, first 2 shown]
	v_cmpx_lt_u32_e64 v10, v8
	s_cbranch_execz .LBB571_113
; %bb.112:
	s_waitcnt lgkmcnt(2)
	v_and_b32_e32 v6, 1, v9
	s_waitcnt lgkmcnt(0)
	v_cmp_lt_i64_e32 vcc_lo, v[3:4], v[1:2]
	s_delay_alu instid0(VALU_DEP_2) | instskip(SKIP_1) | instid1(VALU_DEP_2)
	v_cmp_eq_u32_e64 s2, 1, v6
	v_and_b32_e32 v6, 1, v7
	v_cndmask_b32_e64 v7, v7, 1, s2
	s_and_b32 vcc_lo, s2, vcc_lo
	s_delay_alu instid0(VALU_DEP_2) | instskip(SKIP_1) | instid1(VALU_DEP_2)
	v_cmp_eq_u32_e64 s2, 1, v6
	v_dual_cndmask_b32 v1, v1, v3 :: v_dual_cndmask_b32 v2, v2, v4
	v_cndmask_b32_e64 v7, v9, v7, s2
	s_delay_alu instid0(VALU_DEP_2) | instskip(NEXT) | instid1(VALU_DEP_3)
	v_cndmask_b32_e64 v1, v3, v1, s2
	v_cndmask_b32_e64 v2, v4, v2, s2
	s_delay_alu instid0(VALU_DEP_3)
	v_and_b32_e32 v6, 0xff, v7
.LBB571_113:
	s_or_b32 exec_lo, exec_lo, s4
	s_delay_alu instid0(SALU_CYCLE_1)
	s_mov_b32 s2, exec_lo
	v_cmpx_eq_u32_e32 0, v5
	s_cbranch_execz .LBB571_115
; %bb.114:
	s_waitcnt lgkmcnt(1)
	v_lshrrev_b32_e32 v3, 1, v0
	s_delay_alu instid0(VALU_DEP_1)
	v_and_b32_e32 v3, 0x70, v3
	ds_store_b8 v3, v7 offset:512
	ds_store_b64 v3, v[1:2] offset:520
.LBB571_115:
	s_or_b32 exec_lo, exec_lo, s2
	s_delay_alu instid0(SALU_CYCLE_1)
	s_mov_b32 s4, exec_lo
	s_waitcnt lgkmcnt(0)
	s_barrier
	buffer_gl0_inv
	v_cmpx_gt_u32_e32 8, v0
	s_cbranch_execz .LBB571_123
; %bb.116:
	v_lshlrev_b32_e32 v1, 4, v5
	v_and_b32_e32 v8, 7, v5
	s_add_i32 s3, s3, 31
	s_mov_b32 s5, exec_lo
	s_lshr_b32 s3, s3, 5
	ds_load_u8 v7, v1 offset:512
	ds_load_b64 v[1:2], v1 offset:520
	v_cmp_ne_u32_e32 vcc_lo, 7, v8
	v_add_nc_u32_e32 v10, 1, v8
	v_add_co_ci_u32_e32 v3, vcc_lo, 0, v5, vcc_lo
	s_delay_alu instid0(VALU_DEP_1)
	v_lshlrev_b32_e32 v4, 2, v3
	s_waitcnt lgkmcnt(1)
	v_and_b32_e32 v6, 0xff, v7
	s_waitcnt lgkmcnt(0)
	ds_bpermute_b32 v3, v4, v1
	ds_bpermute_b32 v9, v4, v6
	;; [unrolled: 1-line block ×3, first 2 shown]
	v_cmpx_gt_u32_e64 s3, v10
	s_cbranch_execz .LBB571_118
; %bb.117:
	s_waitcnt lgkmcnt(1)
	v_and_b32_e32 v6, 1, v9
	s_waitcnt lgkmcnt(0)
	v_cmp_lt_i64_e32 vcc_lo, v[3:4], v[1:2]
	s_delay_alu instid0(VALU_DEP_2) | instskip(SKIP_1) | instid1(VALU_DEP_2)
	v_cmp_eq_u32_e64 s2, 1, v6
	v_and_b32_e32 v6, 1, v7
	v_cndmask_b32_e64 v7, v7, 1, s2
	s_and_b32 vcc_lo, s2, vcc_lo
	s_delay_alu instid0(VALU_DEP_2) | instskip(SKIP_1) | instid1(VALU_DEP_2)
	v_cmp_eq_u32_e64 s2, 1, v6
	v_dual_cndmask_b32 v1, v1, v3 :: v_dual_cndmask_b32 v2, v2, v4
	v_cndmask_b32_e64 v7, v9, v7, s2
	s_delay_alu instid0(VALU_DEP_2) | instskip(NEXT) | instid1(VALU_DEP_3)
	v_cndmask_b32_e64 v1, v3, v1, s2
	v_cndmask_b32_e64 v2, v4, v2, s2
	s_delay_alu instid0(VALU_DEP_3)
	v_and_b32_e32 v6, 0xff, v7
.LBB571_118:
	s_or_b32 exec_lo, exec_lo, s5
	v_cmp_gt_u32_e32 vcc_lo, 6, v8
	v_add_nc_u32_e32 v10, 2, v8
	s_mov_b32 s5, exec_lo
	s_waitcnt lgkmcnt(2)
	v_cndmask_b32_e64 v3, 0, 1, vcc_lo
	s_delay_alu instid0(VALU_DEP_1) | instskip(SKIP_1) | instid1(VALU_DEP_1)
	v_lshlrev_b32_e32 v3, 1, v3
	s_waitcnt lgkmcnt(0)
	v_add_lshl_u32 v4, v3, v5, 2
	ds_bpermute_b32 v9, v4, v6
	ds_bpermute_b32 v3, v4, v1
	;; [unrolled: 1-line block ×3, first 2 shown]
	v_cmpx_gt_u32_e64 s3, v10
	s_cbranch_execz .LBB571_120
; %bb.119:
	s_waitcnt lgkmcnt(2)
	v_and_b32_e32 v6, 1, v9
	s_waitcnt lgkmcnt(0)
	v_cmp_lt_i64_e32 vcc_lo, v[3:4], v[1:2]
	s_delay_alu instid0(VALU_DEP_2) | instskip(SKIP_1) | instid1(VALU_DEP_2)
	v_cmp_eq_u32_e64 s2, 1, v6
	v_and_b32_e32 v6, 1, v7
	v_cndmask_b32_e64 v7, v7, 1, s2
	s_and_b32 vcc_lo, s2, vcc_lo
	s_delay_alu instid0(VALU_DEP_2) | instskip(SKIP_1) | instid1(VALU_DEP_2)
	v_cmp_eq_u32_e64 s2, 1, v6
	v_dual_cndmask_b32 v1, v1, v3 :: v_dual_cndmask_b32 v2, v2, v4
	v_cndmask_b32_e64 v7, v9, v7, s2
	s_delay_alu instid0(VALU_DEP_2) | instskip(NEXT) | instid1(VALU_DEP_3)
	v_cndmask_b32_e64 v1, v3, v1, s2
	v_cndmask_b32_e64 v2, v4, v2, s2
	s_delay_alu instid0(VALU_DEP_3)
	v_and_b32_e32 v6, 0xff, v7
.LBB571_120:
	s_or_b32 exec_lo, exec_lo, s5
	v_cmp_gt_u32_e32 vcc_lo, 4, v8
	v_add_nc_u32_e32 v8, 4, v8
	s_waitcnt lgkmcnt(1)
	v_cndmask_b32_e64 v3, 0, 1, vcc_lo
	s_delay_alu instid0(VALU_DEP_2) | instskip(NEXT) | instid1(VALU_DEP_2)
	v_cmp_gt_u32_e32 vcc_lo, s3, v8
	v_lshlrev_b32_e32 v3, 2, v3
	s_waitcnt lgkmcnt(0)
	s_delay_alu instid0(VALU_DEP_1)
	v_add_lshl_u32 v4, v3, v5, 2
	ds_bpermute_b32 v5, v4, v6
	ds_bpermute_b32 v3, v4, v1
	;; [unrolled: 1-line block ×3, first 2 shown]
	s_and_saveexec_b32 s3, vcc_lo
	s_cbranch_execz .LBB571_122
; %bb.121:
	s_waitcnt lgkmcnt(2)
	v_and_b32_e32 v6, 1, v5
	s_waitcnt lgkmcnt(0)
	v_cmp_lt_i64_e32 vcc_lo, v[3:4], v[1:2]
	s_delay_alu instid0(VALU_DEP_2) | instskip(SKIP_1) | instid1(VALU_DEP_2)
	v_cmp_eq_u32_e64 s2, 1, v6
	v_and_b32_e32 v6, 1, v7
	v_cndmask_b32_e64 v7, v7, 1, s2
	s_and_b32 vcc_lo, s2, vcc_lo
	s_delay_alu instid0(VALU_DEP_2) | instskip(SKIP_1) | instid1(VALU_DEP_2)
	v_cmp_eq_u32_e64 s2, 1, v6
	v_dual_cndmask_b32 v1, v1, v3 :: v_dual_cndmask_b32 v2, v2, v4
	v_cndmask_b32_e64 v5, v5, v7, s2
	s_delay_alu instid0(VALU_DEP_2) | instskip(NEXT) | instid1(VALU_DEP_3)
	v_cndmask_b32_e64 v1, v3, v1, s2
	v_cndmask_b32_e64 v2, v4, v2, s2
	s_delay_alu instid0(VALU_DEP_3)
	v_and_b32_e32 v6, 0xff, v5
.LBB571_122:
	s_or_b32 exec_lo, exec_lo, s3
.LBB571_123:
	s_delay_alu instid0(SALU_CYCLE_1)
	s_or_b32 exec_lo, exec_lo, s4
.LBB571_124:
                                        ; implicit-def: $vgpr3_vgpr4
                                        ; implicit-def: $vgpr5
	s_delay_alu instid0(SALU_CYCLE_1)
	s_mov_b32 s2, exec_lo
	v_cmpx_eq_u32_e32 0, v0
	s_xor_b32 s4, exec_lo, s2
	s_cbranch_execz .LBB571_128
; %bb.125:
	s_waitcnt lgkmcnt(0)
	v_dual_mov_b32 v3, s20 :: v_dual_mov_b32 v4, s21
	v_mov_b32_e32 v5, s24
	s_cmp_eq_u64 s[14:15], 0
	s_cbranch_scc1 .LBB571_127
; %bb.126:
	v_and_b32_e32 v3, 1, v6
	v_cmp_gt_i64_e32 vcc_lo, s[20:21], v[1:2]
	s_bitcmp1_b32 s24, 0
	s_cselect_b32 s3, -1, 0
	s_delay_alu instid0(VALU_DEP_2) | instskip(NEXT) | instid1(VALU_DEP_1)
	v_cmp_eq_u32_e64 s2, 1, v3
	s_and_b32 vcc_lo, s2, vcc_lo
	v_cndmask_b32_e64 v3, s24, 1, s2
	v_cndmask_b32_e32 v7, s20, v1, vcc_lo
	v_cndmask_b32_e32 v4, s21, v2, vcc_lo
	s_delay_alu instid0(VALU_DEP_3) | instskip(NEXT) | instid1(VALU_DEP_3)
	v_cndmask_b32_e64 v5, v6, v3, s3
	v_cndmask_b32_e64 v3, v1, v7, s3
	s_delay_alu instid0(VALU_DEP_3)
	v_cndmask_b32_e64 v4, v2, v4, s3
.LBB571_127:
	s_or_b32 s26, s26, exec_lo
.LBB571_128:
	s_or_b32 exec_lo, exec_lo, s4
	s_branch .LBB571_200
.LBB571_129:
	s_cmp_gt_i32 s25, 1
	s_cbranch_scc0 .LBB571_147
; %bb.130:
	s_cmp_eq_u32 s25, 2
	s_cbranch_scc0 .LBB571_148
; %bb.131:
	s_mov_b32 s11, 0
	s_lshl_b32 s8, s10, 9
	s_mov_b32 s9, s11
	s_lshr_b64 s[28:29], s[14:15], 9
	s_lshl_b64 s[2:3], s[8:9], 1
	s_delay_alu instid0(SALU_CYCLE_1)
	s_add_u32 s4, s16, s2
	s_addc_u32 s5, s17, s3
	s_add_u32 s6, s18, s2
	s_addc_u32 s7, s19, s3
	;; [unrolled: 2-line block ×3, first 2 shown]
	s_cmp_lg_u64 s[28:29], s[10:11]
	s_cbranch_scc0 .LBB571_149
; %bb.132:
	v_lshlrev_b32_e32 v1, 1, v0
	v_add_co_u32 v7, s2, s9, v0
	s_waitcnt lgkmcnt(2)
	v_add_co_ci_u32_e64 v5, null, s22, 0, s2
	global_load_u16 v2, v1, s[6:7] offset:512
	s_waitcnt lgkmcnt(1)
	global_load_u16 v3, v1, s[6:7]
	s_waitcnt lgkmcnt(0)
	s_clause 0x1
	global_load_u16 v4, v1, s[4:5] offset:512
	global_load_u16 v1, v1, s[4:5]
	v_add_co_u32 v8, vcc_lo, 0x100, v7
	v_add_co_ci_u32_e32 v6, vcc_lo, 0, v5, vcc_lo
	s_mov_b32 s23, exec_lo
	s_waitcnt vmcnt(1)
	v_cmp_ne_u16_e32 vcc_lo, v4, v2
	s_waitcnt vmcnt(0)
	v_cmp_ne_u16_e64 s2, v1, v3
	s_delay_alu instid0(VALU_DEP_1) | instskip(SKIP_3) | instid1(VALU_DEP_3)
	s_or_b32 s3, s2, vcc_lo
	v_cndmask_b32_e64 v2, v6, v5, s2
	v_cndmask_b32_e64 v5, 0, 1, s3
	;; [unrolled: 1-line block ×3, first 2 shown]
	v_mov_b32_dpp v4, v2 quad_perm:[1,0,3,2] row_mask:0xf bank_mask:0xf
	s_delay_alu instid0(VALU_DEP_3) | instskip(NEXT) | instid1(VALU_DEP_3)
	v_mov_b32_dpp v6, v5 quad_perm:[1,0,3,2] row_mask:0xf bank_mask:0xf
	v_mov_b32_dpp v3, v1 quad_perm:[1,0,3,2] row_mask:0xf bank_mask:0xf
	s_delay_alu instid0(VALU_DEP_2) | instskip(NEXT) | instid1(VALU_DEP_1)
	v_and_b32_e32 v7, 1, v6
	v_cmpx_eq_u32_e32 1, v7
; %bb.133:
	v_cndmask_b32_e64 v5, v6, 1, s3
	s_delay_alu instid0(VALU_DEP_4) | instskip(NEXT) | instid1(VALU_DEP_2)
	v_cmp_lt_i64_e32 vcc_lo, v[1:2], v[3:4]
	v_and_b32_e32 v6, 1, v5
	v_and_b32_e32 v5, 0xff, v5
	s_and_b32 vcc_lo, s3, vcc_lo
	s_and_not1_b32 s3, s3, exec_lo
	v_dual_cndmask_b32 v2, v4, v2 :: v_dual_cndmask_b32 v1, v3, v1
	v_cmp_eq_u32_e64 s2, 1, v6
	s_delay_alu instid0(VALU_DEP_1) | instskip(NEXT) | instid1(SALU_CYCLE_1)
	s_and_b32 s2, s2, exec_lo
	s_or_b32 s3, s3, s2
; %bb.134:
	s_or_b32 exec_lo, exec_lo, s23
	v_mov_b32_dpp v6, v5 quad_perm:[2,3,0,1] row_mask:0xf bank_mask:0xf
	v_mov_b32_dpp v3, v1 quad_perm:[2,3,0,1] row_mask:0xf bank_mask:0xf
	;; [unrolled: 1-line block ×3, first 2 shown]
	s_mov_b32 s23, exec_lo
	s_delay_alu instid0(VALU_DEP_3) | instskip(NEXT) | instid1(VALU_DEP_1)
	v_and_b32_e32 v7, 1, v6
	v_cmpx_eq_u32_e32 1, v7
; %bb.135:
	v_cndmask_b32_e64 v5, v6, 1, s3
	v_cmp_lt_i64_e32 vcc_lo, v[1:2], v[3:4]
	s_delay_alu instid0(VALU_DEP_2)
	v_and_b32_e32 v6, 1, v5
	v_and_b32_e32 v5, 0xff, v5
	s_and_b32 vcc_lo, s3, vcc_lo
	s_and_not1_b32 s3, s3, exec_lo
	v_dual_cndmask_b32 v2, v4, v2 :: v_dual_cndmask_b32 v1, v3, v1
	v_cmp_eq_u32_e64 s2, 1, v6
	s_delay_alu instid0(VALU_DEP_1) | instskip(NEXT) | instid1(SALU_CYCLE_1)
	s_and_b32 s2, s2, exec_lo
	s_or_b32 s3, s3, s2
; %bb.136:
	s_or_b32 exec_lo, exec_lo, s23
	v_mov_b32_dpp v6, v5 row_ror:4 row_mask:0xf bank_mask:0xf
	v_mov_b32_dpp v3, v1 row_ror:4 row_mask:0xf bank_mask:0xf
	;; [unrolled: 1-line block ×3, first 2 shown]
	s_mov_b32 s23, exec_lo
	s_delay_alu instid0(VALU_DEP_3) | instskip(NEXT) | instid1(VALU_DEP_1)
	v_and_b32_e32 v7, 1, v6
	v_cmpx_eq_u32_e32 1, v7
; %bb.137:
	v_cndmask_b32_e64 v5, v6, 1, s3
	v_cmp_lt_i64_e32 vcc_lo, v[1:2], v[3:4]
	s_delay_alu instid0(VALU_DEP_2)
	v_and_b32_e32 v6, 1, v5
	v_and_b32_e32 v5, 0xff, v5
	s_and_b32 vcc_lo, s3, vcc_lo
	s_and_not1_b32 s3, s3, exec_lo
	v_dual_cndmask_b32 v2, v4, v2 :: v_dual_cndmask_b32 v1, v3, v1
	v_cmp_eq_u32_e64 s2, 1, v6
	s_delay_alu instid0(VALU_DEP_1) | instskip(NEXT) | instid1(SALU_CYCLE_1)
	s_and_b32 s2, s2, exec_lo
	s_or_b32 s3, s3, s2
; %bb.138:
	s_or_b32 exec_lo, exec_lo, s23
	v_mov_b32_dpp v6, v5 row_ror:8 row_mask:0xf bank_mask:0xf
	v_mov_b32_dpp v3, v1 row_ror:8 row_mask:0xf bank_mask:0xf
	;; [unrolled: 1-line block ×3, first 2 shown]
	s_mov_b32 s23, exec_lo
	s_delay_alu instid0(VALU_DEP_3) | instskip(NEXT) | instid1(VALU_DEP_1)
	v_and_b32_e32 v7, 1, v6
	v_cmpx_eq_u32_e32 1, v7
; %bb.139:
	v_cndmask_b32_e64 v5, v6, 1, s3
	v_cmp_lt_i64_e32 vcc_lo, v[1:2], v[3:4]
	s_delay_alu instid0(VALU_DEP_2)
	v_and_b32_e32 v6, 1, v5
	v_and_b32_e32 v5, 0xff, v5
	s_and_b32 vcc_lo, s3, vcc_lo
	s_and_not1_b32 s3, s3, exec_lo
	v_dual_cndmask_b32 v2, v4, v2 :: v_dual_cndmask_b32 v1, v3, v1
	v_cmp_eq_u32_e64 s2, 1, v6
	s_delay_alu instid0(VALU_DEP_1) | instskip(NEXT) | instid1(SALU_CYCLE_1)
	s_and_b32 s2, s2, exec_lo
	s_or_b32 s3, s3, s2
; %bb.140:
	s_or_b32 exec_lo, exec_lo, s23
	ds_swizzle_b32 v6, v5 offset:swizzle(BROADCAST,32,15)
	ds_swizzle_b32 v3, v1 offset:swizzle(BROADCAST,32,15)
	ds_swizzle_b32 v4, v2 offset:swizzle(BROADCAST,32,15)
	s_mov_b32 s2, exec_lo
	s_waitcnt lgkmcnt(2)
	v_and_b32_e32 v7, 1, v6
	s_delay_alu instid0(VALU_DEP_1)
	v_cmpx_eq_u32_e32 1, v7
	s_cbranch_execz .LBB571_142
; %bb.141:
	s_waitcnt lgkmcnt(0)
	v_cmp_lt_i64_e32 vcc_lo, v[1:2], v[3:4]
	v_and_b32_e32 v5, 0xff, v6
	s_delay_alu instid0(VALU_DEP_1)
	v_cndmask_b32_e64 v5, v5, 1, s3
	s_and_b32 vcc_lo, s3, vcc_lo
	v_dual_cndmask_b32 v1, v3, v1 :: v_dual_cndmask_b32 v2, v4, v2
.LBB571_142:
	s_or_b32 exec_lo, exec_lo, s2
	s_waitcnt lgkmcnt(1)
	v_mov_b32_e32 v3, 0
	s_mov_b32 s2, exec_lo
	ds_bpermute_b32 v6, v3, v5 offset:124
	ds_bpermute_b32 v1, v3, v1 offset:124
	;; [unrolled: 1-line block ×3, first 2 shown]
	v_mbcnt_lo_u32_b32 v3, -1, 0
	s_delay_alu instid0(VALU_DEP_1)
	v_cmpx_eq_u32_e32 0, v3
	s_cbranch_execz .LBB571_144
; %bb.143:
	s_waitcnt lgkmcnt(3)
	v_lshrrev_b32_e32 v4, 1, v0
	s_delay_alu instid0(VALU_DEP_1)
	v_and_b32_e32 v4, 0x70, v4
	s_waitcnt lgkmcnt(2)
	ds_store_b8 v4, v6 offset:128
	s_waitcnt lgkmcnt(1)
	ds_store_b64 v4, v[1:2] offset:136
.LBB571_144:
	s_or_b32 exec_lo, exec_lo, s2
	s_delay_alu instid0(SALU_CYCLE_1)
	s_mov_b32 s23, exec_lo
	s_waitcnt lgkmcnt(0)
	s_barrier
	buffer_gl0_inv
	v_cmpx_gt_u32_e32 32, v0
	s_cbranch_execz .LBB571_146
; %bb.145:
	v_and_b32_e32 v6, 7, v3
	s_delay_alu instid0(VALU_DEP_1)
	v_lshlrev_b32_e32 v1, 4, v6
	v_cmp_ne_u32_e32 vcc_lo, 7, v6
	ds_load_u8 v7, v1 offset:128
	ds_load_b64 v[1:2], v1 offset:136
	v_add_co_ci_u32_e32 v4, vcc_lo, 0, v3, vcc_lo
	v_cmp_gt_u32_e32 vcc_lo, 6, v6
	s_delay_alu instid0(VALU_DEP_2)
	v_lshlrev_b32_e32 v5, 2, v4
	v_cndmask_b32_e64 v10, 0, 1, vcc_lo
	s_waitcnt lgkmcnt(1)
	v_and_b32_e32 v4, 0xff, v7
	v_and_b32_e32 v11, 1, v7
	ds_bpermute_b32 v8, v5, v4
	s_waitcnt lgkmcnt(1)
	ds_bpermute_b32 v4, v5, v1
	ds_bpermute_b32 v5, v5, v2
	v_cmp_eq_u32_e64 s3, 1, v11
	s_waitcnt lgkmcnt(2)
	v_and_b32_e32 v9, 1, v8
	s_waitcnt lgkmcnt(0)
	v_cmp_lt_i64_e64 s2, v[4:5], v[1:2]
	s_delay_alu instid0(VALU_DEP_2) | instskip(SKIP_2) | instid1(VALU_DEP_4)
	v_cmp_eq_u32_e32 vcc_lo, 1, v9
	v_lshlrev_b32_e32 v9, 1, v10
	v_cndmask_b32_e64 v7, v7, 1, vcc_lo
	s_and_b32 vcc_lo, vcc_lo, s2
	v_dual_cndmask_b32 v1, v1, v4 :: v_dual_cndmask_b32 v2, v2, v5
	s_delay_alu instid0(VALU_DEP_2) | instskip(SKIP_2) | instid1(VALU_DEP_4)
	v_cndmask_b32_e64 v7, v8, v7, s3
	v_add_lshl_u32 v8, v9, v3, 2
	v_cmp_gt_u32_e32 vcc_lo, 4, v6
	v_cndmask_b32_e64 v1, v4, v1, s3
	v_cndmask_b32_e64 v2, v5, v2, s3
	v_and_b32_e32 v9, 0xff, v7
	v_and_b32_e32 v10, 1, v7
	v_cndmask_b32_e64 v6, 0, 1, vcc_lo
	ds_bpermute_b32 v4, v8, v1
	ds_bpermute_b32 v5, v8, v2
	;; [unrolled: 1-line block ×3, first 2 shown]
	v_cmp_eq_u32_e64 s3, 1, v10
	s_waitcnt lgkmcnt(1)
	v_cmp_lt_i64_e64 s2, v[4:5], v[1:2]
	s_waitcnt lgkmcnt(0)
	v_and_b32_e32 v8, 1, v9
	s_delay_alu instid0(VALU_DEP_1) | instskip(SKIP_1) | instid1(VALU_DEP_4)
	v_cmp_eq_u32_e32 vcc_lo, 1, v8
	v_cndmask_b32_e64 v7, v7, 1, vcc_lo
	s_and_b32 vcc_lo, vcc_lo, s2
	v_dual_cndmask_b32 v1, v1, v4 :: v_dual_cndmask_b32 v2, v2, v5
	s_delay_alu instid0(VALU_DEP_2) | instskip(NEXT) | instid1(VALU_DEP_2)
	v_cndmask_b32_e64 v7, v9, v7, s3
	v_cndmask_b32_e64 v1, v4, v1, s3
	v_lshlrev_b32_e32 v6, 2, v6
	s_delay_alu instid0(VALU_DEP_4) | instskip(NEXT) | instid1(VALU_DEP_2)
	v_cndmask_b32_e64 v2, v5, v2, s3
	v_add_lshl_u32 v6, v6, v3, 2
	v_and_b32_e32 v3, 0xff, v7
	ds_bpermute_b32 v4, v6, v2
	ds_bpermute_b32 v5, v6, v3
	;; [unrolled: 1-line block ×3, first 2 shown]
	s_waitcnt lgkmcnt(1)
	v_and_b32_e32 v6, 1, v5
	s_waitcnt lgkmcnt(0)
	v_cmp_lt_i64_e32 vcc_lo, v[3:4], v[1:2]
	s_delay_alu instid0(VALU_DEP_2) | instskip(SKIP_1) | instid1(VALU_DEP_2)
	v_cmp_eq_u32_e64 s2, 1, v6
	v_and_b32_e32 v6, 1, v7
	v_cndmask_b32_e64 v7, v7, 1, s2
	s_and_b32 vcc_lo, s2, vcc_lo
	s_delay_alu instid0(VALU_DEP_2) | instskip(SKIP_1) | instid1(VALU_DEP_2)
	v_cmp_eq_u32_e64 s2, 1, v6
	v_dual_cndmask_b32 v1, v1, v3 :: v_dual_cndmask_b32 v2, v2, v4
	v_cndmask_b32_e64 v5, v5, v7, s2
	s_delay_alu instid0(VALU_DEP_2) | instskip(NEXT) | instid1(VALU_DEP_3)
	v_cndmask_b32_e64 v1, v3, v1, s2
	v_cndmask_b32_e64 v2, v4, v2, s2
	s_delay_alu instid0(VALU_DEP_3)
	v_and_b32_e32 v6, 0xff, v5
.LBB571_146:
	s_or_b32 exec_lo, exec_lo, s23
	s_branch .LBB571_177
.LBB571_147:
                                        ; implicit-def: $vgpr3_vgpr4
                                        ; implicit-def: $vgpr5
	s_cbranch_execnz .LBB571_182
	s_branch .LBB571_200
.LBB571_148:
                                        ; implicit-def: $vgpr3_vgpr4
                                        ; implicit-def: $vgpr5
	s_branch .LBB571_200
.LBB571_149:
                                        ; implicit-def: $vgpr1_vgpr2
                                        ; implicit-def: $vgpr6
	s_cbranch_execz .LBB571_177
; %bb.150:
	s_waitcnt lgkmcnt(0)
	v_mov_b32_e32 v3, 0
	v_dual_mov_b32 v4, 0 :: v_dual_mov_b32 v5, 0
	s_delay_alu instid0(VALU_DEP_2) | instskip(SKIP_2) | instid1(VALU_DEP_3)
	v_mov_b32_e32 v1, v3
	v_mov_b32_e32 v7, 0
	s_sub_i32 s3, s14, s8
	v_mov_b32_e32 v2, v4
	s_mov_b32 s2, exec_lo
	v_cmpx_gt_u32_e64 s3, v0
	s_cbranch_execz .LBB571_152
; %bb.151:
	v_lshlrev_b32_e32 v1, 1, v0
	s_clause 0x1
	global_load_u16 v6, v1, s[4:5]
	global_load_u16 v7, v1, s[6:7]
	v_add_co_u32 v1, s8, s9, v0
	s_delay_alu instid0(VALU_DEP_1)
	v_add_co_ci_u32_e64 v2, null, s22, 0, s8
	s_waitcnt vmcnt(0)
	v_cmp_ne_u16_e32 vcc_lo, v6, v7
	v_cndmask_b32_e64 v7, 0, 1, vcc_lo
.LBB571_152:
	s_or_b32 exec_lo, exec_lo, s2
	v_or_b32_e32 v6, 0x100, v0
	s_delay_alu instid0(VALU_DEP_1)
	v_cmp_gt_u32_e32 vcc_lo, s3, v6
	s_and_saveexec_b32 s8, vcc_lo
	s_cbranch_execz .LBB571_154
; %bb.153:
	v_lshlrev_b32_e32 v3, 1, v0
	s_clause 0x1
	global_load_u16 v5, v3, s[4:5] offset:512
	global_load_u16 v8, v3, s[6:7] offset:512
	v_add_co_u32 v3, s2, s9, v6
	s_delay_alu instid0(VALU_DEP_1) | instskip(SKIP_2) | instid1(VALU_DEP_1)
	v_add_co_ci_u32_e64 v4, null, s22, 0, s2
	s_waitcnt vmcnt(0)
	v_cmp_ne_u16_e64 s2, v5, v8
	v_cndmask_b32_e64 v5, 0, 1, s2
.LBB571_154:
	s_or_b32 exec_lo, exec_lo, s8
	s_and_saveexec_b32 s4, vcc_lo
; %bb.155:
	s_delay_alu instid0(VALU_DEP_1) | instskip(SKIP_1) | instid1(VALU_DEP_2)
	v_and_b32_e32 v6, 1, v5
	v_cmp_lt_i64_e32 vcc_lo, v[3:4], v[1:2]
	v_cmp_eq_u32_e64 s2, 1, v6
	s_delay_alu instid0(VALU_DEP_1) | instskip(SKIP_4) | instid1(VALU_DEP_3)
	s_and_b32 vcc_lo, s2, vcc_lo
	v_cndmask_b32_e32 v1, v1, v3, vcc_lo
	v_and_b32_e32 v6, 1, v7
	v_cndmask_b32_e64 v7, v7, 1, s2
	v_cndmask_b32_e32 v2, v2, v4, vcc_lo
	v_cmp_eq_u32_e32 vcc_lo, 1, v6
	s_delay_alu instid0(VALU_DEP_2)
	v_dual_cndmask_b32 v7, v5, v7 :: v_dual_cndmask_b32 v2, v4, v2
	v_cndmask_b32_e32 v1, v3, v1, vcc_lo
; %bb.156:
	s_or_b32 exec_lo, exec_lo, s4
	v_mbcnt_lo_u32_b32 v5, -1, 0
	s_delay_alu instid0(VALU_DEP_3)
	v_and_b32_e32 v6, 0xffff, v7
	v_and_b32_e32 v8, 0xe0, v0
	s_min_u32 s3, s3, 0x100
	s_mov_b32 s4, exec_lo
	v_cmp_ne_u32_e32 vcc_lo, 31, v5
	v_add_nc_u32_e32 v10, 1, v5
	v_sub_nc_u32_e64 v8, s3, v8 clamp
	v_add_co_ci_u32_e32 v3, vcc_lo, 0, v5, vcc_lo
	s_delay_alu instid0(VALU_DEP_1)
	v_lshlrev_b32_e32 v4, 2, v3
	ds_bpermute_b32 v9, v4, v6
	ds_bpermute_b32 v3, v4, v1
	ds_bpermute_b32 v4, v4, v2
	v_cmpx_lt_u32_e64 v10, v8
	s_cbranch_execz .LBB571_158
; %bb.157:
	s_waitcnt lgkmcnt(2)
	v_and_b32_e32 v6, 1, v9
	s_waitcnt lgkmcnt(0)
	v_cmp_lt_i64_e32 vcc_lo, v[3:4], v[1:2]
	s_delay_alu instid0(VALU_DEP_2) | instskip(SKIP_1) | instid1(VALU_DEP_2)
	v_cmp_eq_u32_e64 s2, 1, v6
	v_and_b32_e32 v6, 1, v7
	v_cndmask_b32_e64 v7, v7, 1, s2
	s_and_b32 vcc_lo, s2, vcc_lo
	s_delay_alu instid0(VALU_DEP_2) | instskip(SKIP_1) | instid1(VALU_DEP_2)
	v_cmp_eq_u32_e64 s2, 1, v6
	v_dual_cndmask_b32 v1, v1, v3 :: v_dual_cndmask_b32 v2, v2, v4
	v_cndmask_b32_e64 v7, v9, v7, s2
	s_delay_alu instid0(VALU_DEP_2) | instskip(NEXT) | instid1(VALU_DEP_3)
	v_cndmask_b32_e64 v1, v3, v1, s2
	v_cndmask_b32_e64 v2, v4, v2, s2
	s_delay_alu instid0(VALU_DEP_3)
	v_and_b32_e32 v6, 0xff, v7
.LBB571_158:
	s_or_b32 exec_lo, exec_lo, s4
	v_cmp_gt_u32_e32 vcc_lo, 30, v5
	v_add_nc_u32_e32 v10, 2, v5
	s_mov_b32 s4, exec_lo
	s_waitcnt lgkmcnt(1)
	v_cndmask_b32_e64 v3, 0, 1, vcc_lo
	s_delay_alu instid0(VALU_DEP_1) | instskip(SKIP_1) | instid1(VALU_DEP_1)
	v_lshlrev_b32_e32 v3, 1, v3
	s_waitcnt lgkmcnt(0)
	v_add_lshl_u32 v4, v3, v5, 2
	ds_bpermute_b32 v9, v4, v6
	ds_bpermute_b32 v3, v4, v1
	ds_bpermute_b32 v4, v4, v2
	v_cmpx_lt_u32_e64 v10, v8
	s_cbranch_execz .LBB571_160
; %bb.159:
	s_waitcnt lgkmcnt(2)
	v_and_b32_e32 v6, 1, v9
	s_waitcnt lgkmcnt(0)
	v_cmp_lt_i64_e32 vcc_lo, v[3:4], v[1:2]
	s_delay_alu instid0(VALU_DEP_2) | instskip(SKIP_1) | instid1(VALU_DEP_2)
	v_cmp_eq_u32_e64 s2, 1, v6
	v_and_b32_e32 v6, 1, v7
	v_cndmask_b32_e64 v7, v7, 1, s2
	s_and_b32 vcc_lo, s2, vcc_lo
	s_delay_alu instid0(VALU_DEP_2) | instskip(SKIP_1) | instid1(VALU_DEP_2)
	v_cmp_eq_u32_e64 s2, 1, v6
	v_dual_cndmask_b32 v1, v1, v3 :: v_dual_cndmask_b32 v2, v2, v4
	v_cndmask_b32_e64 v7, v9, v7, s2
	s_delay_alu instid0(VALU_DEP_2) | instskip(NEXT) | instid1(VALU_DEP_3)
	v_cndmask_b32_e64 v1, v3, v1, s2
	v_cndmask_b32_e64 v2, v4, v2, s2
	s_delay_alu instid0(VALU_DEP_3)
	v_and_b32_e32 v6, 0xff, v7
.LBB571_160:
	s_or_b32 exec_lo, exec_lo, s4
	v_cmp_gt_u32_e32 vcc_lo, 28, v5
	v_add_nc_u32_e32 v10, 4, v5
	s_mov_b32 s4, exec_lo
	s_waitcnt lgkmcnt(1)
	v_cndmask_b32_e64 v3, 0, 1, vcc_lo
	s_delay_alu instid0(VALU_DEP_1) | instskip(SKIP_1) | instid1(VALU_DEP_1)
	v_lshlrev_b32_e32 v3, 2, v3
	s_waitcnt lgkmcnt(0)
	v_add_lshl_u32 v4, v3, v5, 2
	ds_bpermute_b32 v9, v4, v6
	ds_bpermute_b32 v3, v4, v1
	ds_bpermute_b32 v4, v4, v2
	v_cmpx_lt_u32_e64 v10, v8
	s_cbranch_execz .LBB571_162
; %bb.161:
	s_waitcnt lgkmcnt(2)
	v_and_b32_e32 v6, 1, v9
	s_waitcnt lgkmcnt(0)
	v_cmp_lt_i64_e32 vcc_lo, v[3:4], v[1:2]
	s_delay_alu instid0(VALU_DEP_2) | instskip(SKIP_1) | instid1(VALU_DEP_2)
	v_cmp_eq_u32_e64 s2, 1, v6
	v_and_b32_e32 v6, 1, v7
	v_cndmask_b32_e64 v7, v7, 1, s2
	s_and_b32 vcc_lo, s2, vcc_lo
	s_delay_alu instid0(VALU_DEP_2) | instskip(SKIP_1) | instid1(VALU_DEP_2)
	v_cmp_eq_u32_e64 s2, 1, v6
	v_dual_cndmask_b32 v1, v1, v3 :: v_dual_cndmask_b32 v2, v2, v4
	v_cndmask_b32_e64 v7, v9, v7, s2
	s_delay_alu instid0(VALU_DEP_2) | instskip(NEXT) | instid1(VALU_DEP_3)
	v_cndmask_b32_e64 v1, v3, v1, s2
	v_cndmask_b32_e64 v2, v4, v2, s2
	s_delay_alu instid0(VALU_DEP_3)
	v_and_b32_e32 v6, 0xff, v7
.LBB571_162:
	s_or_b32 exec_lo, exec_lo, s4
	v_cmp_gt_u32_e32 vcc_lo, 24, v5
	v_add_nc_u32_e32 v10, 8, v5
	s_mov_b32 s4, exec_lo
	s_waitcnt lgkmcnt(1)
	v_cndmask_b32_e64 v3, 0, 1, vcc_lo
	s_delay_alu instid0(VALU_DEP_1) | instskip(SKIP_1) | instid1(VALU_DEP_1)
	v_lshlrev_b32_e32 v3, 3, v3
	s_waitcnt lgkmcnt(0)
	v_add_lshl_u32 v4, v3, v5, 2
	ds_bpermute_b32 v9, v4, v6
	ds_bpermute_b32 v3, v4, v1
	ds_bpermute_b32 v4, v4, v2
	v_cmpx_lt_u32_e64 v10, v8
	s_cbranch_execz .LBB571_164
; %bb.163:
	s_waitcnt lgkmcnt(2)
	v_and_b32_e32 v6, 1, v9
	s_waitcnt lgkmcnt(0)
	v_cmp_lt_i64_e32 vcc_lo, v[3:4], v[1:2]
	s_delay_alu instid0(VALU_DEP_2) | instskip(SKIP_1) | instid1(VALU_DEP_2)
	v_cmp_eq_u32_e64 s2, 1, v6
	v_and_b32_e32 v6, 1, v7
	v_cndmask_b32_e64 v7, v7, 1, s2
	s_and_b32 vcc_lo, s2, vcc_lo
	s_delay_alu instid0(VALU_DEP_2) | instskip(SKIP_1) | instid1(VALU_DEP_2)
	v_cmp_eq_u32_e64 s2, 1, v6
	v_dual_cndmask_b32 v1, v1, v3 :: v_dual_cndmask_b32 v2, v2, v4
	v_cndmask_b32_e64 v7, v9, v7, s2
	s_delay_alu instid0(VALU_DEP_2) | instskip(NEXT) | instid1(VALU_DEP_3)
	v_cndmask_b32_e64 v1, v3, v1, s2
	v_cndmask_b32_e64 v2, v4, v2, s2
	s_delay_alu instid0(VALU_DEP_3)
	v_and_b32_e32 v6, 0xff, v7
.LBB571_164:
	s_or_b32 exec_lo, exec_lo, s4
	v_cmp_gt_u32_e32 vcc_lo, 16, v5
	v_add_nc_u32_e32 v10, 16, v5
	s_mov_b32 s4, exec_lo
	s_waitcnt lgkmcnt(1)
	v_cndmask_b32_e64 v3, 0, 1, vcc_lo
	s_delay_alu instid0(VALU_DEP_1) | instskip(SKIP_1) | instid1(VALU_DEP_1)
	v_lshlrev_b32_e32 v3, 4, v3
	s_waitcnt lgkmcnt(0)
	v_add_lshl_u32 v4, v3, v5, 2
	ds_bpermute_b32 v9, v4, v6
	ds_bpermute_b32 v3, v4, v1
	;; [unrolled: 1-line block ×3, first 2 shown]
	v_cmpx_lt_u32_e64 v10, v8
	s_cbranch_execz .LBB571_166
; %bb.165:
	s_waitcnt lgkmcnt(2)
	v_and_b32_e32 v6, 1, v9
	s_waitcnt lgkmcnt(0)
	v_cmp_lt_i64_e32 vcc_lo, v[3:4], v[1:2]
	s_delay_alu instid0(VALU_DEP_2) | instskip(SKIP_1) | instid1(VALU_DEP_2)
	v_cmp_eq_u32_e64 s2, 1, v6
	v_and_b32_e32 v6, 1, v7
	v_cndmask_b32_e64 v7, v7, 1, s2
	s_and_b32 vcc_lo, s2, vcc_lo
	s_delay_alu instid0(VALU_DEP_2) | instskip(SKIP_1) | instid1(VALU_DEP_2)
	v_cmp_eq_u32_e64 s2, 1, v6
	v_dual_cndmask_b32 v1, v1, v3 :: v_dual_cndmask_b32 v2, v2, v4
	v_cndmask_b32_e64 v7, v9, v7, s2
	s_delay_alu instid0(VALU_DEP_2) | instskip(NEXT) | instid1(VALU_DEP_3)
	v_cndmask_b32_e64 v1, v3, v1, s2
	v_cndmask_b32_e64 v2, v4, v2, s2
	s_delay_alu instid0(VALU_DEP_3)
	v_and_b32_e32 v6, 0xff, v7
.LBB571_166:
	s_or_b32 exec_lo, exec_lo, s4
	s_delay_alu instid0(SALU_CYCLE_1)
	s_mov_b32 s2, exec_lo
	v_cmpx_eq_u32_e32 0, v5
	s_cbranch_execz .LBB571_168
; %bb.167:
	s_waitcnt lgkmcnt(1)
	v_lshrrev_b32_e32 v3, 1, v0
	s_delay_alu instid0(VALU_DEP_1)
	v_and_b32_e32 v3, 0x70, v3
	ds_store_b8 v3, v7 offset:512
	ds_store_b64 v3, v[1:2] offset:520
.LBB571_168:
	s_or_b32 exec_lo, exec_lo, s2
	s_delay_alu instid0(SALU_CYCLE_1)
	s_mov_b32 s4, exec_lo
	s_waitcnt lgkmcnt(0)
	s_barrier
	buffer_gl0_inv
	v_cmpx_gt_u32_e32 8, v0
	s_cbranch_execz .LBB571_176
; %bb.169:
	v_lshlrev_b32_e32 v1, 4, v5
	v_and_b32_e32 v8, 7, v5
	s_add_i32 s3, s3, 31
	s_mov_b32 s5, exec_lo
	s_lshr_b32 s3, s3, 5
	ds_load_u8 v7, v1 offset:512
	ds_load_b64 v[1:2], v1 offset:520
	v_cmp_ne_u32_e32 vcc_lo, 7, v8
	v_add_nc_u32_e32 v10, 1, v8
	v_add_co_ci_u32_e32 v3, vcc_lo, 0, v5, vcc_lo
	s_delay_alu instid0(VALU_DEP_1)
	v_lshlrev_b32_e32 v4, 2, v3
	s_waitcnt lgkmcnt(1)
	v_and_b32_e32 v6, 0xff, v7
	s_waitcnt lgkmcnt(0)
	ds_bpermute_b32 v3, v4, v1
	ds_bpermute_b32 v9, v4, v6
	;; [unrolled: 1-line block ×3, first 2 shown]
	v_cmpx_gt_u32_e64 s3, v10
	s_cbranch_execz .LBB571_171
; %bb.170:
	s_waitcnt lgkmcnt(1)
	v_and_b32_e32 v6, 1, v9
	s_waitcnt lgkmcnt(0)
	v_cmp_lt_i64_e32 vcc_lo, v[3:4], v[1:2]
	s_delay_alu instid0(VALU_DEP_2) | instskip(SKIP_1) | instid1(VALU_DEP_2)
	v_cmp_eq_u32_e64 s2, 1, v6
	v_and_b32_e32 v6, 1, v7
	v_cndmask_b32_e64 v7, v7, 1, s2
	s_and_b32 vcc_lo, s2, vcc_lo
	s_delay_alu instid0(VALU_DEP_2) | instskip(SKIP_1) | instid1(VALU_DEP_2)
	v_cmp_eq_u32_e64 s2, 1, v6
	v_dual_cndmask_b32 v1, v1, v3 :: v_dual_cndmask_b32 v2, v2, v4
	v_cndmask_b32_e64 v7, v9, v7, s2
	s_delay_alu instid0(VALU_DEP_2) | instskip(NEXT) | instid1(VALU_DEP_3)
	v_cndmask_b32_e64 v1, v3, v1, s2
	v_cndmask_b32_e64 v2, v4, v2, s2
	s_delay_alu instid0(VALU_DEP_3)
	v_and_b32_e32 v6, 0xff, v7
.LBB571_171:
	s_or_b32 exec_lo, exec_lo, s5
	v_cmp_gt_u32_e32 vcc_lo, 6, v8
	v_add_nc_u32_e32 v10, 2, v8
	s_mov_b32 s5, exec_lo
	s_waitcnt lgkmcnt(2)
	v_cndmask_b32_e64 v3, 0, 1, vcc_lo
	s_delay_alu instid0(VALU_DEP_1) | instskip(SKIP_1) | instid1(VALU_DEP_1)
	v_lshlrev_b32_e32 v3, 1, v3
	s_waitcnt lgkmcnt(0)
	v_add_lshl_u32 v4, v3, v5, 2
	ds_bpermute_b32 v9, v4, v6
	ds_bpermute_b32 v3, v4, v1
	;; [unrolled: 1-line block ×3, first 2 shown]
	v_cmpx_gt_u32_e64 s3, v10
	s_cbranch_execz .LBB571_173
; %bb.172:
	s_waitcnt lgkmcnt(2)
	v_and_b32_e32 v6, 1, v9
	s_waitcnt lgkmcnt(0)
	v_cmp_lt_i64_e32 vcc_lo, v[3:4], v[1:2]
	s_delay_alu instid0(VALU_DEP_2) | instskip(SKIP_1) | instid1(VALU_DEP_2)
	v_cmp_eq_u32_e64 s2, 1, v6
	v_and_b32_e32 v6, 1, v7
	v_cndmask_b32_e64 v7, v7, 1, s2
	s_and_b32 vcc_lo, s2, vcc_lo
	s_delay_alu instid0(VALU_DEP_2) | instskip(SKIP_1) | instid1(VALU_DEP_2)
	v_cmp_eq_u32_e64 s2, 1, v6
	v_dual_cndmask_b32 v1, v1, v3 :: v_dual_cndmask_b32 v2, v2, v4
	v_cndmask_b32_e64 v7, v9, v7, s2
	s_delay_alu instid0(VALU_DEP_2) | instskip(NEXT) | instid1(VALU_DEP_3)
	v_cndmask_b32_e64 v1, v3, v1, s2
	v_cndmask_b32_e64 v2, v4, v2, s2
	s_delay_alu instid0(VALU_DEP_3)
	v_and_b32_e32 v6, 0xff, v7
.LBB571_173:
	s_or_b32 exec_lo, exec_lo, s5
	v_cmp_gt_u32_e32 vcc_lo, 4, v8
	v_add_nc_u32_e32 v8, 4, v8
	s_waitcnt lgkmcnt(1)
	v_cndmask_b32_e64 v3, 0, 1, vcc_lo
	s_delay_alu instid0(VALU_DEP_2) | instskip(NEXT) | instid1(VALU_DEP_2)
	v_cmp_gt_u32_e32 vcc_lo, s3, v8
	v_lshlrev_b32_e32 v3, 2, v3
	s_waitcnt lgkmcnt(0)
	s_delay_alu instid0(VALU_DEP_1)
	v_add_lshl_u32 v4, v3, v5, 2
	ds_bpermute_b32 v5, v4, v6
	ds_bpermute_b32 v3, v4, v1
	;; [unrolled: 1-line block ×3, first 2 shown]
	s_and_saveexec_b32 s3, vcc_lo
	s_cbranch_execz .LBB571_175
; %bb.174:
	s_waitcnt lgkmcnt(2)
	v_and_b32_e32 v6, 1, v5
	s_waitcnt lgkmcnt(0)
	v_cmp_lt_i64_e32 vcc_lo, v[3:4], v[1:2]
	s_delay_alu instid0(VALU_DEP_2) | instskip(SKIP_1) | instid1(VALU_DEP_2)
	v_cmp_eq_u32_e64 s2, 1, v6
	v_and_b32_e32 v6, 1, v7
	v_cndmask_b32_e64 v7, v7, 1, s2
	s_and_b32 vcc_lo, s2, vcc_lo
	s_delay_alu instid0(VALU_DEP_2) | instskip(SKIP_1) | instid1(VALU_DEP_2)
	v_cmp_eq_u32_e64 s2, 1, v6
	v_dual_cndmask_b32 v1, v1, v3 :: v_dual_cndmask_b32 v2, v2, v4
	v_cndmask_b32_e64 v5, v5, v7, s2
	s_delay_alu instid0(VALU_DEP_2) | instskip(NEXT) | instid1(VALU_DEP_3)
	v_cndmask_b32_e64 v1, v3, v1, s2
	v_cndmask_b32_e64 v2, v4, v2, s2
	s_delay_alu instid0(VALU_DEP_3)
	v_and_b32_e32 v6, 0xff, v5
.LBB571_175:
	s_or_b32 exec_lo, exec_lo, s3
.LBB571_176:
	s_delay_alu instid0(SALU_CYCLE_1)
	s_or_b32 exec_lo, exec_lo, s4
.LBB571_177:
                                        ; implicit-def: $vgpr3_vgpr4
                                        ; implicit-def: $vgpr5
	s_delay_alu instid0(SALU_CYCLE_1)
	s_mov_b32 s2, exec_lo
	v_cmpx_eq_u32_e32 0, v0
	s_xor_b32 s4, exec_lo, s2
	s_cbranch_execz .LBB571_181
; %bb.178:
	s_waitcnt lgkmcnt(0)
	v_dual_mov_b32 v3, s20 :: v_dual_mov_b32 v4, s21
	v_mov_b32_e32 v5, s24
	s_cmp_eq_u64 s[14:15], 0
	s_cbranch_scc1 .LBB571_180
; %bb.179:
	v_and_b32_e32 v3, 1, v6
	v_cmp_gt_i64_e32 vcc_lo, s[20:21], v[1:2]
	s_bitcmp1_b32 s24, 0
	s_cselect_b32 s3, -1, 0
	s_delay_alu instid0(VALU_DEP_2) | instskip(NEXT) | instid1(VALU_DEP_1)
	v_cmp_eq_u32_e64 s2, 1, v3
	s_and_b32 vcc_lo, s2, vcc_lo
	v_cndmask_b32_e64 v3, s24, 1, s2
	v_cndmask_b32_e32 v7, s20, v1, vcc_lo
	v_cndmask_b32_e32 v4, s21, v2, vcc_lo
	s_delay_alu instid0(VALU_DEP_3) | instskip(NEXT) | instid1(VALU_DEP_3)
	v_cndmask_b32_e64 v5, v6, v3, s3
	v_cndmask_b32_e64 v3, v1, v7, s3
	s_delay_alu instid0(VALU_DEP_3)
	v_cndmask_b32_e64 v4, v2, v4, s3
.LBB571_180:
	s_or_b32 s26, s26, exec_lo
.LBB571_181:
	s_or_b32 exec_lo, exec_lo, s4
	s_branch .LBB571_200
.LBB571_182:
	s_cmp_eq_u32 s25, 1
	s_cbranch_scc0 .LBB571_199
; %bb.183:
	s_mov_b32 s5, 0
	s_lshr_b64 s[2:3], s[14:15], 8
	s_mov_b32 s11, s5
	s_lshl_b32 s4, s10, 8
	s_cmp_lg_u64 s[2:3], s[10:11]
	s_cbranch_scc0 .LBB571_203
; %bb.184:
	s_lshl_b64 s[2:3], s[4:5], 1
	v_lshlrev_b32_e32 v1, 1, v0
	s_add_u32 s6, s16, s2
	s_addc_u32 s7, s17, s3
	s_add_u32 s2, s18, s2
	s_addc_u32 s3, s19, s3
	s_clause 0x1
	global_load_u16 v2, v1, s[6:7]
	global_load_u16 v1, v1, s[2:3]
	s_add_u32 s2, s12, s4
	s_addc_u32 s3, s13, 0
	s_waitcnt vmcnt(0)
	v_cmp_ne_u16_e32 vcc_lo, v2, v1
	v_cndmask_b32_e64 v1, 0, 1, vcc_lo
	v_cndmask_b32_e64 v6, 0, 1, vcc_lo
	s_waitcnt lgkmcnt(2)
	s_delay_alu instid0(VALU_DEP_2) | instskip(SKIP_1) | instid1(VALU_DEP_1)
	v_mov_b32_dpp v5, v1 quad_perm:[1,0,3,2] row_mask:0xf bank_mask:0xf
	v_add_co_u32 v1, s2, s2, v0
	v_add_co_ci_u32_e64 v2, null, s3, 0, s2
	s_delay_alu instid0(VALU_DEP_3) | instskip(SKIP_1) | instid1(VALU_DEP_3)
	v_and_b32_e32 v7, 1, v5
	s_waitcnt lgkmcnt(1)
	v_mov_b32_dpp v3, v1 quad_perm:[1,0,3,2] row_mask:0xf bank_mask:0xf
	s_mov_b32 s3, exec_lo
	s_waitcnt lgkmcnt(0)
	v_mov_b32_dpp v4, v2 quad_perm:[1,0,3,2] row_mask:0xf bank_mask:0xf
	v_cmpx_eq_u32_e32 1, v7
; %bb.185:
	s_delay_alu instid0(VALU_DEP_2) | instskip(SKIP_1) | instid1(VALU_DEP_2)
	v_cmp_lt_i64_e64 s2, v[1:2], v[3:4]
	v_cndmask_b32_e64 v6, v5, 1, vcc_lo
	s_and_b32 vcc_lo, vcc_lo, s2
	v_dual_cndmask_b32 v2, v4, v2 :: v_dual_cndmask_b32 v1, v3, v1
; %bb.186:
	s_or_b32 exec_lo, exec_lo, s3
	s_delay_alu instid0(VALU_DEP_2) | instskip(SKIP_1) | instid1(VALU_DEP_3)
	v_and_b32_e32 v5, 0xff, v6
	v_and_b32_e32 v6, 1, v6
	v_mov_b32_dpp v3, v1 quad_perm:[2,3,0,1] row_mask:0xf bank_mask:0xf
	v_mov_b32_dpp v4, v2 quad_perm:[2,3,0,1] row_mask:0xf bank_mask:0xf
	s_mov_b32 s6, exec_lo
	v_mov_b32_dpp v7, v5 quad_perm:[2,3,0,1] row_mask:0xf bank_mask:0xf
	v_cmp_eq_u32_e64 s3, 1, v6
	s_delay_alu instid0(VALU_DEP_2) | instskip(NEXT) | instid1(VALU_DEP_1)
	v_and_b32_e32 v8, 1, v7
	v_cmpx_eq_u32_e32 1, v8
; %bb.187:
	s_delay_alu instid0(VALU_DEP_3) | instskip(SKIP_1) | instid1(VALU_DEP_2)
	v_cndmask_b32_e64 v5, v7, 1, s3
	v_cmp_lt_i64_e32 vcc_lo, v[1:2], v[3:4]
	v_and_b32_e32 v6, 1, v5
	v_and_b32_e32 v5, 0xff, v5
	s_and_b32 vcc_lo, s3, vcc_lo
	s_and_not1_b32 s3, s3, exec_lo
	v_dual_cndmask_b32 v2, v4, v2 :: v_dual_cndmask_b32 v1, v3, v1
	v_cmp_eq_u32_e64 s2, 1, v6
	s_delay_alu instid0(VALU_DEP_1) | instskip(NEXT) | instid1(SALU_CYCLE_1)
	s_and_b32 s2, s2, exec_lo
	s_or_b32 s3, s3, s2
; %bb.188:
	s_or_b32 exec_lo, exec_lo, s6
	v_mov_b32_dpp v6, v5 row_ror:4 row_mask:0xf bank_mask:0xf
	v_mov_b32_dpp v3, v1 row_ror:4 row_mask:0xf bank_mask:0xf
	;; [unrolled: 1-line block ×3, first 2 shown]
	s_mov_b32 s6, exec_lo
	s_delay_alu instid0(VALU_DEP_3) | instskip(NEXT) | instid1(VALU_DEP_1)
	v_and_b32_e32 v7, 1, v6
	v_cmpx_eq_u32_e32 1, v7
; %bb.189:
	v_cndmask_b32_e64 v5, v6, 1, s3
	v_cmp_lt_i64_e32 vcc_lo, v[1:2], v[3:4]
	s_delay_alu instid0(VALU_DEP_2)
	v_and_b32_e32 v6, 1, v5
	v_and_b32_e32 v5, 0xff, v5
	s_and_b32 vcc_lo, s3, vcc_lo
	s_and_not1_b32 s3, s3, exec_lo
	v_dual_cndmask_b32 v2, v4, v2 :: v_dual_cndmask_b32 v1, v3, v1
	v_cmp_eq_u32_e64 s2, 1, v6
	s_delay_alu instid0(VALU_DEP_1) | instskip(NEXT) | instid1(SALU_CYCLE_1)
	s_and_b32 s2, s2, exec_lo
	s_or_b32 s3, s3, s2
; %bb.190:
	s_or_b32 exec_lo, exec_lo, s6
	v_mov_b32_dpp v6, v5 row_ror:8 row_mask:0xf bank_mask:0xf
	v_mov_b32_dpp v3, v1 row_ror:8 row_mask:0xf bank_mask:0xf
	;; [unrolled: 1-line block ×3, first 2 shown]
	s_mov_b32 s6, exec_lo
	s_delay_alu instid0(VALU_DEP_3) | instskip(NEXT) | instid1(VALU_DEP_1)
	v_and_b32_e32 v7, 1, v6
	v_cmpx_eq_u32_e32 1, v7
; %bb.191:
	v_cndmask_b32_e64 v5, v6, 1, s3
	v_cmp_lt_i64_e32 vcc_lo, v[1:2], v[3:4]
	s_delay_alu instid0(VALU_DEP_2)
	v_and_b32_e32 v6, 1, v5
	v_and_b32_e32 v5, 0xff, v5
	s_and_b32 vcc_lo, s3, vcc_lo
	s_and_not1_b32 s3, s3, exec_lo
	v_dual_cndmask_b32 v2, v4, v2 :: v_dual_cndmask_b32 v1, v3, v1
	v_cmp_eq_u32_e64 s2, 1, v6
	s_delay_alu instid0(VALU_DEP_1) | instskip(NEXT) | instid1(SALU_CYCLE_1)
	s_and_b32 s2, s2, exec_lo
	s_or_b32 s3, s3, s2
; %bb.192:
	s_or_b32 exec_lo, exec_lo, s6
	ds_swizzle_b32 v6, v5 offset:swizzle(BROADCAST,32,15)
	ds_swizzle_b32 v3, v1 offset:swizzle(BROADCAST,32,15)
	;; [unrolled: 1-line block ×3, first 2 shown]
	s_mov_b32 s2, exec_lo
	s_waitcnt lgkmcnt(2)
	v_and_b32_e32 v7, 1, v6
	s_delay_alu instid0(VALU_DEP_1)
	v_cmpx_eq_u32_e32 1, v7
	s_cbranch_execz .LBB571_194
; %bb.193:
	s_waitcnt lgkmcnt(0)
	v_cmp_lt_i64_e32 vcc_lo, v[1:2], v[3:4]
	v_and_b32_e32 v5, 0xff, v6
	s_delay_alu instid0(VALU_DEP_1)
	v_cndmask_b32_e64 v5, v5, 1, s3
	s_and_b32 vcc_lo, s3, vcc_lo
	v_dual_cndmask_b32 v1, v3, v1 :: v_dual_cndmask_b32 v2, v4, v2
.LBB571_194:
	s_or_b32 exec_lo, exec_lo, s2
	s_waitcnt lgkmcnt(1)
	v_mov_b32_e32 v3, 0
	s_mov_b32 s2, exec_lo
	ds_bpermute_b32 v6, v3, v5 offset:124
	ds_bpermute_b32 v1, v3, v1 offset:124
	;; [unrolled: 1-line block ×3, first 2 shown]
	v_mbcnt_lo_u32_b32 v3, -1, 0
	s_delay_alu instid0(VALU_DEP_1)
	v_cmpx_eq_u32_e32 0, v3
	s_cbranch_execz .LBB571_196
; %bb.195:
	s_waitcnt lgkmcnt(3)
	v_lshrrev_b32_e32 v4, 1, v0
	s_delay_alu instid0(VALU_DEP_1)
	v_and_b32_e32 v4, 0x70, v4
	s_waitcnt lgkmcnt(2)
	ds_store_b8 v4, v6
	s_waitcnt lgkmcnt(1)
	ds_store_b64 v4, v[1:2] offset:8
.LBB571_196:
	s_or_b32 exec_lo, exec_lo, s2
	s_delay_alu instid0(SALU_CYCLE_1)
	s_mov_b32 s6, exec_lo
	s_waitcnt lgkmcnt(0)
	s_barrier
	buffer_gl0_inv
	v_cmpx_gt_u32_e32 32, v0
	s_cbranch_execz .LBB571_198
; %bb.197:
	v_and_b32_e32 v6, 7, v3
	s_delay_alu instid0(VALU_DEP_1)
	v_lshlrev_b32_e32 v1, 4, v6
	v_cmp_ne_u32_e32 vcc_lo, 7, v6
	ds_load_u8 v7, v1
	ds_load_b64 v[1:2], v1 offset:8
	v_add_co_ci_u32_e32 v4, vcc_lo, 0, v3, vcc_lo
	v_cmp_gt_u32_e32 vcc_lo, 6, v6
	s_delay_alu instid0(VALU_DEP_2)
	v_lshlrev_b32_e32 v5, 2, v4
	v_cndmask_b32_e64 v10, 0, 1, vcc_lo
	s_waitcnt lgkmcnt(1)
	v_and_b32_e32 v4, 0xff, v7
	v_and_b32_e32 v11, 1, v7
	ds_bpermute_b32 v8, v5, v4
	s_waitcnt lgkmcnt(1)
	ds_bpermute_b32 v4, v5, v1
	ds_bpermute_b32 v5, v5, v2
	v_cmp_eq_u32_e64 s3, 1, v11
	s_waitcnt lgkmcnt(2)
	v_and_b32_e32 v9, 1, v8
	s_waitcnt lgkmcnt(0)
	v_cmp_lt_i64_e64 s2, v[4:5], v[1:2]
	s_delay_alu instid0(VALU_DEP_2) | instskip(SKIP_2) | instid1(VALU_DEP_4)
	v_cmp_eq_u32_e32 vcc_lo, 1, v9
	v_lshlrev_b32_e32 v9, 1, v10
	v_cndmask_b32_e64 v7, v7, 1, vcc_lo
	s_and_b32 vcc_lo, vcc_lo, s2
	v_dual_cndmask_b32 v1, v1, v4 :: v_dual_cndmask_b32 v2, v2, v5
	s_delay_alu instid0(VALU_DEP_2) | instskip(SKIP_2) | instid1(VALU_DEP_4)
	v_cndmask_b32_e64 v7, v8, v7, s3
	v_add_lshl_u32 v8, v9, v3, 2
	v_cmp_gt_u32_e32 vcc_lo, 4, v6
	v_cndmask_b32_e64 v1, v4, v1, s3
	v_cndmask_b32_e64 v2, v5, v2, s3
	v_and_b32_e32 v9, 0xff, v7
	v_and_b32_e32 v10, 1, v7
	v_cndmask_b32_e64 v6, 0, 1, vcc_lo
	ds_bpermute_b32 v4, v8, v1
	ds_bpermute_b32 v5, v8, v2
	;; [unrolled: 1-line block ×3, first 2 shown]
	v_cmp_eq_u32_e64 s3, 1, v10
	s_waitcnt lgkmcnt(1)
	v_cmp_lt_i64_e64 s2, v[4:5], v[1:2]
	s_waitcnt lgkmcnt(0)
	v_and_b32_e32 v8, 1, v9
	s_delay_alu instid0(VALU_DEP_1) | instskip(SKIP_1) | instid1(VALU_DEP_4)
	v_cmp_eq_u32_e32 vcc_lo, 1, v8
	v_cndmask_b32_e64 v7, v7, 1, vcc_lo
	s_and_b32 vcc_lo, vcc_lo, s2
	v_dual_cndmask_b32 v1, v1, v4 :: v_dual_cndmask_b32 v2, v2, v5
	s_delay_alu instid0(VALU_DEP_2) | instskip(NEXT) | instid1(VALU_DEP_2)
	v_cndmask_b32_e64 v7, v9, v7, s3
	v_cndmask_b32_e64 v1, v4, v1, s3
	v_lshlrev_b32_e32 v6, 2, v6
	s_delay_alu instid0(VALU_DEP_4) | instskip(NEXT) | instid1(VALU_DEP_2)
	v_cndmask_b32_e64 v2, v5, v2, s3
	v_add_lshl_u32 v6, v6, v3, 2
	v_and_b32_e32 v3, 0xff, v7
	ds_bpermute_b32 v4, v6, v2
	ds_bpermute_b32 v5, v6, v3
	;; [unrolled: 1-line block ×3, first 2 shown]
	s_waitcnt lgkmcnt(1)
	v_and_b32_e32 v6, 1, v5
	s_waitcnt lgkmcnt(0)
	v_cmp_lt_i64_e32 vcc_lo, v[3:4], v[1:2]
	s_delay_alu instid0(VALU_DEP_2) | instskip(SKIP_1) | instid1(VALU_DEP_2)
	v_cmp_eq_u32_e64 s2, 1, v6
	v_and_b32_e32 v6, 1, v7
	v_cndmask_b32_e64 v7, v7, 1, s2
	s_and_b32 vcc_lo, s2, vcc_lo
	s_delay_alu instid0(VALU_DEP_2) | instskip(SKIP_1) | instid1(VALU_DEP_2)
	v_cmp_eq_u32_e64 s2, 1, v6
	v_dual_cndmask_b32 v1, v1, v3 :: v_dual_cndmask_b32 v2, v2, v4
	v_cndmask_b32_e64 v5, v5, v7, s2
	s_delay_alu instid0(VALU_DEP_2) | instskip(NEXT) | instid1(VALU_DEP_3)
	v_cndmask_b32_e64 v1, v3, v1, s2
	v_cndmask_b32_e64 v2, v4, v2, s2
	s_delay_alu instid0(VALU_DEP_3)
	v_and_b32_e32 v6, 0xff, v5
.LBB571_198:
	s_or_b32 exec_lo, exec_lo, s6
	s_branch .LBB571_227
.LBB571_199:
                                        ; implicit-def: $vgpr3_vgpr4
                                        ; implicit-def: $vgpr5
                                        ; implicit-def: $sgpr10_sgpr11
.LBB571_200:
	s_and_saveexec_b32 s2, s26
	s_cbranch_execz .LBB571_202
.LBB571_201:
	s_load_b64 s[0:1], s[0:1], 0x38
	s_lshl_b64 s[2:3], s[10:11], 4
	v_mov_b32_e32 v0, 0
	s_waitcnt lgkmcnt(0)
	s_add_u32 s0, s0, s2
	s_addc_u32 s1, s1, s3
	s_clause 0x1
	global_store_b8 v0, v5, s[0:1]
	global_store_b64 v0, v[3:4], s[0:1] offset:8
.LBB571_202:
	s_nop 0
	s_sendmsg sendmsg(MSG_DEALLOC_VGPRS)
	s_endpgm
.LBB571_203:
                                        ; implicit-def: $vgpr1_vgpr2
                                        ; implicit-def: $vgpr6
	s_cbranch_execz .LBB571_227
; %bb.204:
	v_mov_b32_e32 v1, 0
	v_dual_mov_b32 v2, 0 :: v_dual_mov_b32 v7, 0
	s_sub_i32 s2, s14, s4
	s_mov_b32 s3, exec_lo
	v_cmpx_gt_u32_e64 s2, v0
	s_cbranch_execz .LBB571_206
; %bb.205:
	s_lshl_b64 s[6:7], s[4:5], 1
	v_lshlrev_b32_e32 v1, 1, v0
	s_add_u32 s8, s18, s6
	s_addc_u32 s9, s19, s7
	s_add_u32 s6, s16, s6
	s_addc_u32 s7, s17, s7
	s_add_u32 s4, s12, s4
	s_waitcnt lgkmcnt(1)
	global_load_u16 v3, v1, s[6:7]
	s_waitcnt lgkmcnt(0)
	global_load_u16 v4, v1, s[8:9]
	s_addc_u32 s5, s13, 0
	v_add_co_u32 v1, s4, s4, v0
	s_delay_alu instid0(VALU_DEP_1)
	v_add_co_ci_u32_e64 v2, null, s5, 0, s4
	s_waitcnt vmcnt(0)
	v_cmp_ne_u16_e32 vcc_lo, v3, v4
	v_cndmask_b32_e64 v7, 0, 1, vcc_lo
.LBB571_206:
	s_or_b32 exec_lo, exec_lo, s3
	s_waitcnt lgkmcnt(2)
	v_mbcnt_lo_u32_b32 v5, -1, 0
	s_delay_alu instid0(VALU_DEP_2)
	v_and_b32_e32 v6, 0xffff, v7
	v_and_b32_e32 v8, 0xe0, v0
	s_min_u32 s3, s2, 0x100
	s_mov_b32 s4, exec_lo
	v_cmp_ne_u32_e32 vcc_lo, 31, v5
	v_add_nc_u32_e32 v10, 1, v5
	v_sub_nc_u32_e64 v8, s3, v8 clamp
	s_waitcnt lgkmcnt(1)
	v_add_co_ci_u32_e32 v3, vcc_lo, 0, v5, vcc_lo
	s_waitcnt lgkmcnt(0)
	s_delay_alu instid0(VALU_DEP_1)
	v_lshlrev_b32_e32 v4, 2, v3
	ds_bpermute_b32 v9, v4, v6
	ds_bpermute_b32 v3, v4, v1
	ds_bpermute_b32 v4, v4, v2
	v_cmpx_lt_u32_e64 v10, v8
	s_cbranch_execz .LBB571_208
; %bb.207:
	s_waitcnt lgkmcnt(2)
	v_and_b32_e32 v6, 1, v9
	s_waitcnt lgkmcnt(0)
	v_cmp_lt_i64_e32 vcc_lo, v[3:4], v[1:2]
	s_delay_alu instid0(VALU_DEP_2) | instskip(SKIP_1) | instid1(VALU_DEP_2)
	v_cmp_eq_u32_e64 s2, 1, v6
	v_and_b32_e32 v6, 1, v7
	v_cndmask_b32_e64 v7, v7, 1, s2
	s_and_b32 vcc_lo, s2, vcc_lo
	s_delay_alu instid0(VALU_DEP_2) | instskip(SKIP_1) | instid1(VALU_DEP_2)
	v_cmp_eq_u32_e64 s2, 1, v6
	v_dual_cndmask_b32 v1, v1, v3 :: v_dual_cndmask_b32 v2, v2, v4
	v_cndmask_b32_e64 v7, v9, v7, s2
	s_delay_alu instid0(VALU_DEP_2) | instskip(NEXT) | instid1(VALU_DEP_3)
	v_cndmask_b32_e64 v1, v3, v1, s2
	v_cndmask_b32_e64 v2, v4, v2, s2
	s_delay_alu instid0(VALU_DEP_3)
	v_and_b32_e32 v6, 0xff, v7
.LBB571_208:
	s_or_b32 exec_lo, exec_lo, s4
	v_cmp_gt_u32_e32 vcc_lo, 30, v5
	v_add_nc_u32_e32 v10, 2, v5
	s_mov_b32 s4, exec_lo
	s_waitcnt lgkmcnt(1)
	v_cndmask_b32_e64 v3, 0, 1, vcc_lo
	s_delay_alu instid0(VALU_DEP_1) | instskip(SKIP_1) | instid1(VALU_DEP_1)
	v_lshlrev_b32_e32 v3, 1, v3
	s_waitcnt lgkmcnt(0)
	v_add_lshl_u32 v4, v3, v5, 2
	ds_bpermute_b32 v9, v4, v6
	ds_bpermute_b32 v3, v4, v1
	ds_bpermute_b32 v4, v4, v2
	v_cmpx_lt_u32_e64 v10, v8
	s_cbranch_execz .LBB571_210
; %bb.209:
	s_waitcnt lgkmcnt(2)
	v_and_b32_e32 v6, 1, v9
	s_waitcnt lgkmcnt(0)
	v_cmp_lt_i64_e32 vcc_lo, v[3:4], v[1:2]
	s_delay_alu instid0(VALU_DEP_2) | instskip(SKIP_1) | instid1(VALU_DEP_2)
	v_cmp_eq_u32_e64 s2, 1, v6
	v_and_b32_e32 v6, 1, v7
	v_cndmask_b32_e64 v7, v7, 1, s2
	s_and_b32 vcc_lo, s2, vcc_lo
	s_delay_alu instid0(VALU_DEP_2) | instskip(SKIP_1) | instid1(VALU_DEP_2)
	v_cmp_eq_u32_e64 s2, 1, v6
	v_dual_cndmask_b32 v1, v1, v3 :: v_dual_cndmask_b32 v2, v2, v4
	v_cndmask_b32_e64 v7, v9, v7, s2
	s_delay_alu instid0(VALU_DEP_2) | instskip(NEXT) | instid1(VALU_DEP_3)
	v_cndmask_b32_e64 v1, v3, v1, s2
	v_cndmask_b32_e64 v2, v4, v2, s2
	s_delay_alu instid0(VALU_DEP_3)
	v_and_b32_e32 v6, 0xff, v7
.LBB571_210:
	s_or_b32 exec_lo, exec_lo, s4
	v_cmp_gt_u32_e32 vcc_lo, 28, v5
	v_add_nc_u32_e32 v10, 4, v5
	s_mov_b32 s4, exec_lo
	s_waitcnt lgkmcnt(1)
	v_cndmask_b32_e64 v3, 0, 1, vcc_lo
	s_delay_alu instid0(VALU_DEP_1) | instskip(SKIP_1) | instid1(VALU_DEP_1)
	v_lshlrev_b32_e32 v3, 2, v3
	s_waitcnt lgkmcnt(0)
	v_add_lshl_u32 v4, v3, v5, 2
	;; [unrolled: 35-line block ×4, first 2 shown]
	ds_bpermute_b32 v9, v4, v6
	ds_bpermute_b32 v3, v4, v1
	;; [unrolled: 1-line block ×3, first 2 shown]
	v_cmpx_lt_u32_e64 v10, v8
	s_cbranch_execz .LBB571_216
; %bb.215:
	s_waitcnt lgkmcnt(2)
	v_and_b32_e32 v6, 1, v9
	s_waitcnt lgkmcnt(0)
	v_cmp_lt_i64_e32 vcc_lo, v[3:4], v[1:2]
	s_delay_alu instid0(VALU_DEP_2) | instskip(SKIP_1) | instid1(VALU_DEP_2)
	v_cmp_eq_u32_e64 s2, 1, v6
	v_and_b32_e32 v6, 1, v7
	v_cndmask_b32_e64 v7, v7, 1, s2
	s_and_b32 vcc_lo, s2, vcc_lo
	s_delay_alu instid0(VALU_DEP_2) | instskip(SKIP_1) | instid1(VALU_DEP_2)
	v_cmp_eq_u32_e64 s2, 1, v6
	v_dual_cndmask_b32 v1, v1, v3 :: v_dual_cndmask_b32 v2, v2, v4
	v_cndmask_b32_e64 v7, v9, v7, s2
	s_delay_alu instid0(VALU_DEP_2) | instskip(NEXT) | instid1(VALU_DEP_3)
	v_cndmask_b32_e64 v1, v3, v1, s2
	v_cndmask_b32_e64 v2, v4, v2, s2
	s_delay_alu instid0(VALU_DEP_3)
	v_and_b32_e32 v6, 0xff, v7
.LBB571_216:
	s_or_b32 exec_lo, exec_lo, s4
	s_delay_alu instid0(SALU_CYCLE_1)
	s_mov_b32 s2, exec_lo
	v_cmpx_eq_u32_e32 0, v5
	s_cbranch_execz .LBB571_218
; %bb.217:
	s_waitcnt lgkmcnt(1)
	v_lshrrev_b32_e32 v3, 1, v0
	s_delay_alu instid0(VALU_DEP_1)
	v_and_b32_e32 v3, 0x70, v3
	ds_store_b8 v3, v7 offset:512
	ds_store_b64 v3, v[1:2] offset:520
.LBB571_218:
	s_or_b32 exec_lo, exec_lo, s2
	s_delay_alu instid0(SALU_CYCLE_1)
	s_mov_b32 s4, exec_lo
	s_waitcnt lgkmcnt(0)
	s_barrier
	buffer_gl0_inv
	v_cmpx_gt_u32_e32 8, v0
	s_cbranch_execz .LBB571_226
; %bb.219:
	v_lshlrev_b32_e32 v1, 4, v5
	v_and_b32_e32 v8, 7, v5
	s_add_i32 s3, s3, 31
	s_mov_b32 s5, exec_lo
	s_lshr_b32 s3, s3, 5
	ds_load_u8 v7, v1 offset:512
	ds_load_b64 v[1:2], v1 offset:520
	v_cmp_ne_u32_e32 vcc_lo, 7, v8
	v_add_nc_u32_e32 v10, 1, v8
	v_add_co_ci_u32_e32 v3, vcc_lo, 0, v5, vcc_lo
	s_delay_alu instid0(VALU_DEP_1)
	v_lshlrev_b32_e32 v4, 2, v3
	s_waitcnt lgkmcnt(1)
	v_and_b32_e32 v6, 0xff, v7
	s_waitcnt lgkmcnt(0)
	ds_bpermute_b32 v3, v4, v1
	ds_bpermute_b32 v9, v4, v6
	;; [unrolled: 1-line block ×3, first 2 shown]
	v_cmpx_gt_u32_e64 s3, v10
	s_cbranch_execz .LBB571_221
; %bb.220:
	s_waitcnt lgkmcnt(1)
	v_and_b32_e32 v6, 1, v9
	s_waitcnt lgkmcnt(0)
	v_cmp_lt_i64_e32 vcc_lo, v[3:4], v[1:2]
	s_delay_alu instid0(VALU_DEP_2) | instskip(SKIP_1) | instid1(VALU_DEP_2)
	v_cmp_eq_u32_e64 s2, 1, v6
	v_and_b32_e32 v6, 1, v7
	v_cndmask_b32_e64 v7, v7, 1, s2
	s_and_b32 vcc_lo, s2, vcc_lo
	s_delay_alu instid0(VALU_DEP_2) | instskip(SKIP_1) | instid1(VALU_DEP_2)
	v_cmp_eq_u32_e64 s2, 1, v6
	v_dual_cndmask_b32 v1, v1, v3 :: v_dual_cndmask_b32 v2, v2, v4
	v_cndmask_b32_e64 v7, v9, v7, s2
	s_delay_alu instid0(VALU_DEP_2) | instskip(NEXT) | instid1(VALU_DEP_3)
	v_cndmask_b32_e64 v1, v3, v1, s2
	v_cndmask_b32_e64 v2, v4, v2, s2
	s_delay_alu instid0(VALU_DEP_3)
	v_and_b32_e32 v6, 0xff, v7
.LBB571_221:
	s_or_b32 exec_lo, exec_lo, s5
	v_cmp_gt_u32_e32 vcc_lo, 6, v8
	v_add_nc_u32_e32 v10, 2, v8
	s_mov_b32 s5, exec_lo
	s_waitcnt lgkmcnt(2)
	v_cndmask_b32_e64 v3, 0, 1, vcc_lo
	s_delay_alu instid0(VALU_DEP_1) | instskip(SKIP_1) | instid1(VALU_DEP_1)
	v_lshlrev_b32_e32 v3, 1, v3
	s_waitcnt lgkmcnt(0)
	v_add_lshl_u32 v4, v3, v5, 2
	ds_bpermute_b32 v9, v4, v6
	ds_bpermute_b32 v3, v4, v1
	;; [unrolled: 1-line block ×3, first 2 shown]
	v_cmpx_gt_u32_e64 s3, v10
	s_cbranch_execz .LBB571_223
; %bb.222:
	s_waitcnt lgkmcnt(2)
	v_and_b32_e32 v6, 1, v9
	s_waitcnt lgkmcnt(0)
	v_cmp_lt_i64_e32 vcc_lo, v[3:4], v[1:2]
	s_delay_alu instid0(VALU_DEP_2) | instskip(SKIP_1) | instid1(VALU_DEP_2)
	v_cmp_eq_u32_e64 s2, 1, v6
	v_and_b32_e32 v6, 1, v7
	v_cndmask_b32_e64 v7, v7, 1, s2
	s_and_b32 vcc_lo, s2, vcc_lo
	s_delay_alu instid0(VALU_DEP_2) | instskip(SKIP_1) | instid1(VALU_DEP_2)
	v_cmp_eq_u32_e64 s2, 1, v6
	v_dual_cndmask_b32 v1, v1, v3 :: v_dual_cndmask_b32 v2, v2, v4
	v_cndmask_b32_e64 v7, v9, v7, s2
	s_delay_alu instid0(VALU_DEP_2) | instskip(NEXT) | instid1(VALU_DEP_3)
	v_cndmask_b32_e64 v1, v3, v1, s2
	v_cndmask_b32_e64 v2, v4, v2, s2
	s_delay_alu instid0(VALU_DEP_3)
	v_and_b32_e32 v6, 0xff, v7
.LBB571_223:
	s_or_b32 exec_lo, exec_lo, s5
	v_cmp_gt_u32_e32 vcc_lo, 4, v8
	v_add_nc_u32_e32 v8, 4, v8
	s_waitcnt lgkmcnt(1)
	v_cndmask_b32_e64 v3, 0, 1, vcc_lo
	s_delay_alu instid0(VALU_DEP_2) | instskip(NEXT) | instid1(VALU_DEP_2)
	v_cmp_gt_u32_e32 vcc_lo, s3, v8
	v_lshlrev_b32_e32 v3, 2, v3
	s_waitcnt lgkmcnt(0)
	s_delay_alu instid0(VALU_DEP_1)
	v_add_lshl_u32 v4, v3, v5, 2
	ds_bpermute_b32 v5, v4, v6
	ds_bpermute_b32 v3, v4, v1
	;; [unrolled: 1-line block ×3, first 2 shown]
	s_and_saveexec_b32 s3, vcc_lo
	s_cbranch_execz .LBB571_225
; %bb.224:
	s_waitcnt lgkmcnt(2)
	v_and_b32_e32 v6, 1, v5
	s_waitcnt lgkmcnt(0)
	v_cmp_lt_i64_e32 vcc_lo, v[3:4], v[1:2]
	s_delay_alu instid0(VALU_DEP_2) | instskip(SKIP_1) | instid1(VALU_DEP_2)
	v_cmp_eq_u32_e64 s2, 1, v6
	v_and_b32_e32 v6, 1, v7
	v_cndmask_b32_e64 v7, v7, 1, s2
	s_and_b32 vcc_lo, s2, vcc_lo
	s_delay_alu instid0(VALU_DEP_2) | instskip(SKIP_1) | instid1(VALU_DEP_2)
	v_cmp_eq_u32_e64 s2, 1, v6
	v_dual_cndmask_b32 v1, v1, v3 :: v_dual_cndmask_b32 v2, v2, v4
	v_cndmask_b32_e64 v5, v5, v7, s2
	s_delay_alu instid0(VALU_DEP_2) | instskip(NEXT) | instid1(VALU_DEP_3)
	v_cndmask_b32_e64 v1, v3, v1, s2
	v_cndmask_b32_e64 v2, v4, v2, s2
	s_delay_alu instid0(VALU_DEP_3)
	v_and_b32_e32 v6, 0xff, v5
.LBB571_225:
	s_or_b32 exec_lo, exec_lo, s3
.LBB571_226:
	s_delay_alu instid0(SALU_CYCLE_1)
	s_or_b32 exec_lo, exec_lo, s4
.LBB571_227:
	s_delay_alu instid0(SALU_CYCLE_1)
	s_mov_b32 s4, exec_lo
                                        ; implicit-def: $vgpr3_vgpr4
                                        ; implicit-def: $vgpr5
	v_cmpx_eq_u32_e32 0, v0
	s_cbranch_execz .LBB571_231
; %bb.228:
	s_waitcnt lgkmcnt(0)
	v_dual_mov_b32 v3, s20 :: v_dual_mov_b32 v4, s21
	v_mov_b32_e32 v5, s24
	s_cmp_eq_u64 s[14:15], 0
	s_cbranch_scc1 .LBB571_230
; %bb.229:
	v_and_b32_e32 v0, 1, v6
	v_cmp_gt_i64_e32 vcc_lo, s[20:21], v[1:2]
	s_bitcmp1_b32 s24, 0
	s_cselect_b32 s3, -1, 0
	s_delay_alu instid0(VALU_DEP_2) | instskip(NEXT) | instid1(VALU_DEP_1)
	v_cmp_eq_u32_e64 s2, 1, v0
	s_and_b32 vcc_lo, s2, vcc_lo
	v_cndmask_b32_e64 v0, s24, 1, s2
	v_cndmask_b32_e32 v3, s20, v1, vcc_lo
	v_cndmask_b32_e32 v4, s21, v2, vcc_lo
	s_delay_alu instid0(VALU_DEP_3) | instskip(NEXT) | instid1(VALU_DEP_3)
	v_cndmask_b32_e64 v5, v6, v0, s3
	v_cndmask_b32_e64 v3, v1, v3, s3
	s_delay_alu instid0(VALU_DEP_3)
	v_cndmask_b32_e64 v4, v2, v4, s3
.LBB571_230:
	s_or_b32 s26, s26, exec_lo
.LBB571_231:
	s_or_b32 exec_lo, exec_lo, s4
	s_and_saveexec_b32 s2, s26
	s_cbranch_execnz .LBB571_201
	s_branch .LBB571_202
.LBB571_232:
	v_lshlrev_b32_e32 v3, 1, v0
	s_clause 0x1
	global_load_u16 v18, v3, s[8:9] offset:3584
	global_load_u16 v26, v3, s[22:23] offset:3584
	v_add_co_u32 v3, s8, s26, v25
	s_delay_alu instid0(VALU_DEP_1) | instskip(SKIP_2) | instid1(VALU_DEP_1)
	v_add_co_ci_u32_e64 v4, null, s28, 0, s8
	s_waitcnt vmcnt(0)
	v_cmp_ne_u16_e64 s8, v18, v26
	v_cndmask_b32_e64 v18, 0, 1, s8
	s_or_b32 exec_lo, exec_lo, s30
	s_and_saveexec_b32 s9, s7
	s_cbranch_execz .LBB571_57
.LBB571_233:
	v_and_b32_e32 v25, 1, v21
	v_cmp_lt_i64_e64 s7, v[9:10], v[1:2]
	s_delay_alu instid0(VALU_DEP_2) | instskip(SKIP_1) | instid1(VALU_DEP_2)
	v_cmp_eq_u32_e64 s8, 1, v25
	v_and_b32_e32 v25, 1, v17
	s_and_b32 s7, s8, s7
	v_cndmask_b32_e64 v17, v17, 1, s8
	v_cndmask_b32_e64 v1, v1, v9, s7
	;; [unrolled: 1-line block ×3, first 2 shown]
	v_cmp_eq_u32_e64 s7, 1, v25
	s_delay_alu instid0(VALU_DEP_1) | instskip(NEXT) | instid1(VALU_DEP_3)
	v_cndmask_b32_e64 v17, v21, v17, s7
	v_cndmask_b32_e64 v2, v10, v2, s7
	;; [unrolled: 1-line block ×3, first 2 shown]
	s_or_b32 exec_lo, exec_lo, s9
	s_and_saveexec_b32 s8, s6
	s_cbranch_execz .LBB571_58
.LBB571_234:
	v_and_b32_e32 v9, 1, v24
	v_cmp_lt_i64_e64 s6, v[15:16], v[1:2]
	s_delay_alu instid0(VALU_DEP_2) | instskip(SKIP_1) | instid1(VALU_DEP_2)
	v_cmp_eq_u32_e64 s7, 1, v9
	v_and_b32_e32 v9, 1, v17
	s_and_b32 s6, s7, s6
	v_cndmask_b32_e64 v10, v17, 1, s7
	v_cndmask_b32_e64 v1, v1, v15, s6
	;; [unrolled: 1-line block ×3, first 2 shown]
	v_cmp_eq_u32_e64 s6, 1, v9
	s_delay_alu instid0(VALU_DEP_1) | instskip(NEXT) | instid1(VALU_DEP_3)
	v_cndmask_b32_e64 v17, v24, v10, s6
	v_cndmask_b32_e64 v2, v16, v2, s6
	;; [unrolled: 1-line block ×3, first 2 shown]
	s_or_b32 exec_lo, exec_lo, s8
	s_and_saveexec_b32 s7, s5
	s_cbranch_execz .LBB571_59
.LBB571_235:
	v_and_b32_e32 v9, 1, v20
	v_cmp_lt_i64_e64 s5, v[7:8], v[1:2]
	s_delay_alu instid0(VALU_DEP_2) | instskip(SKIP_1) | instid1(VALU_DEP_2)
	v_cmp_eq_u32_e64 s6, 1, v9
	v_and_b32_e32 v9, 1, v17
	s_and_b32 s5, s6, s5
	v_cndmask_b32_e64 v10, v17, 1, s6
	v_cndmask_b32_e64 v1, v1, v7, s5
	;; [unrolled: 1-line block ×3, first 2 shown]
	v_cmp_eq_u32_e64 s5, 1, v9
	s_delay_alu instid0(VALU_DEP_1) | instskip(NEXT) | instid1(VALU_DEP_3)
	v_cndmask_b32_e64 v17, v20, v10, s5
	v_cndmask_b32_e64 v2, v8, v2, s5
	;; [unrolled: 1-line block ×3, first 2 shown]
	s_or_b32 exec_lo, exec_lo, s7
	s_and_saveexec_b32 s6, s4
	s_cbranch_execz .LBB571_60
.LBB571_236:
	v_and_b32_e32 v7, 1, v23
	v_cmp_lt_i64_e64 s4, v[13:14], v[1:2]
	s_delay_alu instid0(VALU_DEP_2) | instskip(SKIP_1) | instid1(VALU_DEP_2)
	v_cmp_eq_u32_e64 s5, 1, v7
	v_and_b32_e32 v7, 1, v17
	s_and_b32 s4, s5, s4
	v_cndmask_b32_e64 v8, v17, 1, s5
	v_cndmask_b32_e64 v1, v1, v13, s4
	;; [unrolled: 1-line block ×3, first 2 shown]
	v_cmp_eq_u32_e64 s4, 1, v7
	s_delay_alu instid0(VALU_DEP_1) | instskip(NEXT) | instid1(VALU_DEP_3)
	v_cndmask_b32_e64 v17, v23, v8, s4
	v_cndmask_b32_e64 v2, v14, v2, s4
	;; [unrolled: 1-line block ×3, first 2 shown]
	s_or_b32 exec_lo, exec_lo, s6
	s_and_saveexec_b32 s5, s3
	s_cbranch_execz .LBB571_61
.LBB571_237:
	v_and_b32_e32 v7, 1, v19
	v_cmp_lt_i64_e64 s3, v[5:6], v[1:2]
	s_delay_alu instid0(VALU_DEP_2) | instskip(SKIP_1) | instid1(VALU_DEP_2)
	v_cmp_eq_u32_e64 s4, 1, v7
	v_and_b32_e32 v7, 1, v17
	s_and_b32 s3, s4, s3
	v_cndmask_b32_e64 v8, v17, 1, s4
	v_cndmask_b32_e64 v1, v1, v5, s3
	;; [unrolled: 1-line block ×3, first 2 shown]
	v_cmp_eq_u32_e64 s3, 1, v7
	s_delay_alu instid0(VALU_DEP_1) | instskip(NEXT) | instid1(VALU_DEP_3)
	v_cndmask_b32_e64 v17, v19, v8, s3
	v_cndmask_b32_e64 v2, v6, v2, s3
	;; [unrolled: 1-line block ×3, first 2 shown]
	s_or_b32 exec_lo, exec_lo, s5
	s_and_saveexec_b32 s4, s2
	s_cbranch_execz .LBB571_62
.LBB571_238:
	v_and_b32_e32 v5, 1, v22
	v_cmp_lt_i64_e64 s2, v[11:12], v[1:2]
	s_delay_alu instid0(VALU_DEP_2) | instskip(SKIP_1) | instid1(VALU_DEP_2)
	v_cmp_eq_u32_e64 s3, 1, v5
	v_and_b32_e32 v5, 1, v17
	s_and_b32 s2, s3, s2
	v_cndmask_b32_e64 v6, v17, 1, s3
	v_cndmask_b32_e64 v1, v1, v11, s2
	;; [unrolled: 1-line block ×3, first 2 shown]
	v_cmp_eq_u32_e64 s2, 1, v5
	s_delay_alu instid0(VALU_DEP_1) | instskip(NEXT) | instid1(VALU_DEP_3)
	v_cndmask_b32_e64 v17, v22, v6, s2
	v_cndmask_b32_e64 v2, v12, v2, s2
	;; [unrolled: 1-line block ×3, first 2 shown]
	s_or_b32 exec_lo, exec_lo, s4
	s_and_saveexec_b32 s3, vcc_lo
	s_cbranch_execnz .LBB571_63
	s_branch .LBB571_64
.LBB571_239:
	v_lshlrev_b32_e32 v3, 1, v0
	s_clause 0x1
	global_load_u16 v10, v3, s[6:7] offset:1536
	global_load_u16 v14, v3, s[8:9] offset:1536
	v_add_co_u32 v3, s4, s5, v13
	s_delay_alu instid0(VALU_DEP_1) | instskip(SKIP_2) | instid1(VALU_DEP_1)
	v_add_co_ci_u32_e64 v4, null, s23, 0, s4
	s_waitcnt vmcnt(0)
	v_cmp_ne_u16_e64 s4, v10, v14
	v_cndmask_b32_e64 v10, 0, 1, s4
	s_or_b32 exec_lo, exec_lo, s27
	s_and_saveexec_b32 s5, s3
	s_cbranch_execz .LBB571_100
.LBB571_240:
	v_and_b32_e32 v13, 1, v11
	v_cmp_lt_i64_e64 s3, v[5:6], v[1:2]
	s_delay_alu instid0(VALU_DEP_2) | instskip(SKIP_1) | instid1(VALU_DEP_2)
	v_cmp_eq_u32_e64 s4, 1, v13
	v_and_b32_e32 v13, 1, v9
	s_and_b32 s3, s4, s3
	v_cndmask_b32_e64 v9, v9, 1, s4
	v_cndmask_b32_e64 v1, v1, v5, s3
	;; [unrolled: 1-line block ×3, first 2 shown]
	v_cmp_eq_u32_e64 s3, 1, v13
	s_delay_alu instid0(VALU_DEP_1) | instskip(NEXT) | instid1(VALU_DEP_3)
	v_cndmask_b32_e64 v9, v11, v9, s3
	v_cndmask_b32_e64 v2, v6, v2, s3
	;; [unrolled: 1-line block ×3, first 2 shown]
	s_or_b32 exec_lo, exec_lo, s5
	s_and_saveexec_b32 s4, s2
	s_cbranch_execz .LBB571_101
.LBB571_241:
	v_and_b32_e32 v5, 1, v12
	v_cmp_lt_i64_e64 s2, v[7:8], v[1:2]
	s_delay_alu instid0(VALU_DEP_2) | instskip(SKIP_1) | instid1(VALU_DEP_2)
	v_cmp_eq_u32_e64 s3, 1, v5
	v_and_b32_e32 v5, 1, v9
	s_and_b32 s2, s3, s2
	v_cndmask_b32_e64 v6, v9, 1, s3
	v_cndmask_b32_e64 v1, v1, v7, s2
	;; [unrolled: 1-line block ×3, first 2 shown]
	v_cmp_eq_u32_e64 s2, 1, v5
	s_delay_alu instid0(VALU_DEP_1) | instskip(NEXT) | instid1(VALU_DEP_3)
	v_cndmask_b32_e64 v9, v12, v6, s2
	v_cndmask_b32_e64 v2, v8, v2, s2
	;; [unrolled: 1-line block ×3, first 2 shown]
	s_or_b32 exec_lo, exec_lo, s4
	s_and_saveexec_b32 s3, vcc_lo
	s_cbranch_execnz .LBB571_102
	s_branch .LBB571_103
	.section	.rodata,"a",@progbits
	.p2align	6, 0x0
	.amdhsa_kernel _ZN7rocprim17ROCPRIM_400000_NS6detail17trampoline_kernelINS0_14default_configENS1_22reduce_config_selectorIN6thrust23THRUST_200600_302600_NS5tupleIblNS6_9null_typeES8_S8_S8_S8_S8_S8_S8_EEEEZNS1_11reduce_implILb1ES3_NS6_12zip_iteratorINS7_INS6_11hip_rocprim26transform_input_iterator_tIbNSD_35transform_pair_of_input_iterators_tIbNS6_6detail15normal_iteratorINS6_10device_ptrIKsEEEESL_NS6_8equal_toIsEEEENSG_9not_fun_tINSD_8identityEEEEENSD_19counting_iterator_tIlEES8_S8_S8_S8_S8_S8_S8_S8_EEEEPS9_S9_NSD_9__find_if7functorIS9_EEEE10hipError_tPvRmT1_T2_T3_mT4_P12ihipStream_tbEUlT_E1_NS1_11comp_targetILNS1_3genE9ELNS1_11target_archE1100ELNS1_3gpuE3ELNS1_3repE0EEENS1_30default_config_static_selectorELNS0_4arch9wavefront6targetE0EEEvS14_
		.amdhsa_group_segment_fixed_size 640
		.amdhsa_private_segment_fixed_size 0
		.amdhsa_kernarg_size 88
		.amdhsa_user_sgpr_count 15
		.amdhsa_user_sgpr_dispatch_ptr 0
		.amdhsa_user_sgpr_queue_ptr 0
		.amdhsa_user_sgpr_kernarg_segment_ptr 1
		.amdhsa_user_sgpr_dispatch_id 0
		.amdhsa_user_sgpr_private_segment_size 0
		.amdhsa_wavefront_size32 1
		.amdhsa_uses_dynamic_stack 0
		.amdhsa_enable_private_segment 0
		.amdhsa_system_sgpr_workgroup_id_x 1
		.amdhsa_system_sgpr_workgroup_id_y 0
		.amdhsa_system_sgpr_workgroup_id_z 0
		.amdhsa_system_sgpr_workgroup_info 0
		.amdhsa_system_vgpr_workitem_id 0
		.amdhsa_next_free_vgpr 27
		.amdhsa_next_free_sgpr 32
		.amdhsa_reserve_vcc 1
		.amdhsa_float_round_mode_32 0
		.amdhsa_float_round_mode_16_64 0
		.amdhsa_float_denorm_mode_32 3
		.amdhsa_float_denorm_mode_16_64 3
		.amdhsa_dx10_clamp 1
		.amdhsa_ieee_mode 1
		.amdhsa_fp16_overflow 0
		.amdhsa_workgroup_processor_mode 1
		.amdhsa_memory_ordered 1
		.amdhsa_forward_progress 0
		.amdhsa_shared_vgpr_count 0
		.amdhsa_exception_fp_ieee_invalid_op 0
		.amdhsa_exception_fp_denorm_src 0
		.amdhsa_exception_fp_ieee_div_zero 0
		.amdhsa_exception_fp_ieee_overflow 0
		.amdhsa_exception_fp_ieee_underflow 0
		.amdhsa_exception_fp_ieee_inexact 0
		.amdhsa_exception_int_div_zero 0
	.end_amdhsa_kernel
	.section	.text._ZN7rocprim17ROCPRIM_400000_NS6detail17trampoline_kernelINS0_14default_configENS1_22reduce_config_selectorIN6thrust23THRUST_200600_302600_NS5tupleIblNS6_9null_typeES8_S8_S8_S8_S8_S8_S8_EEEEZNS1_11reduce_implILb1ES3_NS6_12zip_iteratorINS7_INS6_11hip_rocprim26transform_input_iterator_tIbNSD_35transform_pair_of_input_iterators_tIbNS6_6detail15normal_iteratorINS6_10device_ptrIKsEEEESL_NS6_8equal_toIsEEEENSG_9not_fun_tINSD_8identityEEEEENSD_19counting_iterator_tIlEES8_S8_S8_S8_S8_S8_S8_S8_EEEEPS9_S9_NSD_9__find_if7functorIS9_EEEE10hipError_tPvRmT1_T2_T3_mT4_P12ihipStream_tbEUlT_E1_NS1_11comp_targetILNS1_3genE9ELNS1_11target_archE1100ELNS1_3gpuE3ELNS1_3repE0EEENS1_30default_config_static_selectorELNS0_4arch9wavefront6targetE0EEEvS14_,"axG",@progbits,_ZN7rocprim17ROCPRIM_400000_NS6detail17trampoline_kernelINS0_14default_configENS1_22reduce_config_selectorIN6thrust23THRUST_200600_302600_NS5tupleIblNS6_9null_typeES8_S8_S8_S8_S8_S8_S8_EEEEZNS1_11reduce_implILb1ES3_NS6_12zip_iteratorINS7_INS6_11hip_rocprim26transform_input_iterator_tIbNSD_35transform_pair_of_input_iterators_tIbNS6_6detail15normal_iteratorINS6_10device_ptrIKsEEEESL_NS6_8equal_toIsEEEENSG_9not_fun_tINSD_8identityEEEEENSD_19counting_iterator_tIlEES8_S8_S8_S8_S8_S8_S8_S8_EEEEPS9_S9_NSD_9__find_if7functorIS9_EEEE10hipError_tPvRmT1_T2_T3_mT4_P12ihipStream_tbEUlT_E1_NS1_11comp_targetILNS1_3genE9ELNS1_11target_archE1100ELNS1_3gpuE3ELNS1_3repE0EEENS1_30default_config_static_selectorELNS0_4arch9wavefront6targetE0EEEvS14_,comdat
.Lfunc_end571:
	.size	_ZN7rocprim17ROCPRIM_400000_NS6detail17trampoline_kernelINS0_14default_configENS1_22reduce_config_selectorIN6thrust23THRUST_200600_302600_NS5tupleIblNS6_9null_typeES8_S8_S8_S8_S8_S8_S8_EEEEZNS1_11reduce_implILb1ES3_NS6_12zip_iteratorINS7_INS6_11hip_rocprim26transform_input_iterator_tIbNSD_35transform_pair_of_input_iterators_tIbNS6_6detail15normal_iteratorINS6_10device_ptrIKsEEEESL_NS6_8equal_toIsEEEENSG_9not_fun_tINSD_8identityEEEEENSD_19counting_iterator_tIlEES8_S8_S8_S8_S8_S8_S8_S8_EEEEPS9_S9_NSD_9__find_if7functorIS9_EEEE10hipError_tPvRmT1_T2_T3_mT4_P12ihipStream_tbEUlT_E1_NS1_11comp_targetILNS1_3genE9ELNS1_11target_archE1100ELNS1_3gpuE3ELNS1_3repE0EEENS1_30default_config_static_selectorELNS0_4arch9wavefront6targetE0EEEvS14_, .Lfunc_end571-_ZN7rocprim17ROCPRIM_400000_NS6detail17trampoline_kernelINS0_14default_configENS1_22reduce_config_selectorIN6thrust23THRUST_200600_302600_NS5tupleIblNS6_9null_typeES8_S8_S8_S8_S8_S8_S8_EEEEZNS1_11reduce_implILb1ES3_NS6_12zip_iteratorINS7_INS6_11hip_rocprim26transform_input_iterator_tIbNSD_35transform_pair_of_input_iterators_tIbNS6_6detail15normal_iteratorINS6_10device_ptrIKsEEEESL_NS6_8equal_toIsEEEENSG_9not_fun_tINSD_8identityEEEEENSD_19counting_iterator_tIlEES8_S8_S8_S8_S8_S8_S8_S8_EEEEPS9_S9_NSD_9__find_if7functorIS9_EEEE10hipError_tPvRmT1_T2_T3_mT4_P12ihipStream_tbEUlT_E1_NS1_11comp_targetILNS1_3genE9ELNS1_11target_archE1100ELNS1_3gpuE3ELNS1_3repE0EEENS1_30default_config_static_selectorELNS0_4arch9wavefront6targetE0EEEvS14_
                                        ; -- End function
	.section	.AMDGPU.csdata,"",@progbits
; Kernel info:
; codeLenInByte = 15880
; NumSgprs: 34
; NumVgprs: 27
; ScratchSize: 0
; MemoryBound: 0
; FloatMode: 240
; IeeeMode: 1
; LDSByteSize: 640 bytes/workgroup (compile time only)
; SGPRBlocks: 4
; VGPRBlocks: 3
; NumSGPRsForWavesPerEU: 34
; NumVGPRsForWavesPerEU: 27
; Occupancy: 16
; WaveLimiterHint : 0
; COMPUTE_PGM_RSRC2:SCRATCH_EN: 0
; COMPUTE_PGM_RSRC2:USER_SGPR: 15
; COMPUTE_PGM_RSRC2:TRAP_HANDLER: 0
; COMPUTE_PGM_RSRC2:TGID_X_EN: 1
; COMPUTE_PGM_RSRC2:TGID_Y_EN: 0
; COMPUTE_PGM_RSRC2:TGID_Z_EN: 0
; COMPUTE_PGM_RSRC2:TIDIG_COMP_CNT: 0
	.section	.text._ZN7rocprim17ROCPRIM_400000_NS6detail17trampoline_kernelINS0_14default_configENS1_22reduce_config_selectorIN6thrust23THRUST_200600_302600_NS5tupleIblNS6_9null_typeES8_S8_S8_S8_S8_S8_S8_EEEEZNS1_11reduce_implILb1ES3_NS6_12zip_iteratorINS7_INS6_11hip_rocprim26transform_input_iterator_tIbNSD_35transform_pair_of_input_iterators_tIbNS6_6detail15normal_iteratorINS6_10device_ptrIKsEEEESL_NS6_8equal_toIsEEEENSG_9not_fun_tINSD_8identityEEEEENSD_19counting_iterator_tIlEES8_S8_S8_S8_S8_S8_S8_S8_EEEEPS9_S9_NSD_9__find_if7functorIS9_EEEE10hipError_tPvRmT1_T2_T3_mT4_P12ihipStream_tbEUlT_E1_NS1_11comp_targetILNS1_3genE8ELNS1_11target_archE1030ELNS1_3gpuE2ELNS1_3repE0EEENS1_30default_config_static_selectorELNS0_4arch9wavefront6targetE0EEEvS14_,"axG",@progbits,_ZN7rocprim17ROCPRIM_400000_NS6detail17trampoline_kernelINS0_14default_configENS1_22reduce_config_selectorIN6thrust23THRUST_200600_302600_NS5tupleIblNS6_9null_typeES8_S8_S8_S8_S8_S8_S8_EEEEZNS1_11reduce_implILb1ES3_NS6_12zip_iteratorINS7_INS6_11hip_rocprim26transform_input_iterator_tIbNSD_35transform_pair_of_input_iterators_tIbNS6_6detail15normal_iteratorINS6_10device_ptrIKsEEEESL_NS6_8equal_toIsEEEENSG_9not_fun_tINSD_8identityEEEEENSD_19counting_iterator_tIlEES8_S8_S8_S8_S8_S8_S8_S8_EEEEPS9_S9_NSD_9__find_if7functorIS9_EEEE10hipError_tPvRmT1_T2_T3_mT4_P12ihipStream_tbEUlT_E1_NS1_11comp_targetILNS1_3genE8ELNS1_11target_archE1030ELNS1_3gpuE2ELNS1_3repE0EEENS1_30default_config_static_selectorELNS0_4arch9wavefront6targetE0EEEvS14_,comdat
	.protected	_ZN7rocprim17ROCPRIM_400000_NS6detail17trampoline_kernelINS0_14default_configENS1_22reduce_config_selectorIN6thrust23THRUST_200600_302600_NS5tupleIblNS6_9null_typeES8_S8_S8_S8_S8_S8_S8_EEEEZNS1_11reduce_implILb1ES3_NS6_12zip_iteratorINS7_INS6_11hip_rocprim26transform_input_iterator_tIbNSD_35transform_pair_of_input_iterators_tIbNS6_6detail15normal_iteratorINS6_10device_ptrIKsEEEESL_NS6_8equal_toIsEEEENSG_9not_fun_tINSD_8identityEEEEENSD_19counting_iterator_tIlEES8_S8_S8_S8_S8_S8_S8_S8_EEEEPS9_S9_NSD_9__find_if7functorIS9_EEEE10hipError_tPvRmT1_T2_T3_mT4_P12ihipStream_tbEUlT_E1_NS1_11comp_targetILNS1_3genE8ELNS1_11target_archE1030ELNS1_3gpuE2ELNS1_3repE0EEENS1_30default_config_static_selectorELNS0_4arch9wavefront6targetE0EEEvS14_ ; -- Begin function _ZN7rocprim17ROCPRIM_400000_NS6detail17trampoline_kernelINS0_14default_configENS1_22reduce_config_selectorIN6thrust23THRUST_200600_302600_NS5tupleIblNS6_9null_typeES8_S8_S8_S8_S8_S8_S8_EEEEZNS1_11reduce_implILb1ES3_NS6_12zip_iteratorINS7_INS6_11hip_rocprim26transform_input_iterator_tIbNSD_35transform_pair_of_input_iterators_tIbNS6_6detail15normal_iteratorINS6_10device_ptrIKsEEEESL_NS6_8equal_toIsEEEENSG_9not_fun_tINSD_8identityEEEEENSD_19counting_iterator_tIlEES8_S8_S8_S8_S8_S8_S8_S8_EEEEPS9_S9_NSD_9__find_if7functorIS9_EEEE10hipError_tPvRmT1_T2_T3_mT4_P12ihipStream_tbEUlT_E1_NS1_11comp_targetILNS1_3genE8ELNS1_11target_archE1030ELNS1_3gpuE2ELNS1_3repE0EEENS1_30default_config_static_selectorELNS0_4arch9wavefront6targetE0EEEvS14_
	.globl	_ZN7rocprim17ROCPRIM_400000_NS6detail17trampoline_kernelINS0_14default_configENS1_22reduce_config_selectorIN6thrust23THRUST_200600_302600_NS5tupleIblNS6_9null_typeES8_S8_S8_S8_S8_S8_S8_EEEEZNS1_11reduce_implILb1ES3_NS6_12zip_iteratorINS7_INS6_11hip_rocprim26transform_input_iterator_tIbNSD_35transform_pair_of_input_iterators_tIbNS6_6detail15normal_iteratorINS6_10device_ptrIKsEEEESL_NS6_8equal_toIsEEEENSG_9not_fun_tINSD_8identityEEEEENSD_19counting_iterator_tIlEES8_S8_S8_S8_S8_S8_S8_S8_EEEEPS9_S9_NSD_9__find_if7functorIS9_EEEE10hipError_tPvRmT1_T2_T3_mT4_P12ihipStream_tbEUlT_E1_NS1_11comp_targetILNS1_3genE8ELNS1_11target_archE1030ELNS1_3gpuE2ELNS1_3repE0EEENS1_30default_config_static_selectorELNS0_4arch9wavefront6targetE0EEEvS14_
	.p2align	8
	.type	_ZN7rocprim17ROCPRIM_400000_NS6detail17trampoline_kernelINS0_14default_configENS1_22reduce_config_selectorIN6thrust23THRUST_200600_302600_NS5tupleIblNS6_9null_typeES8_S8_S8_S8_S8_S8_S8_EEEEZNS1_11reduce_implILb1ES3_NS6_12zip_iteratorINS7_INS6_11hip_rocprim26transform_input_iterator_tIbNSD_35transform_pair_of_input_iterators_tIbNS6_6detail15normal_iteratorINS6_10device_ptrIKsEEEESL_NS6_8equal_toIsEEEENSG_9not_fun_tINSD_8identityEEEEENSD_19counting_iterator_tIlEES8_S8_S8_S8_S8_S8_S8_S8_EEEEPS9_S9_NSD_9__find_if7functorIS9_EEEE10hipError_tPvRmT1_T2_T3_mT4_P12ihipStream_tbEUlT_E1_NS1_11comp_targetILNS1_3genE8ELNS1_11target_archE1030ELNS1_3gpuE2ELNS1_3repE0EEENS1_30default_config_static_selectorELNS0_4arch9wavefront6targetE0EEEvS14_,@function
_ZN7rocprim17ROCPRIM_400000_NS6detail17trampoline_kernelINS0_14default_configENS1_22reduce_config_selectorIN6thrust23THRUST_200600_302600_NS5tupleIblNS6_9null_typeES8_S8_S8_S8_S8_S8_S8_EEEEZNS1_11reduce_implILb1ES3_NS6_12zip_iteratorINS7_INS6_11hip_rocprim26transform_input_iterator_tIbNSD_35transform_pair_of_input_iterators_tIbNS6_6detail15normal_iteratorINS6_10device_ptrIKsEEEESL_NS6_8equal_toIsEEEENSG_9not_fun_tINSD_8identityEEEEENSD_19counting_iterator_tIlEES8_S8_S8_S8_S8_S8_S8_S8_EEEEPS9_S9_NSD_9__find_if7functorIS9_EEEE10hipError_tPvRmT1_T2_T3_mT4_P12ihipStream_tbEUlT_E1_NS1_11comp_targetILNS1_3genE8ELNS1_11target_archE1030ELNS1_3gpuE2ELNS1_3repE0EEENS1_30default_config_static_selectorELNS0_4arch9wavefront6targetE0EEEvS14_: ; @_ZN7rocprim17ROCPRIM_400000_NS6detail17trampoline_kernelINS0_14default_configENS1_22reduce_config_selectorIN6thrust23THRUST_200600_302600_NS5tupleIblNS6_9null_typeES8_S8_S8_S8_S8_S8_S8_EEEEZNS1_11reduce_implILb1ES3_NS6_12zip_iteratorINS7_INS6_11hip_rocprim26transform_input_iterator_tIbNSD_35transform_pair_of_input_iterators_tIbNS6_6detail15normal_iteratorINS6_10device_ptrIKsEEEESL_NS6_8equal_toIsEEEENSG_9not_fun_tINSD_8identityEEEEENSD_19counting_iterator_tIlEES8_S8_S8_S8_S8_S8_S8_S8_EEEEPS9_S9_NSD_9__find_if7functorIS9_EEEE10hipError_tPvRmT1_T2_T3_mT4_P12ihipStream_tbEUlT_E1_NS1_11comp_targetILNS1_3genE8ELNS1_11target_archE1030ELNS1_3gpuE2ELNS1_3repE0EEENS1_30default_config_static_selectorELNS0_4arch9wavefront6targetE0EEEvS14_
; %bb.0:
	.section	.rodata,"a",@progbits
	.p2align	6, 0x0
	.amdhsa_kernel _ZN7rocprim17ROCPRIM_400000_NS6detail17trampoline_kernelINS0_14default_configENS1_22reduce_config_selectorIN6thrust23THRUST_200600_302600_NS5tupleIblNS6_9null_typeES8_S8_S8_S8_S8_S8_S8_EEEEZNS1_11reduce_implILb1ES3_NS6_12zip_iteratorINS7_INS6_11hip_rocprim26transform_input_iterator_tIbNSD_35transform_pair_of_input_iterators_tIbNS6_6detail15normal_iteratorINS6_10device_ptrIKsEEEESL_NS6_8equal_toIsEEEENSG_9not_fun_tINSD_8identityEEEEENSD_19counting_iterator_tIlEES8_S8_S8_S8_S8_S8_S8_S8_EEEEPS9_S9_NSD_9__find_if7functorIS9_EEEE10hipError_tPvRmT1_T2_T3_mT4_P12ihipStream_tbEUlT_E1_NS1_11comp_targetILNS1_3genE8ELNS1_11target_archE1030ELNS1_3gpuE2ELNS1_3repE0EEENS1_30default_config_static_selectorELNS0_4arch9wavefront6targetE0EEEvS14_
		.amdhsa_group_segment_fixed_size 0
		.amdhsa_private_segment_fixed_size 0
		.amdhsa_kernarg_size 88
		.amdhsa_user_sgpr_count 15
		.amdhsa_user_sgpr_dispatch_ptr 0
		.amdhsa_user_sgpr_queue_ptr 0
		.amdhsa_user_sgpr_kernarg_segment_ptr 1
		.amdhsa_user_sgpr_dispatch_id 0
		.amdhsa_user_sgpr_private_segment_size 0
		.amdhsa_wavefront_size32 1
		.amdhsa_uses_dynamic_stack 0
		.amdhsa_enable_private_segment 0
		.amdhsa_system_sgpr_workgroup_id_x 1
		.amdhsa_system_sgpr_workgroup_id_y 0
		.amdhsa_system_sgpr_workgroup_id_z 0
		.amdhsa_system_sgpr_workgroup_info 0
		.amdhsa_system_vgpr_workitem_id 0
		.amdhsa_next_free_vgpr 1
		.amdhsa_next_free_sgpr 1
		.amdhsa_reserve_vcc 0
		.amdhsa_float_round_mode_32 0
		.amdhsa_float_round_mode_16_64 0
		.amdhsa_float_denorm_mode_32 3
		.amdhsa_float_denorm_mode_16_64 3
		.amdhsa_dx10_clamp 1
		.amdhsa_ieee_mode 1
		.amdhsa_fp16_overflow 0
		.amdhsa_workgroup_processor_mode 1
		.amdhsa_memory_ordered 1
		.amdhsa_forward_progress 0
		.amdhsa_shared_vgpr_count 0
		.amdhsa_exception_fp_ieee_invalid_op 0
		.amdhsa_exception_fp_denorm_src 0
		.amdhsa_exception_fp_ieee_div_zero 0
		.amdhsa_exception_fp_ieee_overflow 0
		.amdhsa_exception_fp_ieee_underflow 0
		.amdhsa_exception_fp_ieee_inexact 0
		.amdhsa_exception_int_div_zero 0
	.end_amdhsa_kernel
	.section	.text._ZN7rocprim17ROCPRIM_400000_NS6detail17trampoline_kernelINS0_14default_configENS1_22reduce_config_selectorIN6thrust23THRUST_200600_302600_NS5tupleIblNS6_9null_typeES8_S8_S8_S8_S8_S8_S8_EEEEZNS1_11reduce_implILb1ES3_NS6_12zip_iteratorINS7_INS6_11hip_rocprim26transform_input_iterator_tIbNSD_35transform_pair_of_input_iterators_tIbNS6_6detail15normal_iteratorINS6_10device_ptrIKsEEEESL_NS6_8equal_toIsEEEENSG_9not_fun_tINSD_8identityEEEEENSD_19counting_iterator_tIlEES8_S8_S8_S8_S8_S8_S8_S8_EEEEPS9_S9_NSD_9__find_if7functorIS9_EEEE10hipError_tPvRmT1_T2_T3_mT4_P12ihipStream_tbEUlT_E1_NS1_11comp_targetILNS1_3genE8ELNS1_11target_archE1030ELNS1_3gpuE2ELNS1_3repE0EEENS1_30default_config_static_selectorELNS0_4arch9wavefront6targetE0EEEvS14_,"axG",@progbits,_ZN7rocprim17ROCPRIM_400000_NS6detail17trampoline_kernelINS0_14default_configENS1_22reduce_config_selectorIN6thrust23THRUST_200600_302600_NS5tupleIblNS6_9null_typeES8_S8_S8_S8_S8_S8_S8_EEEEZNS1_11reduce_implILb1ES3_NS6_12zip_iteratorINS7_INS6_11hip_rocprim26transform_input_iterator_tIbNSD_35transform_pair_of_input_iterators_tIbNS6_6detail15normal_iteratorINS6_10device_ptrIKsEEEESL_NS6_8equal_toIsEEEENSG_9not_fun_tINSD_8identityEEEEENSD_19counting_iterator_tIlEES8_S8_S8_S8_S8_S8_S8_S8_EEEEPS9_S9_NSD_9__find_if7functorIS9_EEEE10hipError_tPvRmT1_T2_T3_mT4_P12ihipStream_tbEUlT_E1_NS1_11comp_targetILNS1_3genE8ELNS1_11target_archE1030ELNS1_3gpuE2ELNS1_3repE0EEENS1_30default_config_static_selectorELNS0_4arch9wavefront6targetE0EEEvS14_,comdat
.Lfunc_end572:
	.size	_ZN7rocprim17ROCPRIM_400000_NS6detail17trampoline_kernelINS0_14default_configENS1_22reduce_config_selectorIN6thrust23THRUST_200600_302600_NS5tupleIblNS6_9null_typeES8_S8_S8_S8_S8_S8_S8_EEEEZNS1_11reduce_implILb1ES3_NS6_12zip_iteratorINS7_INS6_11hip_rocprim26transform_input_iterator_tIbNSD_35transform_pair_of_input_iterators_tIbNS6_6detail15normal_iteratorINS6_10device_ptrIKsEEEESL_NS6_8equal_toIsEEEENSG_9not_fun_tINSD_8identityEEEEENSD_19counting_iterator_tIlEES8_S8_S8_S8_S8_S8_S8_S8_EEEEPS9_S9_NSD_9__find_if7functorIS9_EEEE10hipError_tPvRmT1_T2_T3_mT4_P12ihipStream_tbEUlT_E1_NS1_11comp_targetILNS1_3genE8ELNS1_11target_archE1030ELNS1_3gpuE2ELNS1_3repE0EEENS1_30default_config_static_selectorELNS0_4arch9wavefront6targetE0EEEvS14_, .Lfunc_end572-_ZN7rocprim17ROCPRIM_400000_NS6detail17trampoline_kernelINS0_14default_configENS1_22reduce_config_selectorIN6thrust23THRUST_200600_302600_NS5tupleIblNS6_9null_typeES8_S8_S8_S8_S8_S8_S8_EEEEZNS1_11reduce_implILb1ES3_NS6_12zip_iteratorINS7_INS6_11hip_rocprim26transform_input_iterator_tIbNSD_35transform_pair_of_input_iterators_tIbNS6_6detail15normal_iteratorINS6_10device_ptrIKsEEEESL_NS6_8equal_toIsEEEENSG_9not_fun_tINSD_8identityEEEEENSD_19counting_iterator_tIlEES8_S8_S8_S8_S8_S8_S8_S8_EEEEPS9_S9_NSD_9__find_if7functorIS9_EEEE10hipError_tPvRmT1_T2_T3_mT4_P12ihipStream_tbEUlT_E1_NS1_11comp_targetILNS1_3genE8ELNS1_11target_archE1030ELNS1_3gpuE2ELNS1_3repE0EEENS1_30default_config_static_selectorELNS0_4arch9wavefront6targetE0EEEvS14_
                                        ; -- End function
	.section	.AMDGPU.csdata,"",@progbits
; Kernel info:
; codeLenInByte = 0
; NumSgprs: 0
; NumVgprs: 0
; ScratchSize: 0
; MemoryBound: 0
; FloatMode: 240
; IeeeMode: 1
; LDSByteSize: 0 bytes/workgroup (compile time only)
; SGPRBlocks: 0
; VGPRBlocks: 0
; NumSGPRsForWavesPerEU: 1
; NumVGPRsForWavesPerEU: 1
; Occupancy: 16
; WaveLimiterHint : 0
; COMPUTE_PGM_RSRC2:SCRATCH_EN: 0
; COMPUTE_PGM_RSRC2:USER_SGPR: 15
; COMPUTE_PGM_RSRC2:TRAP_HANDLER: 0
; COMPUTE_PGM_RSRC2:TGID_X_EN: 1
; COMPUTE_PGM_RSRC2:TGID_Y_EN: 0
; COMPUTE_PGM_RSRC2:TGID_Z_EN: 0
; COMPUTE_PGM_RSRC2:TIDIG_COMP_CNT: 0
	.section	.text._ZN7rocprim17ROCPRIM_400000_NS6detail17trampoline_kernelINS0_14default_configENS1_35adjacent_difference_config_selectorILb0EdEEZNS1_24adjacent_difference_implIS3_Lb0ELb0EPKdPdN6thrust23THRUST_200600_302600_NS4plusIdEEEE10hipError_tPvRmT2_T3_mT4_P12ihipStream_tbEUlT_E_NS1_11comp_targetILNS1_3genE0ELNS1_11target_archE4294967295ELNS1_3gpuE0ELNS1_3repE0EEENS1_30default_config_static_selectorELNS0_4arch9wavefront6targetE0EEEvT1_,"axG",@progbits,_ZN7rocprim17ROCPRIM_400000_NS6detail17trampoline_kernelINS0_14default_configENS1_35adjacent_difference_config_selectorILb0EdEEZNS1_24adjacent_difference_implIS3_Lb0ELb0EPKdPdN6thrust23THRUST_200600_302600_NS4plusIdEEEE10hipError_tPvRmT2_T3_mT4_P12ihipStream_tbEUlT_E_NS1_11comp_targetILNS1_3genE0ELNS1_11target_archE4294967295ELNS1_3gpuE0ELNS1_3repE0EEENS1_30default_config_static_selectorELNS0_4arch9wavefront6targetE0EEEvT1_,comdat
	.protected	_ZN7rocprim17ROCPRIM_400000_NS6detail17trampoline_kernelINS0_14default_configENS1_35adjacent_difference_config_selectorILb0EdEEZNS1_24adjacent_difference_implIS3_Lb0ELb0EPKdPdN6thrust23THRUST_200600_302600_NS4plusIdEEEE10hipError_tPvRmT2_T3_mT4_P12ihipStream_tbEUlT_E_NS1_11comp_targetILNS1_3genE0ELNS1_11target_archE4294967295ELNS1_3gpuE0ELNS1_3repE0EEENS1_30default_config_static_selectorELNS0_4arch9wavefront6targetE0EEEvT1_ ; -- Begin function _ZN7rocprim17ROCPRIM_400000_NS6detail17trampoline_kernelINS0_14default_configENS1_35adjacent_difference_config_selectorILb0EdEEZNS1_24adjacent_difference_implIS3_Lb0ELb0EPKdPdN6thrust23THRUST_200600_302600_NS4plusIdEEEE10hipError_tPvRmT2_T3_mT4_P12ihipStream_tbEUlT_E_NS1_11comp_targetILNS1_3genE0ELNS1_11target_archE4294967295ELNS1_3gpuE0ELNS1_3repE0EEENS1_30default_config_static_selectorELNS0_4arch9wavefront6targetE0EEEvT1_
	.globl	_ZN7rocprim17ROCPRIM_400000_NS6detail17trampoline_kernelINS0_14default_configENS1_35adjacent_difference_config_selectorILb0EdEEZNS1_24adjacent_difference_implIS3_Lb0ELb0EPKdPdN6thrust23THRUST_200600_302600_NS4plusIdEEEE10hipError_tPvRmT2_T3_mT4_P12ihipStream_tbEUlT_E_NS1_11comp_targetILNS1_3genE0ELNS1_11target_archE4294967295ELNS1_3gpuE0ELNS1_3repE0EEENS1_30default_config_static_selectorELNS0_4arch9wavefront6targetE0EEEvT1_
	.p2align	8
	.type	_ZN7rocprim17ROCPRIM_400000_NS6detail17trampoline_kernelINS0_14default_configENS1_35adjacent_difference_config_selectorILb0EdEEZNS1_24adjacent_difference_implIS3_Lb0ELb0EPKdPdN6thrust23THRUST_200600_302600_NS4plusIdEEEE10hipError_tPvRmT2_T3_mT4_P12ihipStream_tbEUlT_E_NS1_11comp_targetILNS1_3genE0ELNS1_11target_archE4294967295ELNS1_3gpuE0ELNS1_3repE0EEENS1_30default_config_static_selectorELNS0_4arch9wavefront6targetE0EEEvT1_,@function
_ZN7rocprim17ROCPRIM_400000_NS6detail17trampoline_kernelINS0_14default_configENS1_35adjacent_difference_config_selectorILb0EdEEZNS1_24adjacent_difference_implIS3_Lb0ELb0EPKdPdN6thrust23THRUST_200600_302600_NS4plusIdEEEE10hipError_tPvRmT2_T3_mT4_P12ihipStream_tbEUlT_E_NS1_11comp_targetILNS1_3genE0ELNS1_11target_archE4294967295ELNS1_3gpuE0ELNS1_3repE0EEENS1_30default_config_static_selectorELNS0_4arch9wavefront6targetE0EEEvT1_: ; @_ZN7rocprim17ROCPRIM_400000_NS6detail17trampoline_kernelINS0_14default_configENS1_35adjacent_difference_config_selectorILb0EdEEZNS1_24adjacent_difference_implIS3_Lb0ELb0EPKdPdN6thrust23THRUST_200600_302600_NS4plusIdEEEE10hipError_tPvRmT2_T3_mT4_P12ihipStream_tbEUlT_E_NS1_11comp_targetILNS1_3genE0ELNS1_11target_archE4294967295ELNS1_3gpuE0ELNS1_3repE0EEENS1_30default_config_static_selectorELNS0_4arch9wavefront6targetE0EEEvT1_
; %bb.0:
	.section	.rodata,"a",@progbits
	.p2align	6, 0x0
	.amdhsa_kernel _ZN7rocprim17ROCPRIM_400000_NS6detail17trampoline_kernelINS0_14default_configENS1_35adjacent_difference_config_selectorILb0EdEEZNS1_24adjacent_difference_implIS3_Lb0ELb0EPKdPdN6thrust23THRUST_200600_302600_NS4plusIdEEEE10hipError_tPvRmT2_T3_mT4_P12ihipStream_tbEUlT_E_NS1_11comp_targetILNS1_3genE0ELNS1_11target_archE4294967295ELNS1_3gpuE0ELNS1_3repE0EEENS1_30default_config_static_selectorELNS0_4arch9wavefront6targetE0EEEvT1_
		.amdhsa_group_segment_fixed_size 0
		.amdhsa_private_segment_fixed_size 0
		.amdhsa_kernarg_size 56
		.amdhsa_user_sgpr_count 15
		.amdhsa_user_sgpr_dispatch_ptr 0
		.amdhsa_user_sgpr_queue_ptr 0
		.amdhsa_user_sgpr_kernarg_segment_ptr 1
		.amdhsa_user_sgpr_dispatch_id 0
		.amdhsa_user_sgpr_private_segment_size 0
		.amdhsa_wavefront_size32 1
		.amdhsa_uses_dynamic_stack 0
		.amdhsa_enable_private_segment 0
		.amdhsa_system_sgpr_workgroup_id_x 1
		.amdhsa_system_sgpr_workgroup_id_y 0
		.amdhsa_system_sgpr_workgroup_id_z 0
		.amdhsa_system_sgpr_workgroup_info 0
		.amdhsa_system_vgpr_workitem_id 0
		.amdhsa_next_free_vgpr 1
		.amdhsa_next_free_sgpr 1
		.amdhsa_reserve_vcc 0
		.amdhsa_float_round_mode_32 0
		.amdhsa_float_round_mode_16_64 0
		.amdhsa_float_denorm_mode_32 3
		.amdhsa_float_denorm_mode_16_64 3
		.amdhsa_dx10_clamp 1
		.amdhsa_ieee_mode 1
		.amdhsa_fp16_overflow 0
		.amdhsa_workgroup_processor_mode 1
		.amdhsa_memory_ordered 1
		.amdhsa_forward_progress 0
		.amdhsa_shared_vgpr_count 0
		.amdhsa_exception_fp_ieee_invalid_op 0
		.amdhsa_exception_fp_denorm_src 0
		.amdhsa_exception_fp_ieee_div_zero 0
		.amdhsa_exception_fp_ieee_overflow 0
		.amdhsa_exception_fp_ieee_underflow 0
		.amdhsa_exception_fp_ieee_inexact 0
		.amdhsa_exception_int_div_zero 0
	.end_amdhsa_kernel
	.section	.text._ZN7rocprim17ROCPRIM_400000_NS6detail17trampoline_kernelINS0_14default_configENS1_35adjacent_difference_config_selectorILb0EdEEZNS1_24adjacent_difference_implIS3_Lb0ELb0EPKdPdN6thrust23THRUST_200600_302600_NS4plusIdEEEE10hipError_tPvRmT2_T3_mT4_P12ihipStream_tbEUlT_E_NS1_11comp_targetILNS1_3genE0ELNS1_11target_archE4294967295ELNS1_3gpuE0ELNS1_3repE0EEENS1_30default_config_static_selectorELNS0_4arch9wavefront6targetE0EEEvT1_,"axG",@progbits,_ZN7rocprim17ROCPRIM_400000_NS6detail17trampoline_kernelINS0_14default_configENS1_35adjacent_difference_config_selectorILb0EdEEZNS1_24adjacent_difference_implIS3_Lb0ELb0EPKdPdN6thrust23THRUST_200600_302600_NS4plusIdEEEE10hipError_tPvRmT2_T3_mT4_P12ihipStream_tbEUlT_E_NS1_11comp_targetILNS1_3genE0ELNS1_11target_archE4294967295ELNS1_3gpuE0ELNS1_3repE0EEENS1_30default_config_static_selectorELNS0_4arch9wavefront6targetE0EEEvT1_,comdat
.Lfunc_end573:
	.size	_ZN7rocprim17ROCPRIM_400000_NS6detail17trampoline_kernelINS0_14default_configENS1_35adjacent_difference_config_selectorILb0EdEEZNS1_24adjacent_difference_implIS3_Lb0ELb0EPKdPdN6thrust23THRUST_200600_302600_NS4plusIdEEEE10hipError_tPvRmT2_T3_mT4_P12ihipStream_tbEUlT_E_NS1_11comp_targetILNS1_3genE0ELNS1_11target_archE4294967295ELNS1_3gpuE0ELNS1_3repE0EEENS1_30default_config_static_selectorELNS0_4arch9wavefront6targetE0EEEvT1_, .Lfunc_end573-_ZN7rocprim17ROCPRIM_400000_NS6detail17trampoline_kernelINS0_14default_configENS1_35adjacent_difference_config_selectorILb0EdEEZNS1_24adjacent_difference_implIS3_Lb0ELb0EPKdPdN6thrust23THRUST_200600_302600_NS4plusIdEEEE10hipError_tPvRmT2_T3_mT4_P12ihipStream_tbEUlT_E_NS1_11comp_targetILNS1_3genE0ELNS1_11target_archE4294967295ELNS1_3gpuE0ELNS1_3repE0EEENS1_30default_config_static_selectorELNS0_4arch9wavefront6targetE0EEEvT1_
                                        ; -- End function
	.section	.AMDGPU.csdata,"",@progbits
; Kernel info:
; codeLenInByte = 0
; NumSgprs: 0
; NumVgprs: 0
; ScratchSize: 0
; MemoryBound: 0
; FloatMode: 240
; IeeeMode: 1
; LDSByteSize: 0 bytes/workgroup (compile time only)
; SGPRBlocks: 0
; VGPRBlocks: 0
; NumSGPRsForWavesPerEU: 1
; NumVGPRsForWavesPerEU: 1
; Occupancy: 16
; WaveLimiterHint : 0
; COMPUTE_PGM_RSRC2:SCRATCH_EN: 0
; COMPUTE_PGM_RSRC2:USER_SGPR: 15
; COMPUTE_PGM_RSRC2:TRAP_HANDLER: 0
; COMPUTE_PGM_RSRC2:TGID_X_EN: 1
; COMPUTE_PGM_RSRC2:TGID_Y_EN: 0
; COMPUTE_PGM_RSRC2:TGID_Z_EN: 0
; COMPUTE_PGM_RSRC2:TIDIG_COMP_CNT: 0
	.section	.text._ZN7rocprim17ROCPRIM_400000_NS6detail17trampoline_kernelINS0_14default_configENS1_35adjacent_difference_config_selectorILb0EdEEZNS1_24adjacent_difference_implIS3_Lb0ELb0EPKdPdN6thrust23THRUST_200600_302600_NS4plusIdEEEE10hipError_tPvRmT2_T3_mT4_P12ihipStream_tbEUlT_E_NS1_11comp_targetILNS1_3genE10ELNS1_11target_archE1201ELNS1_3gpuE5ELNS1_3repE0EEENS1_30default_config_static_selectorELNS0_4arch9wavefront6targetE0EEEvT1_,"axG",@progbits,_ZN7rocprim17ROCPRIM_400000_NS6detail17trampoline_kernelINS0_14default_configENS1_35adjacent_difference_config_selectorILb0EdEEZNS1_24adjacent_difference_implIS3_Lb0ELb0EPKdPdN6thrust23THRUST_200600_302600_NS4plusIdEEEE10hipError_tPvRmT2_T3_mT4_P12ihipStream_tbEUlT_E_NS1_11comp_targetILNS1_3genE10ELNS1_11target_archE1201ELNS1_3gpuE5ELNS1_3repE0EEENS1_30default_config_static_selectorELNS0_4arch9wavefront6targetE0EEEvT1_,comdat
	.protected	_ZN7rocprim17ROCPRIM_400000_NS6detail17trampoline_kernelINS0_14default_configENS1_35adjacent_difference_config_selectorILb0EdEEZNS1_24adjacent_difference_implIS3_Lb0ELb0EPKdPdN6thrust23THRUST_200600_302600_NS4plusIdEEEE10hipError_tPvRmT2_T3_mT4_P12ihipStream_tbEUlT_E_NS1_11comp_targetILNS1_3genE10ELNS1_11target_archE1201ELNS1_3gpuE5ELNS1_3repE0EEENS1_30default_config_static_selectorELNS0_4arch9wavefront6targetE0EEEvT1_ ; -- Begin function _ZN7rocprim17ROCPRIM_400000_NS6detail17trampoline_kernelINS0_14default_configENS1_35adjacent_difference_config_selectorILb0EdEEZNS1_24adjacent_difference_implIS3_Lb0ELb0EPKdPdN6thrust23THRUST_200600_302600_NS4plusIdEEEE10hipError_tPvRmT2_T3_mT4_P12ihipStream_tbEUlT_E_NS1_11comp_targetILNS1_3genE10ELNS1_11target_archE1201ELNS1_3gpuE5ELNS1_3repE0EEENS1_30default_config_static_selectorELNS0_4arch9wavefront6targetE0EEEvT1_
	.globl	_ZN7rocprim17ROCPRIM_400000_NS6detail17trampoline_kernelINS0_14default_configENS1_35adjacent_difference_config_selectorILb0EdEEZNS1_24adjacent_difference_implIS3_Lb0ELb0EPKdPdN6thrust23THRUST_200600_302600_NS4plusIdEEEE10hipError_tPvRmT2_T3_mT4_P12ihipStream_tbEUlT_E_NS1_11comp_targetILNS1_3genE10ELNS1_11target_archE1201ELNS1_3gpuE5ELNS1_3repE0EEENS1_30default_config_static_selectorELNS0_4arch9wavefront6targetE0EEEvT1_
	.p2align	8
	.type	_ZN7rocprim17ROCPRIM_400000_NS6detail17trampoline_kernelINS0_14default_configENS1_35adjacent_difference_config_selectorILb0EdEEZNS1_24adjacent_difference_implIS3_Lb0ELb0EPKdPdN6thrust23THRUST_200600_302600_NS4plusIdEEEE10hipError_tPvRmT2_T3_mT4_P12ihipStream_tbEUlT_E_NS1_11comp_targetILNS1_3genE10ELNS1_11target_archE1201ELNS1_3gpuE5ELNS1_3repE0EEENS1_30default_config_static_selectorELNS0_4arch9wavefront6targetE0EEEvT1_,@function
_ZN7rocprim17ROCPRIM_400000_NS6detail17trampoline_kernelINS0_14default_configENS1_35adjacent_difference_config_selectorILb0EdEEZNS1_24adjacent_difference_implIS3_Lb0ELb0EPKdPdN6thrust23THRUST_200600_302600_NS4plusIdEEEE10hipError_tPvRmT2_T3_mT4_P12ihipStream_tbEUlT_E_NS1_11comp_targetILNS1_3genE10ELNS1_11target_archE1201ELNS1_3gpuE5ELNS1_3repE0EEENS1_30default_config_static_selectorELNS0_4arch9wavefront6targetE0EEEvT1_: ; @_ZN7rocprim17ROCPRIM_400000_NS6detail17trampoline_kernelINS0_14default_configENS1_35adjacent_difference_config_selectorILb0EdEEZNS1_24adjacent_difference_implIS3_Lb0ELb0EPKdPdN6thrust23THRUST_200600_302600_NS4plusIdEEEE10hipError_tPvRmT2_T3_mT4_P12ihipStream_tbEUlT_E_NS1_11comp_targetILNS1_3genE10ELNS1_11target_archE1201ELNS1_3gpuE5ELNS1_3repE0EEENS1_30default_config_static_selectorELNS0_4arch9wavefront6targetE0EEEvT1_
; %bb.0:
	.section	.rodata,"a",@progbits
	.p2align	6, 0x0
	.amdhsa_kernel _ZN7rocprim17ROCPRIM_400000_NS6detail17trampoline_kernelINS0_14default_configENS1_35adjacent_difference_config_selectorILb0EdEEZNS1_24adjacent_difference_implIS3_Lb0ELb0EPKdPdN6thrust23THRUST_200600_302600_NS4plusIdEEEE10hipError_tPvRmT2_T3_mT4_P12ihipStream_tbEUlT_E_NS1_11comp_targetILNS1_3genE10ELNS1_11target_archE1201ELNS1_3gpuE5ELNS1_3repE0EEENS1_30default_config_static_selectorELNS0_4arch9wavefront6targetE0EEEvT1_
		.amdhsa_group_segment_fixed_size 0
		.amdhsa_private_segment_fixed_size 0
		.amdhsa_kernarg_size 56
		.amdhsa_user_sgpr_count 15
		.amdhsa_user_sgpr_dispatch_ptr 0
		.amdhsa_user_sgpr_queue_ptr 0
		.amdhsa_user_sgpr_kernarg_segment_ptr 1
		.amdhsa_user_sgpr_dispatch_id 0
		.amdhsa_user_sgpr_private_segment_size 0
		.amdhsa_wavefront_size32 1
		.amdhsa_uses_dynamic_stack 0
		.amdhsa_enable_private_segment 0
		.amdhsa_system_sgpr_workgroup_id_x 1
		.amdhsa_system_sgpr_workgroup_id_y 0
		.amdhsa_system_sgpr_workgroup_id_z 0
		.amdhsa_system_sgpr_workgroup_info 0
		.amdhsa_system_vgpr_workitem_id 0
		.amdhsa_next_free_vgpr 1
		.amdhsa_next_free_sgpr 1
		.amdhsa_reserve_vcc 0
		.amdhsa_float_round_mode_32 0
		.amdhsa_float_round_mode_16_64 0
		.amdhsa_float_denorm_mode_32 3
		.amdhsa_float_denorm_mode_16_64 3
		.amdhsa_dx10_clamp 1
		.amdhsa_ieee_mode 1
		.amdhsa_fp16_overflow 0
		.amdhsa_workgroup_processor_mode 1
		.amdhsa_memory_ordered 1
		.amdhsa_forward_progress 0
		.amdhsa_shared_vgpr_count 0
		.amdhsa_exception_fp_ieee_invalid_op 0
		.amdhsa_exception_fp_denorm_src 0
		.amdhsa_exception_fp_ieee_div_zero 0
		.amdhsa_exception_fp_ieee_overflow 0
		.amdhsa_exception_fp_ieee_underflow 0
		.amdhsa_exception_fp_ieee_inexact 0
		.amdhsa_exception_int_div_zero 0
	.end_amdhsa_kernel
	.section	.text._ZN7rocprim17ROCPRIM_400000_NS6detail17trampoline_kernelINS0_14default_configENS1_35adjacent_difference_config_selectorILb0EdEEZNS1_24adjacent_difference_implIS3_Lb0ELb0EPKdPdN6thrust23THRUST_200600_302600_NS4plusIdEEEE10hipError_tPvRmT2_T3_mT4_P12ihipStream_tbEUlT_E_NS1_11comp_targetILNS1_3genE10ELNS1_11target_archE1201ELNS1_3gpuE5ELNS1_3repE0EEENS1_30default_config_static_selectorELNS0_4arch9wavefront6targetE0EEEvT1_,"axG",@progbits,_ZN7rocprim17ROCPRIM_400000_NS6detail17trampoline_kernelINS0_14default_configENS1_35adjacent_difference_config_selectorILb0EdEEZNS1_24adjacent_difference_implIS3_Lb0ELb0EPKdPdN6thrust23THRUST_200600_302600_NS4plusIdEEEE10hipError_tPvRmT2_T3_mT4_P12ihipStream_tbEUlT_E_NS1_11comp_targetILNS1_3genE10ELNS1_11target_archE1201ELNS1_3gpuE5ELNS1_3repE0EEENS1_30default_config_static_selectorELNS0_4arch9wavefront6targetE0EEEvT1_,comdat
.Lfunc_end574:
	.size	_ZN7rocprim17ROCPRIM_400000_NS6detail17trampoline_kernelINS0_14default_configENS1_35adjacent_difference_config_selectorILb0EdEEZNS1_24adjacent_difference_implIS3_Lb0ELb0EPKdPdN6thrust23THRUST_200600_302600_NS4plusIdEEEE10hipError_tPvRmT2_T3_mT4_P12ihipStream_tbEUlT_E_NS1_11comp_targetILNS1_3genE10ELNS1_11target_archE1201ELNS1_3gpuE5ELNS1_3repE0EEENS1_30default_config_static_selectorELNS0_4arch9wavefront6targetE0EEEvT1_, .Lfunc_end574-_ZN7rocprim17ROCPRIM_400000_NS6detail17trampoline_kernelINS0_14default_configENS1_35adjacent_difference_config_selectorILb0EdEEZNS1_24adjacent_difference_implIS3_Lb0ELb0EPKdPdN6thrust23THRUST_200600_302600_NS4plusIdEEEE10hipError_tPvRmT2_T3_mT4_P12ihipStream_tbEUlT_E_NS1_11comp_targetILNS1_3genE10ELNS1_11target_archE1201ELNS1_3gpuE5ELNS1_3repE0EEENS1_30default_config_static_selectorELNS0_4arch9wavefront6targetE0EEEvT1_
                                        ; -- End function
	.section	.AMDGPU.csdata,"",@progbits
; Kernel info:
; codeLenInByte = 0
; NumSgprs: 0
; NumVgprs: 0
; ScratchSize: 0
; MemoryBound: 0
; FloatMode: 240
; IeeeMode: 1
; LDSByteSize: 0 bytes/workgroup (compile time only)
; SGPRBlocks: 0
; VGPRBlocks: 0
; NumSGPRsForWavesPerEU: 1
; NumVGPRsForWavesPerEU: 1
; Occupancy: 16
; WaveLimiterHint : 0
; COMPUTE_PGM_RSRC2:SCRATCH_EN: 0
; COMPUTE_PGM_RSRC2:USER_SGPR: 15
; COMPUTE_PGM_RSRC2:TRAP_HANDLER: 0
; COMPUTE_PGM_RSRC2:TGID_X_EN: 1
; COMPUTE_PGM_RSRC2:TGID_Y_EN: 0
; COMPUTE_PGM_RSRC2:TGID_Z_EN: 0
; COMPUTE_PGM_RSRC2:TIDIG_COMP_CNT: 0
	.section	.text._ZN7rocprim17ROCPRIM_400000_NS6detail17trampoline_kernelINS0_14default_configENS1_35adjacent_difference_config_selectorILb0EdEEZNS1_24adjacent_difference_implIS3_Lb0ELb0EPKdPdN6thrust23THRUST_200600_302600_NS4plusIdEEEE10hipError_tPvRmT2_T3_mT4_P12ihipStream_tbEUlT_E_NS1_11comp_targetILNS1_3genE5ELNS1_11target_archE942ELNS1_3gpuE9ELNS1_3repE0EEENS1_30default_config_static_selectorELNS0_4arch9wavefront6targetE0EEEvT1_,"axG",@progbits,_ZN7rocprim17ROCPRIM_400000_NS6detail17trampoline_kernelINS0_14default_configENS1_35adjacent_difference_config_selectorILb0EdEEZNS1_24adjacent_difference_implIS3_Lb0ELb0EPKdPdN6thrust23THRUST_200600_302600_NS4plusIdEEEE10hipError_tPvRmT2_T3_mT4_P12ihipStream_tbEUlT_E_NS1_11comp_targetILNS1_3genE5ELNS1_11target_archE942ELNS1_3gpuE9ELNS1_3repE0EEENS1_30default_config_static_selectorELNS0_4arch9wavefront6targetE0EEEvT1_,comdat
	.protected	_ZN7rocprim17ROCPRIM_400000_NS6detail17trampoline_kernelINS0_14default_configENS1_35adjacent_difference_config_selectorILb0EdEEZNS1_24adjacent_difference_implIS3_Lb0ELb0EPKdPdN6thrust23THRUST_200600_302600_NS4plusIdEEEE10hipError_tPvRmT2_T3_mT4_P12ihipStream_tbEUlT_E_NS1_11comp_targetILNS1_3genE5ELNS1_11target_archE942ELNS1_3gpuE9ELNS1_3repE0EEENS1_30default_config_static_selectorELNS0_4arch9wavefront6targetE0EEEvT1_ ; -- Begin function _ZN7rocprim17ROCPRIM_400000_NS6detail17trampoline_kernelINS0_14default_configENS1_35adjacent_difference_config_selectorILb0EdEEZNS1_24adjacent_difference_implIS3_Lb0ELb0EPKdPdN6thrust23THRUST_200600_302600_NS4plusIdEEEE10hipError_tPvRmT2_T3_mT4_P12ihipStream_tbEUlT_E_NS1_11comp_targetILNS1_3genE5ELNS1_11target_archE942ELNS1_3gpuE9ELNS1_3repE0EEENS1_30default_config_static_selectorELNS0_4arch9wavefront6targetE0EEEvT1_
	.globl	_ZN7rocprim17ROCPRIM_400000_NS6detail17trampoline_kernelINS0_14default_configENS1_35adjacent_difference_config_selectorILb0EdEEZNS1_24adjacent_difference_implIS3_Lb0ELb0EPKdPdN6thrust23THRUST_200600_302600_NS4plusIdEEEE10hipError_tPvRmT2_T3_mT4_P12ihipStream_tbEUlT_E_NS1_11comp_targetILNS1_3genE5ELNS1_11target_archE942ELNS1_3gpuE9ELNS1_3repE0EEENS1_30default_config_static_selectorELNS0_4arch9wavefront6targetE0EEEvT1_
	.p2align	8
	.type	_ZN7rocprim17ROCPRIM_400000_NS6detail17trampoline_kernelINS0_14default_configENS1_35adjacent_difference_config_selectorILb0EdEEZNS1_24adjacent_difference_implIS3_Lb0ELb0EPKdPdN6thrust23THRUST_200600_302600_NS4plusIdEEEE10hipError_tPvRmT2_T3_mT4_P12ihipStream_tbEUlT_E_NS1_11comp_targetILNS1_3genE5ELNS1_11target_archE942ELNS1_3gpuE9ELNS1_3repE0EEENS1_30default_config_static_selectorELNS0_4arch9wavefront6targetE0EEEvT1_,@function
_ZN7rocprim17ROCPRIM_400000_NS6detail17trampoline_kernelINS0_14default_configENS1_35adjacent_difference_config_selectorILb0EdEEZNS1_24adjacent_difference_implIS3_Lb0ELb0EPKdPdN6thrust23THRUST_200600_302600_NS4plusIdEEEE10hipError_tPvRmT2_T3_mT4_P12ihipStream_tbEUlT_E_NS1_11comp_targetILNS1_3genE5ELNS1_11target_archE942ELNS1_3gpuE9ELNS1_3repE0EEENS1_30default_config_static_selectorELNS0_4arch9wavefront6targetE0EEEvT1_: ; @_ZN7rocprim17ROCPRIM_400000_NS6detail17trampoline_kernelINS0_14default_configENS1_35adjacent_difference_config_selectorILb0EdEEZNS1_24adjacent_difference_implIS3_Lb0ELb0EPKdPdN6thrust23THRUST_200600_302600_NS4plusIdEEEE10hipError_tPvRmT2_T3_mT4_P12ihipStream_tbEUlT_E_NS1_11comp_targetILNS1_3genE5ELNS1_11target_archE942ELNS1_3gpuE9ELNS1_3repE0EEENS1_30default_config_static_selectorELNS0_4arch9wavefront6targetE0EEEvT1_
; %bb.0:
	.section	.rodata,"a",@progbits
	.p2align	6, 0x0
	.amdhsa_kernel _ZN7rocprim17ROCPRIM_400000_NS6detail17trampoline_kernelINS0_14default_configENS1_35adjacent_difference_config_selectorILb0EdEEZNS1_24adjacent_difference_implIS3_Lb0ELb0EPKdPdN6thrust23THRUST_200600_302600_NS4plusIdEEEE10hipError_tPvRmT2_T3_mT4_P12ihipStream_tbEUlT_E_NS1_11comp_targetILNS1_3genE5ELNS1_11target_archE942ELNS1_3gpuE9ELNS1_3repE0EEENS1_30default_config_static_selectorELNS0_4arch9wavefront6targetE0EEEvT1_
		.amdhsa_group_segment_fixed_size 0
		.amdhsa_private_segment_fixed_size 0
		.amdhsa_kernarg_size 56
		.amdhsa_user_sgpr_count 15
		.amdhsa_user_sgpr_dispatch_ptr 0
		.amdhsa_user_sgpr_queue_ptr 0
		.amdhsa_user_sgpr_kernarg_segment_ptr 1
		.amdhsa_user_sgpr_dispatch_id 0
		.amdhsa_user_sgpr_private_segment_size 0
		.amdhsa_wavefront_size32 1
		.amdhsa_uses_dynamic_stack 0
		.amdhsa_enable_private_segment 0
		.amdhsa_system_sgpr_workgroup_id_x 1
		.amdhsa_system_sgpr_workgroup_id_y 0
		.amdhsa_system_sgpr_workgroup_id_z 0
		.amdhsa_system_sgpr_workgroup_info 0
		.amdhsa_system_vgpr_workitem_id 0
		.amdhsa_next_free_vgpr 1
		.amdhsa_next_free_sgpr 1
		.amdhsa_reserve_vcc 0
		.amdhsa_float_round_mode_32 0
		.amdhsa_float_round_mode_16_64 0
		.amdhsa_float_denorm_mode_32 3
		.amdhsa_float_denorm_mode_16_64 3
		.amdhsa_dx10_clamp 1
		.amdhsa_ieee_mode 1
		.amdhsa_fp16_overflow 0
		.amdhsa_workgroup_processor_mode 1
		.amdhsa_memory_ordered 1
		.amdhsa_forward_progress 0
		.amdhsa_shared_vgpr_count 0
		.amdhsa_exception_fp_ieee_invalid_op 0
		.amdhsa_exception_fp_denorm_src 0
		.amdhsa_exception_fp_ieee_div_zero 0
		.amdhsa_exception_fp_ieee_overflow 0
		.amdhsa_exception_fp_ieee_underflow 0
		.amdhsa_exception_fp_ieee_inexact 0
		.amdhsa_exception_int_div_zero 0
	.end_amdhsa_kernel
	.section	.text._ZN7rocprim17ROCPRIM_400000_NS6detail17trampoline_kernelINS0_14default_configENS1_35adjacent_difference_config_selectorILb0EdEEZNS1_24adjacent_difference_implIS3_Lb0ELb0EPKdPdN6thrust23THRUST_200600_302600_NS4plusIdEEEE10hipError_tPvRmT2_T3_mT4_P12ihipStream_tbEUlT_E_NS1_11comp_targetILNS1_3genE5ELNS1_11target_archE942ELNS1_3gpuE9ELNS1_3repE0EEENS1_30default_config_static_selectorELNS0_4arch9wavefront6targetE0EEEvT1_,"axG",@progbits,_ZN7rocprim17ROCPRIM_400000_NS6detail17trampoline_kernelINS0_14default_configENS1_35adjacent_difference_config_selectorILb0EdEEZNS1_24adjacent_difference_implIS3_Lb0ELb0EPKdPdN6thrust23THRUST_200600_302600_NS4plusIdEEEE10hipError_tPvRmT2_T3_mT4_P12ihipStream_tbEUlT_E_NS1_11comp_targetILNS1_3genE5ELNS1_11target_archE942ELNS1_3gpuE9ELNS1_3repE0EEENS1_30default_config_static_selectorELNS0_4arch9wavefront6targetE0EEEvT1_,comdat
.Lfunc_end575:
	.size	_ZN7rocprim17ROCPRIM_400000_NS6detail17trampoline_kernelINS0_14default_configENS1_35adjacent_difference_config_selectorILb0EdEEZNS1_24adjacent_difference_implIS3_Lb0ELb0EPKdPdN6thrust23THRUST_200600_302600_NS4plusIdEEEE10hipError_tPvRmT2_T3_mT4_P12ihipStream_tbEUlT_E_NS1_11comp_targetILNS1_3genE5ELNS1_11target_archE942ELNS1_3gpuE9ELNS1_3repE0EEENS1_30default_config_static_selectorELNS0_4arch9wavefront6targetE0EEEvT1_, .Lfunc_end575-_ZN7rocprim17ROCPRIM_400000_NS6detail17trampoline_kernelINS0_14default_configENS1_35adjacent_difference_config_selectorILb0EdEEZNS1_24adjacent_difference_implIS3_Lb0ELb0EPKdPdN6thrust23THRUST_200600_302600_NS4plusIdEEEE10hipError_tPvRmT2_T3_mT4_P12ihipStream_tbEUlT_E_NS1_11comp_targetILNS1_3genE5ELNS1_11target_archE942ELNS1_3gpuE9ELNS1_3repE0EEENS1_30default_config_static_selectorELNS0_4arch9wavefront6targetE0EEEvT1_
                                        ; -- End function
	.section	.AMDGPU.csdata,"",@progbits
; Kernel info:
; codeLenInByte = 0
; NumSgprs: 0
; NumVgprs: 0
; ScratchSize: 0
; MemoryBound: 0
; FloatMode: 240
; IeeeMode: 1
; LDSByteSize: 0 bytes/workgroup (compile time only)
; SGPRBlocks: 0
; VGPRBlocks: 0
; NumSGPRsForWavesPerEU: 1
; NumVGPRsForWavesPerEU: 1
; Occupancy: 16
; WaveLimiterHint : 0
; COMPUTE_PGM_RSRC2:SCRATCH_EN: 0
; COMPUTE_PGM_RSRC2:USER_SGPR: 15
; COMPUTE_PGM_RSRC2:TRAP_HANDLER: 0
; COMPUTE_PGM_RSRC2:TGID_X_EN: 1
; COMPUTE_PGM_RSRC2:TGID_Y_EN: 0
; COMPUTE_PGM_RSRC2:TGID_Z_EN: 0
; COMPUTE_PGM_RSRC2:TIDIG_COMP_CNT: 0
	.section	.text._ZN7rocprim17ROCPRIM_400000_NS6detail17trampoline_kernelINS0_14default_configENS1_35adjacent_difference_config_selectorILb0EdEEZNS1_24adjacent_difference_implIS3_Lb0ELb0EPKdPdN6thrust23THRUST_200600_302600_NS4plusIdEEEE10hipError_tPvRmT2_T3_mT4_P12ihipStream_tbEUlT_E_NS1_11comp_targetILNS1_3genE4ELNS1_11target_archE910ELNS1_3gpuE8ELNS1_3repE0EEENS1_30default_config_static_selectorELNS0_4arch9wavefront6targetE0EEEvT1_,"axG",@progbits,_ZN7rocprim17ROCPRIM_400000_NS6detail17trampoline_kernelINS0_14default_configENS1_35adjacent_difference_config_selectorILb0EdEEZNS1_24adjacent_difference_implIS3_Lb0ELb0EPKdPdN6thrust23THRUST_200600_302600_NS4plusIdEEEE10hipError_tPvRmT2_T3_mT4_P12ihipStream_tbEUlT_E_NS1_11comp_targetILNS1_3genE4ELNS1_11target_archE910ELNS1_3gpuE8ELNS1_3repE0EEENS1_30default_config_static_selectorELNS0_4arch9wavefront6targetE0EEEvT1_,comdat
	.protected	_ZN7rocprim17ROCPRIM_400000_NS6detail17trampoline_kernelINS0_14default_configENS1_35adjacent_difference_config_selectorILb0EdEEZNS1_24adjacent_difference_implIS3_Lb0ELb0EPKdPdN6thrust23THRUST_200600_302600_NS4plusIdEEEE10hipError_tPvRmT2_T3_mT4_P12ihipStream_tbEUlT_E_NS1_11comp_targetILNS1_3genE4ELNS1_11target_archE910ELNS1_3gpuE8ELNS1_3repE0EEENS1_30default_config_static_selectorELNS0_4arch9wavefront6targetE0EEEvT1_ ; -- Begin function _ZN7rocprim17ROCPRIM_400000_NS6detail17trampoline_kernelINS0_14default_configENS1_35adjacent_difference_config_selectorILb0EdEEZNS1_24adjacent_difference_implIS3_Lb0ELb0EPKdPdN6thrust23THRUST_200600_302600_NS4plusIdEEEE10hipError_tPvRmT2_T3_mT4_P12ihipStream_tbEUlT_E_NS1_11comp_targetILNS1_3genE4ELNS1_11target_archE910ELNS1_3gpuE8ELNS1_3repE0EEENS1_30default_config_static_selectorELNS0_4arch9wavefront6targetE0EEEvT1_
	.globl	_ZN7rocprim17ROCPRIM_400000_NS6detail17trampoline_kernelINS0_14default_configENS1_35adjacent_difference_config_selectorILb0EdEEZNS1_24adjacent_difference_implIS3_Lb0ELb0EPKdPdN6thrust23THRUST_200600_302600_NS4plusIdEEEE10hipError_tPvRmT2_T3_mT4_P12ihipStream_tbEUlT_E_NS1_11comp_targetILNS1_3genE4ELNS1_11target_archE910ELNS1_3gpuE8ELNS1_3repE0EEENS1_30default_config_static_selectorELNS0_4arch9wavefront6targetE0EEEvT1_
	.p2align	8
	.type	_ZN7rocprim17ROCPRIM_400000_NS6detail17trampoline_kernelINS0_14default_configENS1_35adjacent_difference_config_selectorILb0EdEEZNS1_24adjacent_difference_implIS3_Lb0ELb0EPKdPdN6thrust23THRUST_200600_302600_NS4plusIdEEEE10hipError_tPvRmT2_T3_mT4_P12ihipStream_tbEUlT_E_NS1_11comp_targetILNS1_3genE4ELNS1_11target_archE910ELNS1_3gpuE8ELNS1_3repE0EEENS1_30default_config_static_selectorELNS0_4arch9wavefront6targetE0EEEvT1_,@function
_ZN7rocprim17ROCPRIM_400000_NS6detail17trampoline_kernelINS0_14default_configENS1_35adjacent_difference_config_selectorILb0EdEEZNS1_24adjacent_difference_implIS3_Lb0ELb0EPKdPdN6thrust23THRUST_200600_302600_NS4plusIdEEEE10hipError_tPvRmT2_T3_mT4_P12ihipStream_tbEUlT_E_NS1_11comp_targetILNS1_3genE4ELNS1_11target_archE910ELNS1_3gpuE8ELNS1_3repE0EEENS1_30default_config_static_selectorELNS0_4arch9wavefront6targetE0EEEvT1_: ; @_ZN7rocprim17ROCPRIM_400000_NS6detail17trampoline_kernelINS0_14default_configENS1_35adjacent_difference_config_selectorILb0EdEEZNS1_24adjacent_difference_implIS3_Lb0ELb0EPKdPdN6thrust23THRUST_200600_302600_NS4plusIdEEEE10hipError_tPvRmT2_T3_mT4_P12ihipStream_tbEUlT_E_NS1_11comp_targetILNS1_3genE4ELNS1_11target_archE910ELNS1_3gpuE8ELNS1_3repE0EEENS1_30default_config_static_selectorELNS0_4arch9wavefront6targetE0EEEvT1_
; %bb.0:
	.section	.rodata,"a",@progbits
	.p2align	6, 0x0
	.amdhsa_kernel _ZN7rocprim17ROCPRIM_400000_NS6detail17trampoline_kernelINS0_14default_configENS1_35adjacent_difference_config_selectorILb0EdEEZNS1_24adjacent_difference_implIS3_Lb0ELb0EPKdPdN6thrust23THRUST_200600_302600_NS4plusIdEEEE10hipError_tPvRmT2_T3_mT4_P12ihipStream_tbEUlT_E_NS1_11comp_targetILNS1_3genE4ELNS1_11target_archE910ELNS1_3gpuE8ELNS1_3repE0EEENS1_30default_config_static_selectorELNS0_4arch9wavefront6targetE0EEEvT1_
		.amdhsa_group_segment_fixed_size 0
		.amdhsa_private_segment_fixed_size 0
		.amdhsa_kernarg_size 56
		.amdhsa_user_sgpr_count 15
		.amdhsa_user_sgpr_dispatch_ptr 0
		.amdhsa_user_sgpr_queue_ptr 0
		.amdhsa_user_sgpr_kernarg_segment_ptr 1
		.amdhsa_user_sgpr_dispatch_id 0
		.amdhsa_user_sgpr_private_segment_size 0
		.amdhsa_wavefront_size32 1
		.amdhsa_uses_dynamic_stack 0
		.amdhsa_enable_private_segment 0
		.amdhsa_system_sgpr_workgroup_id_x 1
		.amdhsa_system_sgpr_workgroup_id_y 0
		.amdhsa_system_sgpr_workgroup_id_z 0
		.amdhsa_system_sgpr_workgroup_info 0
		.amdhsa_system_vgpr_workitem_id 0
		.amdhsa_next_free_vgpr 1
		.amdhsa_next_free_sgpr 1
		.amdhsa_reserve_vcc 0
		.amdhsa_float_round_mode_32 0
		.amdhsa_float_round_mode_16_64 0
		.amdhsa_float_denorm_mode_32 3
		.amdhsa_float_denorm_mode_16_64 3
		.amdhsa_dx10_clamp 1
		.amdhsa_ieee_mode 1
		.amdhsa_fp16_overflow 0
		.amdhsa_workgroup_processor_mode 1
		.amdhsa_memory_ordered 1
		.amdhsa_forward_progress 0
		.amdhsa_shared_vgpr_count 0
		.amdhsa_exception_fp_ieee_invalid_op 0
		.amdhsa_exception_fp_denorm_src 0
		.amdhsa_exception_fp_ieee_div_zero 0
		.amdhsa_exception_fp_ieee_overflow 0
		.amdhsa_exception_fp_ieee_underflow 0
		.amdhsa_exception_fp_ieee_inexact 0
		.amdhsa_exception_int_div_zero 0
	.end_amdhsa_kernel
	.section	.text._ZN7rocprim17ROCPRIM_400000_NS6detail17trampoline_kernelINS0_14default_configENS1_35adjacent_difference_config_selectorILb0EdEEZNS1_24adjacent_difference_implIS3_Lb0ELb0EPKdPdN6thrust23THRUST_200600_302600_NS4plusIdEEEE10hipError_tPvRmT2_T3_mT4_P12ihipStream_tbEUlT_E_NS1_11comp_targetILNS1_3genE4ELNS1_11target_archE910ELNS1_3gpuE8ELNS1_3repE0EEENS1_30default_config_static_selectorELNS0_4arch9wavefront6targetE0EEEvT1_,"axG",@progbits,_ZN7rocprim17ROCPRIM_400000_NS6detail17trampoline_kernelINS0_14default_configENS1_35adjacent_difference_config_selectorILb0EdEEZNS1_24adjacent_difference_implIS3_Lb0ELb0EPKdPdN6thrust23THRUST_200600_302600_NS4plusIdEEEE10hipError_tPvRmT2_T3_mT4_P12ihipStream_tbEUlT_E_NS1_11comp_targetILNS1_3genE4ELNS1_11target_archE910ELNS1_3gpuE8ELNS1_3repE0EEENS1_30default_config_static_selectorELNS0_4arch9wavefront6targetE0EEEvT1_,comdat
.Lfunc_end576:
	.size	_ZN7rocprim17ROCPRIM_400000_NS6detail17trampoline_kernelINS0_14default_configENS1_35adjacent_difference_config_selectorILb0EdEEZNS1_24adjacent_difference_implIS3_Lb0ELb0EPKdPdN6thrust23THRUST_200600_302600_NS4plusIdEEEE10hipError_tPvRmT2_T3_mT4_P12ihipStream_tbEUlT_E_NS1_11comp_targetILNS1_3genE4ELNS1_11target_archE910ELNS1_3gpuE8ELNS1_3repE0EEENS1_30default_config_static_selectorELNS0_4arch9wavefront6targetE0EEEvT1_, .Lfunc_end576-_ZN7rocprim17ROCPRIM_400000_NS6detail17trampoline_kernelINS0_14default_configENS1_35adjacent_difference_config_selectorILb0EdEEZNS1_24adjacent_difference_implIS3_Lb0ELb0EPKdPdN6thrust23THRUST_200600_302600_NS4plusIdEEEE10hipError_tPvRmT2_T3_mT4_P12ihipStream_tbEUlT_E_NS1_11comp_targetILNS1_3genE4ELNS1_11target_archE910ELNS1_3gpuE8ELNS1_3repE0EEENS1_30default_config_static_selectorELNS0_4arch9wavefront6targetE0EEEvT1_
                                        ; -- End function
	.section	.AMDGPU.csdata,"",@progbits
; Kernel info:
; codeLenInByte = 0
; NumSgprs: 0
; NumVgprs: 0
; ScratchSize: 0
; MemoryBound: 0
; FloatMode: 240
; IeeeMode: 1
; LDSByteSize: 0 bytes/workgroup (compile time only)
; SGPRBlocks: 0
; VGPRBlocks: 0
; NumSGPRsForWavesPerEU: 1
; NumVGPRsForWavesPerEU: 1
; Occupancy: 16
; WaveLimiterHint : 0
; COMPUTE_PGM_RSRC2:SCRATCH_EN: 0
; COMPUTE_PGM_RSRC2:USER_SGPR: 15
; COMPUTE_PGM_RSRC2:TRAP_HANDLER: 0
; COMPUTE_PGM_RSRC2:TGID_X_EN: 1
; COMPUTE_PGM_RSRC2:TGID_Y_EN: 0
; COMPUTE_PGM_RSRC2:TGID_Z_EN: 0
; COMPUTE_PGM_RSRC2:TIDIG_COMP_CNT: 0
	.section	.text._ZN7rocprim17ROCPRIM_400000_NS6detail17trampoline_kernelINS0_14default_configENS1_35adjacent_difference_config_selectorILb0EdEEZNS1_24adjacent_difference_implIS3_Lb0ELb0EPKdPdN6thrust23THRUST_200600_302600_NS4plusIdEEEE10hipError_tPvRmT2_T3_mT4_P12ihipStream_tbEUlT_E_NS1_11comp_targetILNS1_3genE3ELNS1_11target_archE908ELNS1_3gpuE7ELNS1_3repE0EEENS1_30default_config_static_selectorELNS0_4arch9wavefront6targetE0EEEvT1_,"axG",@progbits,_ZN7rocprim17ROCPRIM_400000_NS6detail17trampoline_kernelINS0_14default_configENS1_35adjacent_difference_config_selectorILb0EdEEZNS1_24adjacent_difference_implIS3_Lb0ELb0EPKdPdN6thrust23THRUST_200600_302600_NS4plusIdEEEE10hipError_tPvRmT2_T3_mT4_P12ihipStream_tbEUlT_E_NS1_11comp_targetILNS1_3genE3ELNS1_11target_archE908ELNS1_3gpuE7ELNS1_3repE0EEENS1_30default_config_static_selectorELNS0_4arch9wavefront6targetE0EEEvT1_,comdat
	.protected	_ZN7rocprim17ROCPRIM_400000_NS6detail17trampoline_kernelINS0_14default_configENS1_35adjacent_difference_config_selectorILb0EdEEZNS1_24adjacent_difference_implIS3_Lb0ELb0EPKdPdN6thrust23THRUST_200600_302600_NS4plusIdEEEE10hipError_tPvRmT2_T3_mT4_P12ihipStream_tbEUlT_E_NS1_11comp_targetILNS1_3genE3ELNS1_11target_archE908ELNS1_3gpuE7ELNS1_3repE0EEENS1_30default_config_static_selectorELNS0_4arch9wavefront6targetE0EEEvT1_ ; -- Begin function _ZN7rocprim17ROCPRIM_400000_NS6detail17trampoline_kernelINS0_14default_configENS1_35adjacent_difference_config_selectorILb0EdEEZNS1_24adjacent_difference_implIS3_Lb0ELb0EPKdPdN6thrust23THRUST_200600_302600_NS4plusIdEEEE10hipError_tPvRmT2_T3_mT4_P12ihipStream_tbEUlT_E_NS1_11comp_targetILNS1_3genE3ELNS1_11target_archE908ELNS1_3gpuE7ELNS1_3repE0EEENS1_30default_config_static_selectorELNS0_4arch9wavefront6targetE0EEEvT1_
	.globl	_ZN7rocprim17ROCPRIM_400000_NS6detail17trampoline_kernelINS0_14default_configENS1_35adjacent_difference_config_selectorILb0EdEEZNS1_24adjacent_difference_implIS3_Lb0ELb0EPKdPdN6thrust23THRUST_200600_302600_NS4plusIdEEEE10hipError_tPvRmT2_T3_mT4_P12ihipStream_tbEUlT_E_NS1_11comp_targetILNS1_3genE3ELNS1_11target_archE908ELNS1_3gpuE7ELNS1_3repE0EEENS1_30default_config_static_selectorELNS0_4arch9wavefront6targetE0EEEvT1_
	.p2align	8
	.type	_ZN7rocprim17ROCPRIM_400000_NS6detail17trampoline_kernelINS0_14default_configENS1_35adjacent_difference_config_selectorILb0EdEEZNS1_24adjacent_difference_implIS3_Lb0ELb0EPKdPdN6thrust23THRUST_200600_302600_NS4plusIdEEEE10hipError_tPvRmT2_T3_mT4_P12ihipStream_tbEUlT_E_NS1_11comp_targetILNS1_3genE3ELNS1_11target_archE908ELNS1_3gpuE7ELNS1_3repE0EEENS1_30default_config_static_selectorELNS0_4arch9wavefront6targetE0EEEvT1_,@function
_ZN7rocprim17ROCPRIM_400000_NS6detail17trampoline_kernelINS0_14default_configENS1_35adjacent_difference_config_selectorILb0EdEEZNS1_24adjacent_difference_implIS3_Lb0ELb0EPKdPdN6thrust23THRUST_200600_302600_NS4plusIdEEEE10hipError_tPvRmT2_T3_mT4_P12ihipStream_tbEUlT_E_NS1_11comp_targetILNS1_3genE3ELNS1_11target_archE908ELNS1_3gpuE7ELNS1_3repE0EEENS1_30default_config_static_selectorELNS0_4arch9wavefront6targetE0EEEvT1_: ; @_ZN7rocprim17ROCPRIM_400000_NS6detail17trampoline_kernelINS0_14default_configENS1_35adjacent_difference_config_selectorILb0EdEEZNS1_24adjacent_difference_implIS3_Lb0ELb0EPKdPdN6thrust23THRUST_200600_302600_NS4plusIdEEEE10hipError_tPvRmT2_T3_mT4_P12ihipStream_tbEUlT_E_NS1_11comp_targetILNS1_3genE3ELNS1_11target_archE908ELNS1_3gpuE7ELNS1_3repE0EEENS1_30default_config_static_selectorELNS0_4arch9wavefront6targetE0EEEvT1_
; %bb.0:
	.section	.rodata,"a",@progbits
	.p2align	6, 0x0
	.amdhsa_kernel _ZN7rocprim17ROCPRIM_400000_NS6detail17trampoline_kernelINS0_14default_configENS1_35adjacent_difference_config_selectorILb0EdEEZNS1_24adjacent_difference_implIS3_Lb0ELb0EPKdPdN6thrust23THRUST_200600_302600_NS4plusIdEEEE10hipError_tPvRmT2_T3_mT4_P12ihipStream_tbEUlT_E_NS1_11comp_targetILNS1_3genE3ELNS1_11target_archE908ELNS1_3gpuE7ELNS1_3repE0EEENS1_30default_config_static_selectorELNS0_4arch9wavefront6targetE0EEEvT1_
		.amdhsa_group_segment_fixed_size 0
		.amdhsa_private_segment_fixed_size 0
		.amdhsa_kernarg_size 56
		.amdhsa_user_sgpr_count 15
		.amdhsa_user_sgpr_dispatch_ptr 0
		.amdhsa_user_sgpr_queue_ptr 0
		.amdhsa_user_sgpr_kernarg_segment_ptr 1
		.amdhsa_user_sgpr_dispatch_id 0
		.amdhsa_user_sgpr_private_segment_size 0
		.amdhsa_wavefront_size32 1
		.amdhsa_uses_dynamic_stack 0
		.amdhsa_enable_private_segment 0
		.amdhsa_system_sgpr_workgroup_id_x 1
		.amdhsa_system_sgpr_workgroup_id_y 0
		.amdhsa_system_sgpr_workgroup_id_z 0
		.amdhsa_system_sgpr_workgroup_info 0
		.amdhsa_system_vgpr_workitem_id 0
		.amdhsa_next_free_vgpr 1
		.amdhsa_next_free_sgpr 1
		.amdhsa_reserve_vcc 0
		.amdhsa_float_round_mode_32 0
		.amdhsa_float_round_mode_16_64 0
		.amdhsa_float_denorm_mode_32 3
		.amdhsa_float_denorm_mode_16_64 3
		.amdhsa_dx10_clamp 1
		.amdhsa_ieee_mode 1
		.amdhsa_fp16_overflow 0
		.amdhsa_workgroup_processor_mode 1
		.amdhsa_memory_ordered 1
		.amdhsa_forward_progress 0
		.amdhsa_shared_vgpr_count 0
		.amdhsa_exception_fp_ieee_invalid_op 0
		.amdhsa_exception_fp_denorm_src 0
		.amdhsa_exception_fp_ieee_div_zero 0
		.amdhsa_exception_fp_ieee_overflow 0
		.amdhsa_exception_fp_ieee_underflow 0
		.amdhsa_exception_fp_ieee_inexact 0
		.amdhsa_exception_int_div_zero 0
	.end_amdhsa_kernel
	.section	.text._ZN7rocprim17ROCPRIM_400000_NS6detail17trampoline_kernelINS0_14default_configENS1_35adjacent_difference_config_selectorILb0EdEEZNS1_24adjacent_difference_implIS3_Lb0ELb0EPKdPdN6thrust23THRUST_200600_302600_NS4plusIdEEEE10hipError_tPvRmT2_T3_mT4_P12ihipStream_tbEUlT_E_NS1_11comp_targetILNS1_3genE3ELNS1_11target_archE908ELNS1_3gpuE7ELNS1_3repE0EEENS1_30default_config_static_selectorELNS0_4arch9wavefront6targetE0EEEvT1_,"axG",@progbits,_ZN7rocprim17ROCPRIM_400000_NS6detail17trampoline_kernelINS0_14default_configENS1_35adjacent_difference_config_selectorILb0EdEEZNS1_24adjacent_difference_implIS3_Lb0ELb0EPKdPdN6thrust23THRUST_200600_302600_NS4plusIdEEEE10hipError_tPvRmT2_T3_mT4_P12ihipStream_tbEUlT_E_NS1_11comp_targetILNS1_3genE3ELNS1_11target_archE908ELNS1_3gpuE7ELNS1_3repE0EEENS1_30default_config_static_selectorELNS0_4arch9wavefront6targetE0EEEvT1_,comdat
.Lfunc_end577:
	.size	_ZN7rocprim17ROCPRIM_400000_NS6detail17trampoline_kernelINS0_14default_configENS1_35adjacent_difference_config_selectorILb0EdEEZNS1_24adjacent_difference_implIS3_Lb0ELb0EPKdPdN6thrust23THRUST_200600_302600_NS4plusIdEEEE10hipError_tPvRmT2_T3_mT4_P12ihipStream_tbEUlT_E_NS1_11comp_targetILNS1_3genE3ELNS1_11target_archE908ELNS1_3gpuE7ELNS1_3repE0EEENS1_30default_config_static_selectorELNS0_4arch9wavefront6targetE0EEEvT1_, .Lfunc_end577-_ZN7rocprim17ROCPRIM_400000_NS6detail17trampoline_kernelINS0_14default_configENS1_35adjacent_difference_config_selectorILb0EdEEZNS1_24adjacent_difference_implIS3_Lb0ELb0EPKdPdN6thrust23THRUST_200600_302600_NS4plusIdEEEE10hipError_tPvRmT2_T3_mT4_P12ihipStream_tbEUlT_E_NS1_11comp_targetILNS1_3genE3ELNS1_11target_archE908ELNS1_3gpuE7ELNS1_3repE0EEENS1_30default_config_static_selectorELNS0_4arch9wavefront6targetE0EEEvT1_
                                        ; -- End function
	.section	.AMDGPU.csdata,"",@progbits
; Kernel info:
; codeLenInByte = 0
; NumSgprs: 0
; NumVgprs: 0
; ScratchSize: 0
; MemoryBound: 0
; FloatMode: 240
; IeeeMode: 1
; LDSByteSize: 0 bytes/workgroup (compile time only)
; SGPRBlocks: 0
; VGPRBlocks: 0
; NumSGPRsForWavesPerEU: 1
; NumVGPRsForWavesPerEU: 1
; Occupancy: 16
; WaveLimiterHint : 0
; COMPUTE_PGM_RSRC2:SCRATCH_EN: 0
; COMPUTE_PGM_RSRC2:USER_SGPR: 15
; COMPUTE_PGM_RSRC2:TRAP_HANDLER: 0
; COMPUTE_PGM_RSRC2:TGID_X_EN: 1
; COMPUTE_PGM_RSRC2:TGID_Y_EN: 0
; COMPUTE_PGM_RSRC2:TGID_Z_EN: 0
; COMPUTE_PGM_RSRC2:TIDIG_COMP_CNT: 0
	.section	.text._ZN7rocprim17ROCPRIM_400000_NS6detail17trampoline_kernelINS0_14default_configENS1_35adjacent_difference_config_selectorILb0EdEEZNS1_24adjacent_difference_implIS3_Lb0ELb0EPKdPdN6thrust23THRUST_200600_302600_NS4plusIdEEEE10hipError_tPvRmT2_T3_mT4_P12ihipStream_tbEUlT_E_NS1_11comp_targetILNS1_3genE2ELNS1_11target_archE906ELNS1_3gpuE6ELNS1_3repE0EEENS1_30default_config_static_selectorELNS0_4arch9wavefront6targetE0EEEvT1_,"axG",@progbits,_ZN7rocprim17ROCPRIM_400000_NS6detail17trampoline_kernelINS0_14default_configENS1_35adjacent_difference_config_selectorILb0EdEEZNS1_24adjacent_difference_implIS3_Lb0ELb0EPKdPdN6thrust23THRUST_200600_302600_NS4plusIdEEEE10hipError_tPvRmT2_T3_mT4_P12ihipStream_tbEUlT_E_NS1_11comp_targetILNS1_3genE2ELNS1_11target_archE906ELNS1_3gpuE6ELNS1_3repE0EEENS1_30default_config_static_selectorELNS0_4arch9wavefront6targetE0EEEvT1_,comdat
	.protected	_ZN7rocprim17ROCPRIM_400000_NS6detail17trampoline_kernelINS0_14default_configENS1_35adjacent_difference_config_selectorILb0EdEEZNS1_24adjacent_difference_implIS3_Lb0ELb0EPKdPdN6thrust23THRUST_200600_302600_NS4plusIdEEEE10hipError_tPvRmT2_T3_mT4_P12ihipStream_tbEUlT_E_NS1_11comp_targetILNS1_3genE2ELNS1_11target_archE906ELNS1_3gpuE6ELNS1_3repE0EEENS1_30default_config_static_selectorELNS0_4arch9wavefront6targetE0EEEvT1_ ; -- Begin function _ZN7rocprim17ROCPRIM_400000_NS6detail17trampoline_kernelINS0_14default_configENS1_35adjacent_difference_config_selectorILb0EdEEZNS1_24adjacent_difference_implIS3_Lb0ELb0EPKdPdN6thrust23THRUST_200600_302600_NS4plusIdEEEE10hipError_tPvRmT2_T3_mT4_P12ihipStream_tbEUlT_E_NS1_11comp_targetILNS1_3genE2ELNS1_11target_archE906ELNS1_3gpuE6ELNS1_3repE0EEENS1_30default_config_static_selectorELNS0_4arch9wavefront6targetE0EEEvT1_
	.globl	_ZN7rocprim17ROCPRIM_400000_NS6detail17trampoline_kernelINS0_14default_configENS1_35adjacent_difference_config_selectorILb0EdEEZNS1_24adjacent_difference_implIS3_Lb0ELb0EPKdPdN6thrust23THRUST_200600_302600_NS4plusIdEEEE10hipError_tPvRmT2_T3_mT4_P12ihipStream_tbEUlT_E_NS1_11comp_targetILNS1_3genE2ELNS1_11target_archE906ELNS1_3gpuE6ELNS1_3repE0EEENS1_30default_config_static_selectorELNS0_4arch9wavefront6targetE0EEEvT1_
	.p2align	8
	.type	_ZN7rocprim17ROCPRIM_400000_NS6detail17trampoline_kernelINS0_14default_configENS1_35adjacent_difference_config_selectorILb0EdEEZNS1_24adjacent_difference_implIS3_Lb0ELb0EPKdPdN6thrust23THRUST_200600_302600_NS4plusIdEEEE10hipError_tPvRmT2_T3_mT4_P12ihipStream_tbEUlT_E_NS1_11comp_targetILNS1_3genE2ELNS1_11target_archE906ELNS1_3gpuE6ELNS1_3repE0EEENS1_30default_config_static_selectorELNS0_4arch9wavefront6targetE0EEEvT1_,@function
_ZN7rocprim17ROCPRIM_400000_NS6detail17trampoline_kernelINS0_14default_configENS1_35adjacent_difference_config_selectorILb0EdEEZNS1_24adjacent_difference_implIS3_Lb0ELb0EPKdPdN6thrust23THRUST_200600_302600_NS4plusIdEEEE10hipError_tPvRmT2_T3_mT4_P12ihipStream_tbEUlT_E_NS1_11comp_targetILNS1_3genE2ELNS1_11target_archE906ELNS1_3gpuE6ELNS1_3repE0EEENS1_30default_config_static_selectorELNS0_4arch9wavefront6targetE0EEEvT1_: ; @_ZN7rocprim17ROCPRIM_400000_NS6detail17trampoline_kernelINS0_14default_configENS1_35adjacent_difference_config_selectorILb0EdEEZNS1_24adjacent_difference_implIS3_Lb0ELb0EPKdPdN6thrust23THRUST_200600_302600_NS4plusIdEEEE10hipError_tPvRmT2_T3_mT4_P12ihipStream_tbEUlT_E_NS1_11comp_targetILNS1_3genE2ELNS1_11target_archE906ELNS1_3gpuE6ELNS1_3repE0EEENS1_30default_config_static_selectorELNS0_4arch9wavefront6targetE0EEEvT1_
; %bb.0:
	.section	.rodata,"a",@progbits
	.p2align	6, 0x0
	.amdhsa_kernel _ZN7rocprim17ROCPRIM_400000_NS6detail17trampoline_kernelINS0_14default_configENS1_35adjacent_difference_config_selectorILb0EdEEZNS1_24adjacent_difference_implIS3_Lb0ELb0EPKdPdN6thrust23THRUST_200600_302600_NS4plusIdEEEE10hipError_tPvRmT2_T3_mT4_P12ihipStream_tbEUlT_E_NS1_11comp_targetILNS1_3genE2ELNS1_11target_archE906ELNS1_3gpuE6ELNS1_3repE0EEENS1_30default_config_static_selectorELNS0_4arch9wavefront6targetE0EEEvT1_
		.amdhsa_group_segment_fixed_size 0
		.amdhsa_private_segment_fixed_size 0
		.amdhsa_kernarg_size 56
		.amdhsa_user_sgpr_count 15
		.amdhsa_user_sgpr_dispatch_ptr 0
		.amdhsa_user_sgpr_queue_ptr 0
		.amdhsa_user_sgpr_kernarg_segment_ptr 1
		.amdhsa_user_sgpr_dispatch_id 0
		.amdhsa_user_sgpr_private_segment_size 0
		.amdhsa_wavefront_size32 1
		.amdhsa_uses_dynamic_stack 0
		.amdhsa_enable_private_segment 0
		.amdhsa_system_sgpr_workgroup_id_x 1
		.amdhsa_system_sgpr_workgroup_id_y 0
		.amdhsa_system_sgpr_workgroup_id_z 0
		.amdhsa_system_sgpr_workgroup_info 0
		.amdhsa_system_vgpr_workitem_id 0
		.amdhsa_next_free_vgpr 1
		.amdhsa_next_free_sgpr 1
		.amdhsa_reserve_vcc 0
		.amdhsa_float_round_mode_32 0
		.amdhsa_float_round_mode_16_64 0
		.amdhsa_float_denorm_mode_32 3
		.amdhsa_float_denorm_mode_16_64 3
		.amdhsa_dx10_clamp 1
		.amdhsa_ieee_mode 1
		.amdhsa_fp16_overflow 0
		.amdhsa_workgroup_processor_mode 1
		.amdhsa_memory_ordered 1
		.amdhsa_forward_progress 0
		.amdhsa_shared_vgpr_count 0
		.amdhsa_exception_fp_ieee_invalid_op 0
		.amdhsa_exception_fp_denorm_src 0
		.amdhsa_exception_fp_ieee_div_zero 0
		.amdhsa_exception_fp_ieee_overflow 0
		.amdhsa_exception_fp_ieee_underflow 0
		.amdhsa_exception_fp_ieee_inexact 0
		.amdhsa_exception_int_div_zero 0
	.end_amdhsa_kernel
	.section	.text._ZN7rocprim17ROCPRIM_400000_NS6detail17trampoline_kernelINS0_14default_configENS1_35adjacent_difference_config_selectorILb0EdEEZNS1_24adjacent_difference_implIS3_Lb0ELb0EPKdPdN6thrust23THRUST_200600_302600_NS4plusIdEEEE10hipError_tPvRmT2_T3_mT4_P12ihipStream_tbEUlT_E_NS1_11comp_targetILNS1_3genE2ELNS1_11target_archE906ELNS1_3gpuE6ELNS1_3repE0EEENS1_30default_config_static_selectorELNS0_4arch9wavefront6targetE0EEEvT1_,"axG",@progbits,_ZN7rocprim17ROCPRIM_400000_NS6detail17trampoline_kernelINS0_14default_configENS1_35adjacent_difference_config_selectorILb0EdEEZNS1_24adjacent_difference_implIS3_Lb0ELb0EPKdPdN6thrust23THRUST_200600_302600_NS4plusIdEEEE10hipError_tPvRmT2_T3_mT4_P12ihipStream_tbEUlT_E_NS1_11comp_targetILNS1_3genE2ELNS1_11target_archE906ELNS1_3gpuE6ELNS1_3repE0EEENS1_30default_config_static_selectorELNS0_4arch9wavefront6targetE0EEEvT1_,comdat
.Lfunc_end578:
	.size	_ZN7rocprim17ROCPRIM_400000_NS6detail17trampoline_kernelINS0_14default_configENS1_35adjacent_difference_config_selectorILb0EdEEZNS1_24adjacent_difference_implIS3_Lb0ELb0EPKdPdN6thrust23THRUST_200600_302600_NS4plusIdEEEE10hipError_tPvRmT2_T3_mT4_P12ihipStream_tbEUlT_E_NS1_11comp_targetILNS1_3genE2ELNS1_11target_archE906ELNS1_3gpuE6ELNS1_3repE0EEENS1_30default_config_static_selectorELNS0_4arch9wavefront6targetE0EEEvT1_, .Lfunc_end578-_ZN7rocprim17ROCPRIM_400000_NS6detail17trampoline_kernelINS0_14default_configENS1_35adjacent_difference_config_selectorILb0EdEEZNS1_24adjacent_difference_implIS3_Lb0ELb0EPKdPdN6thrust23THRUST_200600_302600_NS4plusIdEEEE10hipError_tPvRmT2_T3_mT4_P12ihipStream_tbEUlT_E_NS1_11comp_targetILNS1_3genE2ELNS1_11target_archE906ELNS1_3gpuE6ELNS1_3repE0EEENS1_30default_config_static_selectorELNS0_4arch9wavefront6targetE0EEEvT1_
                                        ; -- End function
	.section	.AMDGPU.csdata,"",@progbits
; Kernel info:
; codeLenInByte = 0
; NumSgprs: 0
; NumVgprs: 0
; ScratchSize: 0
; MemoryBound: 0
; FloatMode: 240
; IeeeMode: 1
; LDSByteSize: 0 bytes/workgroup (compile time only)
; SGPRBlocks: 0
; VGPRBlocks: 0
; NumSGPRsForWavesPerEU: 1
; NumVGPRsForWavesPerEU: 1
; Occupancy: 16
; WaveLimiterHint : 0
; COMPUTE_PGM_RSRC2:SCRATCH_EN: 0
; COMPUTE_PGM_RSRC2:USER_SGPR: 15
; COMPUTE_PGM_RSRC2:TRAP_HANDLER: 0
; COMPUTE_PGM_RSRC2:TGID_X_EN: 1
; COMPUTE_PGM_RSRC2:TGID_Y_EN: 0
; COMPUTE_PGM_RSRC2:TGID_Z_EN: 0
; COMPUTE_PGM_RSRC2:TIDIG_COMP_CNT: 0
	.section	.text._ZN7rocprim17ROCPRIM_400000_NS6detail17trampoline_kernelINS0_14default_configENS1_35adjacent_difference_config_selectorILb0EdEEZNS1_24adjacent_difference_implIS3_Lb0ELb0EPKdPdN6thrust23THRUST_200600_302600_NS4plusIdEEEE10hipError_tPvRmT2_T3_mT4_P12ihipStream_tbEUlT_E_NS1_11comp_targetILNS1_3genE9ELNS1_11target_archE1100ELNS1_3gpuE3ELNS1_3repE0EEENS1_30default_config_static_selectorELNS0_4arch9wavefront6targetE0EEEvT1_,"axG",@progbits,_ZN7rocprim17ROCPRIM_400000_NS6detail17trampoline_kernelINS0_14default_configENS1_35adjacent_difference_config_selectorILb0EdEEZNS1_24adjacent_difference_implIS3_Lb0ELb0EPKdPdN6thrust23THRUST_200600_302600_NS4plusIdEEEE10hipError_tPvRmT2_T3_mT4_P12ihipStream_tbEUlT_E_NS1_11comp_targetILNS1_3genE9ELNS1_11target_archE1100ELNS1_3gpuE3ELNS1_3repE0EEENS1_30default_config_static_selectorELNS0_4arch9wavefront6targetE0EEEvT1_,comdat
	.protected	_ZN7rocprim17ROCPRIM_400000_NS6detail17trampoline_kernelINS0_14default_configENS1_35adjacent_difference_config_selectorILb0EdEEZNS1_24adjacent_difference_implIS3_Lb0ELb0EPKdPdN6thrust23THRUST_200600_302600_NS4plusIdEEEE10hipError_tPvRmT2_T3_mT4_P12ihipStream_tbEUlT_E_NS1_11comp_targetILNS1_3genE9ELNS1_11target_archE1100ELNS1_3gpuE3ELNS1_3repE0EEENS1_30default_config_static_selectorELNS0_4arch9wavefront6targetE0EEEvT1_ ; -- Begin function _ZN7rocprim17ROCPRIM_400000_NS6detail17trampoline_kernelINS0_14default_configENS1_35adjacent_difference_config_selectorILb0EdEEZNS1_24adjacent_difference_implIS3_Lb0ELb0EPKdPdN6thrust23THRUST_200600_302600_NS4plusIdEEEE10hipError_tPvRmT2_T3_mT4_P12ihipStream_tbEUlT_E_NS1_11comp_targetILNS1_3genE9ELNS1_11target_archE1100ELNS1_3gpuE3ELNS1_3repE0EEENS1_30default_config_static_selectorELNS0_4arch9wavefront6targetE0EEEvT1_
	.globl	_ZN7rocprim17ROCPRIM_400000_NS6detail17trampoline_kernelINS0_14default_configENS1_35adjacent_difference_config_selectorILb0EdEEZNS1_24adjacent_difference_implIS3_Lb0ELb0EPKdPdN6thrust23THRUST_200600_302600_NS4plusIdEEEE10hipError_tPvRmT2_T3_mT4_P12ihipStream_tbEUlT_E_NS1_11comp_targetILNS1_3genE9ELNS1_11target_archE1100ELNS1_3gpuE3ELNS1_3repE0EEENS1_30default_config_static_selectorELNS0_4arch9wavefront6targetE0EEEvT1_
	.p2align	8
	.type	_ZN7rocprim17ROCPRIM_400000_NS6detail17trampoline_kernelINS0_14default_configENS1_35adjacent_difference_config_selectorILb0EdEEZNS1_24adjacent_difference_implIS3_Lb0ELb0EPKdPdN6thrust23THRUST_200600_302600_NS4plusIdEEEE10hipError_tPvRmT2_T3_mT4_P12ihipStream_tbEUlT_E_NS1_11comp_targetILNS1_3genE9ELNS1_11target_archE1100ELNS1_3gpuE3ELNS1_3repE0EEENS1_30default_config_static_selectorELNS0_4arch9wavefront6targetE0EEEvT1_,@function
_ZN7rocprim17ROCPRIM_400000_NS6detail17trampoline_kernelINS0_14default_configENS1_35adjacent_difference_config_selectorILb0EdEEZNS1_24adjacent_difference_implIS3_Lb0ELb0EPKdPdN6thrust23THRUST_200600_302600_NS4plusIdEEEE10hipError_tPvRmT2_T3_mT4_P12ihipStream_tbEUlT_E_NS1_11comp_targetILNS1_3genE9ELNS1_11target_archE1100ELNS1_3gpuE3ELNS1_3repE0EEENS1_30default_config_static_selectorELNS0_4arch9wavefront6targetE0EEEvT1_: ; @_ZN7rocprim17ROCPRIM_400000_NS6detail17trampoline_kernelINS0_14default_configENS1_35adjacent_difference_config_selectorILb0EdEEZNS1_24adjacent_difference_implIS3_Lb0ELb0EPKdPdN6thrust23THRUST_200600_302600_NS4plusIdEEEE10hipError_tPvRmT2_T3_mT4_P12ihipStream_tbEUlT_E_NS1_11comp_targetILNS1_3genE9ELNS1_11target_archE1100ELNS1_3gpuE3ELNS1_3repE0EEENS1_30default_config_static_selectorELNS0_4arch9wavefront6targetE0EEEvT1_
; %bb.0:
	s_load_b256 s[4:11], s[0:1], 0x0
	s_mov_b32 s3, 0
	s_load_b64 s[0:1], s[0:1], 0x30
	s_mov_b32 s13, s3
	s_waitcnt lgkmcnt(0)
	s_lshl_b64 s[6:7], s[6:7], 3
	s_delay_alu instid0(SALU_CYCLE_1)
	s_add_u32 s16, s4, s6
	s_addc_u32 s17, s5, s7
	s_and_b32 s12, s10, 0x7ff
	s_lshl_b32 s2, s15, 11
	s_lshr_b64 s[4:5], s[10:11], 11
	s_cmp_lg_u64 s[12:13], 0
	s_cselect_b32 s11, -1, 0
	s_delay_alu instid0(SALU_CYCLE_1) | instskip(NEXT) | instid1(VALU_DEP_1)
	v_cndmask_b32_e64 v1, 0, 1, s11
	v_readfirstlane_b32 s11, v1
	s_delay_alu instid0(VALU_DEP_1)
	s_add_u32 s12, s4, s11
	s_addc_u32 s13, s5, 0
	s_add_u32 s0, s0, s15
	s_addc_u32 s1, s1, 0
	s_add_u32 s4, s12, -1
	s_addc_u32 s5, s13, -1
	s_delay_alu instid0(SALU_CYCLE_1) | instskip(NEXT) | instid1(VALU_DEP_1)
	v_cmp_ge_u64_e64 s11, s[0:1], s[4:5]
	s_and_b32 vcc_lo, exec_lo, s11
	s_cbranch_vccz .LBB579_6
; %bb.1:
	s_lshl_b32 s14, s4, 11
                                        ; implicit-def: $vgpr1_vgpr2_vgpr3_vgpr4
	s_delay_alu instid0(SALU_CYCLE_1)
	s_sub_i32 s18, s10, s14
	s_lshl_b64 s[14:15], s[2:3], 3
	s_mov_b32 s3, exec_lo
	s_add_u32 s14, s16, s14
	s_addc_u32 s15, s17, s15
	v_cmpx_gt_u32_e64 s18, v0
	s_cbranch_execz .LBB579_3
; %bb.2:
	v_lshlrev_b32_e32 v1, 3, v0
	global_load_b64 v[1:2], v1, s[14:15]
.LBB579_3:
	s_or_b32 exec_lo, exec_lo, s3
	v_or_b32_e32 v5, 0x400, v0
	s_mov_b32 s3, exec_lo
	s_delay_alu instid0(VALU_DEP_1)
	v_cmpx_gt_u32_e64 s18, v5
	s_cbranch_execz .LBB579_5
; %bb.4:
	v_lshlrev_b32_e32 v3, 3, v5
	global_load_b64 v[3:4], v3, s[14:15]
.LBB579_5:
	s_or_b32 exec_lo, exec_lo, s3
	v_lshrrev_b32_e32 v6, 2, v0
	v_lshrrev_b32_e32 v5, 2, v5
	v_lshlrev_b32_e32 v7, 3, v0
	s_delay_alu instid0(VALU_DEP_3) | instskip(NEXT) | instid1(VALU_DEP_3)
	v_and_b32_e32 v6, 0xf8, v6
	v_and_b32_e32 v5, 0x1f8, v5
	s_delay_alu instid0(VALU_DEP_2) | instskip(NEXT) | instid1(VALU_DEP_2)
	v_add_nc_u32_e32 v6, v6, v7
	v_add_nc_u32_e32 v5, v5, v7
	s_waitcnt vmcnt(0)
	ds_store_b64 v6, v[1:2]
	ds_store_b64 v5, v[3:4] offset:8192
	s_waitcnt lgkmcnt(0)
	s_barrier
	v_lshlrev_b32_e32 v11, 3, v0
	v_or_b32_e32 v12, 0x400, v0
	s_branch .LBB579_8
.LBB579_6:
	v_lshlrev_b32_e32 v11, 3, v0
	v_or_b32_e32 v12, 0x400, v0
	s_cbranch_execz .LBB579_8
; %bb.7:
	s_mov_b32 s3, 0
	v_lshrrev_b32_e32 v5, 2, v0
	s_lshl_b64 s[14:15], s[2:3], 3
	v_lshrrev_b32_e32 v6, 2, v12
	s_add_u32 s14, s16, s14
	s_addc_u32 s15, s17, s15
	v_add_co_u32 v1, s3, s14, v11
	s_delay_alu instid0(VALU_DEP_1) | instskip(SKIP_1) | instid1(VALU_DEP_3)
	v_add_co_ci_u32_e64 v2, null, s15, 0, s3
	v_and_b32_e32 v5, 0xf8, v5
	v_add_co_u32 v1, vcc_lo, 0x2000, v1
	s_delay_alu instid0(VALU_DEP_3) | instskip(SKIP_1) | instid1(VALU_DEP_4)
	v_add_co_ci_u32_e32 v2, vcc_lo, 0, v2, vcc_lo
	v_and_b32_e32 v6, 0x1f8, v6
	v_add_nc_u32_e32 v5, v5, v11
	s_clause 0x1
	global_load_b64 v[3:4], v11, s[14:15]
	global_load_b64 v[1:2], v[1:2], off
	v_add_nc_u32_e32 v6, v6, v11
	s_waitcnt vmcnt(1)
	ds_store_b64 v5, v[3:4]
	s_waitcnt vmcnt(0)
	ds_store_b64 v6, v[1:2] offset:8192
	s_waitcnt lgkmcnt(0)
	s_barrier
.LBB579_8:
	v_lshlrev_b32_e32 v1, 1, v0
	v_lshrrev_b32_e32 v2, 4, v0
	buffer_gl0_inv
	s_cmp_eq_u64 s[0:1], 0
	v_add_lshl_u32 v1, v2, v1, 3
	ds_load_2addr_b64 v[1:4], v1 offset1:1
	s_waitcnt lgkmcnt(0)
	s_barrier
	buffer_gl0_inv
	s_cbranch_scc1 .LBB579_13
; %bb.9:
	s_mov_b32 s3, 0
	s_delay_alu instid0(SALU_CYCLE_1) | instskip(NEXT) | instid1(SALU_CYCLE_1)
	s_lshl_b64 s[14:15], s[2:3], 3
	s_add_u32 s3, s16, s14
	s_addc_u32 s15, s17, s15
	s_add_u32 s14, s3, -8
	s_addc_u32 s15, s15, -1
	s_cmp_eq_u64 s[0:1], s[4:5]
	s_load_b64 s[14:15], s[14:15], 0x0
	s_cbranch_scc1 .LBB579_14
; %bb.10:
	s_waitcnt lgkmcnt(0)
	v_dual_mov_b32 v5, s14 :: v_dual_mov_b32 v6, s15
	s_mov_b32 s1, exec_lo
	ds_store_b64 v11, v[3:4]
	s_waitcnt lgkmcnt(0)
	s_barrier
	buffer_gl0_inv
	v_cmpx_ne_u32_e32 0, v0
	s_cbranch_execz .LBB579_12
; %bb.11:
	v_add_nc_u32_e32 v5, -8, v11
	ds_load_b64 v[5:6], v5
.LBB579_12:
	s_or_b32 exec_lo, exec_lo, s1
	v_add_f64 v[9:10], v[1:2], v[3:4]
	s_waitcnt lgkmcnt(0)
	v_add_f64 v[5:6], v[1:2], v[5:6]
	s_branch .LBB579_18
.LBB579_13:
                                        ; implicit-def: $vgpr9_vgpr10
                                        ; implicit-def: $vgpr5_vgpr6_vgpr7_vgpr8
	s_branch .LBB579_19
.LBB579_14:
                                        ; implicit-def: $vgpr9_vgpr10
                                        ; implicit-def: $vgpr5_vgpr6_vgpr7_vgpr8
	s_cbranch_execz .LBB579_18
; %bb.15:
	s_waitcnt lgkmcnt(0)
	v_dual_mov_b32 v5, s14 :: v_dual_mov_b32 v6, s15
	s_mov_b32 s1, exec_lo
	ds_store_b64 v11, v[3:4]
	s_waitcnt lgkmcnt(0)
	s_barrier
	buffer_gl0_inv
	v_cmpx_ne_u32_e32 0, v0
	s_cbranch_execz .LBB579_17
; %bb.16:
	v_add_nc_u32_e32 v5, -8, v11
	ds_load_b64 v[5:6], v5
.LBB579_17:
	s_or_b32 exec_lo, exec_lo, s1
	v_add_f64 v[7:8], v[1:2], v[3:4]
	s_waitcnt lgkmcnt(0)
	v_add_f64 v[5:6], v[1:2], v[5:6]
	v_lshlrev_b32_e32 v9, 1, v0
	s_lshl_b32 s0, s0, 11
	s_delay_alu instid0(SALU_CYCLE_1) | instskip(NEXT) | instid1(VALU_DEP_1)
	s_sub_i32 s0, s10, s0
	v_or_b32_e32 v10, 1, v9
	s_delay_alu instid0(VALU_DEP_1) | instskip(SKIP_2) | instid1(VALU_DEP_2)
	v_cmp_gt_u32_e32 vcc_lo, s0, v10
	v_cmp_gt_u32_e64 s0, s0, v9
	v_dual_cndmask_b32 v10, v4, v8 :: v_dual_cndmask_b32 v9, v3, v7
	v_cndmask_b32_e64 v6, v2, v6, s0
	v_cndmask_b32_e64 v5, v1, v5, s0
.LBB579_18:
	s_cbranch_execnz .LBB579_27
.LBB579_19:
	v_add_f64 v[9:10], v[1:2], v[3:4]
	v_cmp_ne_u32_e32 vcc_lo, 0, v0
	s_cmp_eq_u64 s[12:13], 1
	s_cbranch_scc1 .LBB579_23
; %bb.20:
	v_dual_mov_b32 v6, v2 :: v_dual_mov_b32 v5, v1
	s_mov_b32 s0, 0
	ds_store_b64 v11, v[3:4]
	s_waitcnt lgkmcnt(0)
	s_barrier
	buffer_gl0_inv
	s_and_saveexec_b32 s1, vcc_lo
	s_cbranch_execz .LBB579_22
; %bb.21:
	v_add_nc_u32_e32 v5, -8, v11
	ds_load_b64 v[5:6], v5
	s_waitcnt lgkmcnt(0)
	v_add_f64 v[5:6], v[1:2], v[5:6]
.LBB579_22:
	s_or_b32 exec_lo, exec_lo, s1
	s_delay_alu instid0(SALU_CYCLE_1)
	s_and_not1_b32 vcc_lo, exec_lo, s0
	s_cbranch_vccz .LBB579_24
	s_branch .LBB579_27
.LBB579_23:
                                        ; implicit-def: $vgpr5_vgpr6_vgpr7_vgpr8
.LBB579_24:
	v_lshlrev_b32_e32 v5, 1, v0
	v_cmp_ne_u32_e64 s0, 0, v0
	ds_store_b64 v11, v[3:4]
	s_waitcnt lgkmcnt(0)
	s_barrier
	v_or_b32_e32 v6, 1, v5
	buffer_gl0_inv
	v_cmp_gt_u32_e32 vcc_lo, s10, v6
	v_cndmask_b32_e32 v10, v4, v10, vcc_lo
	v_cmp_gt_u32_e64 s1, s10, v5
	v_cndmask_b32_e32 v9, v3, v9, vcc_lo
	s_delay_alu instid0(VALU_DEP_2) | instskip(NEXT) | instid1(SALU_CYCLE_1)
	s_and_b32 s1, s0, s1
	s_and_saveexec_b32 s0, s1
	s_cbranch_execz .LBB579_26
; %bb.25:
	v_add_nc_u32_e32 v3, -8, v11
	ds_load_b64 v[3:4], v3
	s_waitcnt lgkmcnt(0)
	v_add_f64 v[1:2], v[1:2], v[3:4]
.LBB579_26:
	s_or_b32 exec_lo, exec_lo, s0
	s_delay_alu instid0(VALU_DEP_1)
	v_dual_mov_b32 v6, v2 :: v_dual_mov_b32 v5, v1
.LBB579_27:
	v_lshrrev_b32_e32 v7, 1, v0
	s_add_u32 s0, s8, s6
	s_addc_u32 s1, s9, s7
	s_and_b32 vcc_lo, exec_lo, s11
	s_waitcnt lgkmcnt(0)
	s_barrier
	buffer_gl0_inv
	s_cbranch_vccz .LBB579_31
; %bb.28:
	v_and_b32_e32 v1, 0x1f8, v7
	v_lshrrev_b32_e32 v2, 5, v12
	s_mov_b32 s3, 0
	s_lshl_b32 s4, s4, 11
	s_lshl_b64 s[6:7], s[2:3], 3
	v_lshl_add_u32 v1, v0, 4, v1
	v_add_lshl_u32 v2, v2, v0, 3
	s_sub_i32 s4, s10, s4
	s_add_u32 s5, s0, s6
	s_addc_u32 s6, s1, s7
	ds_store_2addr_b64 v1, v[5:6], v[9:10] offset1:1
	s_waitcnt lgkmcnt(0)
	s_barrier
	buffer_gl0_inv
	ds_load_b64 v[1:2], v2 offset:8192
	v_add_co_u32 v3, s5, s5, v11
	s_delay_alu instid0(VALU_DEP_1)
	v_add_co_ci_u32_e64 v4, null, s6, 0, s5
	s_mov_b32 s5, exec_lo
	v_cmpx_gt_u32_e64 s4, v0
	s_cbranch_execz .LBB579_30
; %bb.29:
	v_lshrrev_b32_e32 v8, 5, v0
	s_delay_alu instid0(VALU_DEP_1)
	v_add_lshl_u32 v8, v8, v0, 3
	ds_load_b64 v[13:14], v8
	s_waitcnt lgkmcnt(0)
	global_store_b64 v[3:4], v[13:14], off
.LBB579_30:
	s_or_b32 exec_lo, exec_lo, s5
	v_cmp_gt_u32_e64 s4, s4, v12
	s_and_b32 vcc_lo, exec_lo, s3
	s_cbranch_vccnz .LBB579_32
	s_branch .LBB579_33
.LBB579_31:
	s_mov_b32 s4, 0
                                        ; implicit-def: $vgpr1_vgpr2
                                        ; implicit-def: $vgpr3_vgpr4
	s_cbranch_execz .LBB579_33
.LBB579_32:
	s_waitcnt lgkmcnt(0)
	v_and_b32_e32 v1, 0x1f8, v7
	v_lshrrev_b32_e32 v2, 5, v0
	v_lshrrev_b32_e32 v3, 5, v12
	s_mov_b32 s3, 0
	s_delay_alu instid0(SALU_CYCLE_1)
	s_lshl_b64 s[2:3], s[2:3], 3
	v_lshl_add_u32 v1, v0, 4, v1
	v_add_lshl_u32 v2, v2, v0, 3
	v_add_lshl_u32 v0, v3, v0, 3
	s_add_u32 s0, s0, s2
	s_addc_u32 s1, s1, s3
	ds_store_2addr_b64 v1, v[5:6], v[9:10] offset1:1
	s_waitcnt lgkmcnt(0)
	s_waitcnt_vscnt null, 0x0
	s_barrier
	buffer_gl0_inv
	ds_load_b64 v[5:6], v2
	ds_load_b64 v[1:2], v0 offset:8192
	v_add_co_u32 v3, s2, s0, v11
	s_delay_alu instid0(VALU_DEP_1)
	v_add_co_ci_u32_e64 v4, null, s1, 0, s2
	s_or_b32 s4, s4, exec_lo
	s_waitcnt lgkmcnt(1)
	global_store_b64 v11, v[5:6], s[0:1]
.LBB579_33:
	s_delay_alu instid0(VALU_DEP_1)
	s_and_saveexec_b32 s0, s4
	s_cbranch_execnz .LBB579_35
; %bb.34:
	s_nop 0
	s_sendmsg sendmsg(MSG_DEALLOC_VGPRS)
	s_endpgm
.LBB579_35:
	v_add_co_u32 v3, vcc_lo, 0x2000, v3
	v_add_co_ci_u32_e32 v4, vcc_lo, 0, v4, vcc_lo
	s_waitcnt lgkmcnt(0)
	global_store_b64 v[3:4], v[1:2], off
	s_nop 0
	s_sendmsg sendmsg(MSG_DEALLOC_VGPRS)
	s_endpgm
	.section	.rodata,"a",@progbits
	.p2align	6, 0x0
	.amdhsa_kernel _ZN7rocprim17ROCPRIM_400000_NS6detail17trampoline_kernelINS0_14default_configENS1_35adjacent_difference_config_selectorILb0EdEEZNS1_24adjacent_difference_implIS3_Lb0ELb0EPKdPdN6thrust23THRUST_200600_302600_NS4plusIdEEEE10hipError_tPvRmT2_T3_mT4_P12ihipStream_tbEUlT_E_NS1_11comp_targetILNS1_3genE9ELNS1_11target_archE1100ELNS1_3gpuE3ELNS1_3repE0EEENS1_30default_config_static_selectorELNS0_4arch9wavefront6targetE0EEEvT1_
		.amdhsa_group_segment_fixed_size 16896
		.amdhsa_private_segment_fixed_size 0
		.amdhsa_kernarg_size 56
		.amdhsa_user_sgpr_count 15
		.amdhsa_user_sgpr_dispatch_ptr 0
		.amdhsa_user_sgpr_queue_ptr 0
		.amdhsa_user_sgpr_kernarg_segment_ptr 1
		.amdhsa_user_sgpr_dispatch_id 0
		.amdhsa_user_sgpr_private_segment_size 0
		.amdhsa_wavefront_size32 1
		.amdhsa_uses_dynamic_stack 0
		.amdhsa_enable_private_segment 0
		.amdhsa_system_sgpr_workgroup_id_x 1
		.amdhsa_system_sgpr_workgroup_id_y 0
		.amdhsa_system_sgpr_workgroup_id_z 0
		.amdhsa_system_sgpr_workgroup_info 0
		.amdhsa_system_vgpr_workitem_id 0
		.amdhsa_next_free_vgpr 15
		.amdhsa_next_free_sgpr 19
		.amdhsa_reserve_vcc 1
		.amdhsa_float_round_mode_32 0
		.amdhsa_float_round_mode_16_64 0
		.amdhsa_float_denorm_mode_32 3
		.amdhsa_float_denorm_mode_16_64 3
		.amdhsa_dx10_clamp 1
		.amdhsa_ieee_mode 1
		.amdhsa_fp16_overflow 0
		.amdhsa_workgroup_processor_mode 1
		.amdhsa_memory_ordered 1
		.amdhsa_forward_progress 0
		.amdhsa_shared_vgpr_count 0
		.amdhsa_exception_fp_ieee_invalid_op 0
		.amdhsa_exception_fp_denorm_src 0
		.amdhsa_exception_fp_ieee_div_zero 0
		.amdhsa_exception_fp_ieee_overflow 0
		.amdhsa_exception_fp_ieee_underflow 0
		.amdhsa_exception_fp_ieee_inexact 0
		.amdhsa_exception_int_div_zero 0
	.end_amdhsa_kernel
	.section	.text._ZN7rocprim17ROCPRIM_400000_NS6detail17trampoline_kernelINS0_14default_configENS1_35adjacent_difference_config_selectorILb0EdEEZNS1_24adjacent_difference_implIS3_Lb0ELb0EPKdPdN6thrust23THRUST_200600_302600_NS4plusIdEEEE10hipError_tPvRmT2_T3_mT4_P12ihipStream_tbEUlT_E_NS1_11comp_targetILNS1_3genE9ELNS1_11target_archE1100ELNS1_3gpuE3ELNS1_3repE0EEENS1_30default_config_static_selectorELNS0_4arch9wavefront6targetE0EEEvT1_,"axG",@progbits,_ZN7rocprim17ROCPRIM_400000_NS6detail17trampoline_kernelINS0_14default_configENS1_35adjacent_difference_config_selectorILb0EdEEZNS1_24adjacent_difference_implIS3_Lb0ELb0EPKdPdN6thrust23THRUST_200600_302600_NS4plusIdEEEE10hipError_tPvRmT2_T3_mT4_P12ihipStream_tbEUlT_E_NS1_11comp_targetILNS1_3genE9ELNS1_11target_archE1100ELNS1_3gpuE3ELNS1_3repE0EEENS1_30default_config_static_selectorELNS0_4arch9wavefront6targetE0EEEvT1_,comdat
.Lfunc_end579:
	.size	_ZN7rocprim17ROCPRIM_400000_NS6detail17trampoline_kernelINS0_14default_configENS1_35adjacent_difference_config_selectorILb0EdEEZNS1_24adjacent_difference_implIS3_Lb0ELb0EPKdPdN6thrust23THRUST_200600_302600_NS4plusIdEEEE10hipError_tPvRmT2_T3_mT4_P12ihipStream_tbEUlT_E_NS1_11comp_targetILNS1_3genE9ELNS1_11target_archE1100ELNS1_3gpuE3ELNS1_3repE0EEENS1_30default_config_static_selectorELNS0_4arch9wavefront6targetE0EEEvT1_, .Lfunc_end579-_ZN7rocprim17ROCPRIM_400000_NS6detail17trampoline_kernelINS0_14default_configENS1_35adjacent_difference_config_selectorILb0EdEEZNS1_24adjacent_difference_implIS3_Lb0ELb0EPKdPdN6thrust23THRUST_200600_302600_NS4plusIdEEEE10hipError_tPvRmT2_T3_mT4_P12ihipStream_tbEUlT_E_NS1_11comp_targetILNS1_3genE9ELNS1_11target_archE1100ELNS1_3gpuE3ELNS1_3repE0EEENS1_30default_config_static_selectorELNS0_4arch9wavefront6targetE0EEEvT1_
                                        ; -- End function
	.section	.AMDGPU.csdata,"",@progbits
; Kernel info:
; codeLenInByte = 1476
; NumSgprs: 21
; NumVgprs: 15
; ScratchSize: 0
; MemoryBound: 0
; FloatMode: 240
; IeeeMode: 1
; LDSByteSize: 16896 bytes/workgroup (compile time only)
; SGPRBlocks: 2
; VGPRBlocks: 1
; NumSGPRsForWavesPerEU: 21
; NumVGPRsForWavesPerEU: 15
; Occupancy: 16
; WaveLimiterHint : 1
; COMPUTE_PGM_RSRC2:SCRATCH_EN: 0
; COMPUTE_PGM_RSRC2:USER_SGPR: 15
; COMPUTE_PGM_RSRC2:TRAP_HANDLER: 0
; COMPUTE_PGM_RSRC2:TGID_X_EN: 1
; COMPUTE_PGM_RSRC2:TGID_Y_EN: 0
; COMPUTE_PGM_RSRC2:TGID_Z_EN: 0
; COMPUTE_PGM_RSRC2:TIDIG_COMP_CNT: 0
	.section	.text._ZN7rocprim17ROCPRIM_400000_NS6detail17trampoline_kernelINS0_14default_configENS1_35adjacent_difference_config_selectorILb0EdEEZNS1_24adjacent_difference_implIS3_Lb0ELb0EPKdPdN6thrust23THRUST_200600_302600_NS4plusIdEEEE10hipError_tPvRmT2_T3_mT4_P12ihipStream_tbEUlT_E_NS1_11comp_targetILNS1_3genE8ELNS1_11target_archE1030ELNS1_3gpuE2ELNS1_3repE0EEENS1_30default_config_static_selectorELNS0_4arch9wavefront6targetE0EEEvT1_,"axG",@progbits,_ZN7rocprim17ROCPRIM_400000_NS6detail17trampoline_kernelINS0_14default_configENS1_35adjacent_difference_config_selectorILb0EdEEZNS1_24adjacent_difference_implIS3_Lb0ELb0EPKdPdN6thrust23THRUST_200600_302600_NS4plusIdEEEE10hipError_tPvRmT2_T3_mT4_P12ihipStream_tbEUlT_E_NS1_11comp_targetILNS1_3genE8ELNS1_11target_archE1030ELNS1_3gpuE2ELNS1_3repE0EEENS1_30default_config_static_selectorELNS0_4arch9wavefront6targetE0EEEvT1_,comdat
	.protected	_ZN7rocprim17ROCPRIM_400000_NS6detail17trampoline_kernelINS0_14default_configENS1_35adjacent_difference_config_selectorILb0EdEEZNS1_24adjacent_difference_implIS3_Lb0ELb0EPKdPdN6thrust23THRUST_200600_302600_NS4plusIdEEEE10hipError_tPvRmT2_T3_mT4_P12ihipStream_tbEUlT_E_NS1_11comp_targetILNS1_3genE8ELNS1_11target_archE1030ELNS1_3gpuE2ELNS1_3repE0EEENS1_30default_config_static_selectorELNS0_4arch9wavefront6targetE0EEEvT1_ ; -- Begin function _ZN7rocprim17ROCPRIM_400000_NS6detail17trampoline_kernelINS0_14default_configENS1_35adjacent_difference_config_selectorILb0EdEEZNS1_24adjacent_difference_implIS3_Lb0ELb0EPKdPdN6thrust23THRUST_200600_302600_NS4plusIdEEEE10hipError_tPvRmT2_T3_mT4_P12ihipStream_tbEUlT_E_NS1_11comp_targetILNS1_3genE8ELNS1_11target_archE1030ELNS1_3gpuE2ELNS1_3repE0EEENS1_30default_config_static_selectorELNS0_4arch9wavefront6targetE0EEEvT1_
	.globl	_ZN7rocprim17ROCPRIM_400000_NS6detail17trampoline_kernelINS0_14default_configENS1_35adjacent_difference_config_selectorILb0EdEEZNS1_24adjacent_difference_implIS3_Lb0ELb0EPKdPdN6thrust23THRUST_200600_302600_NS4plusIdEEEE10hipError_tPvRmT2_T3_mT4_P12ihipStream_tbEUlT_E_NS1_11comp_targetILNS1_3genE8ELNS1_11target_archE1030ELNS1_3gpuE2ELNS1_3repE0EEENS1_30default_config_static_selectorELNS0_4arch9wavefront6targetE0EEEvT1_
	.p2align	8
	.type	_ZN7rocprim17ROCPRIM_400000_NS6detail17trampoline_kernelINS0_14default_configENS1_35adjacent_difference_config_selectorILb0EdEEZNS1_24adjacent_difference_implIS3_Lb0ELb0EPKdPdN6thrust23THRUST_200600_302600_NS4plusIdEEEE10hipError_tPvRmT2_T3_mT4_P12ihipStream_tbEUlT_E_NS1_11comp_targetILNS1_3genE8ELNS1_11target_archE1030ELNS1_3gpuE2ELNS1_3repE0EEENS1_30default_config_static_selectorELNS0_4arch9wavefront6targetE0EEEvT1_,@function
_ZN7rocprim17ROCPRIM_400000_NS6detail17trampoline_kernelINS0_14default_configENS1_35adjacent_difference_config_selectorILb0EdEEZNS1_24adjacent_difference_implIS3_Lb0ELb0EPKdPdN6thrust23THRUST_200600_302600_NS4plusIdEEEE10hipError_tPvRmT2_T3_mT4_P12ihipStream_tbEUlT_E_NS1_11comp_targetILNS1_3genE8ELNS1_11target_archE1030ELNS1_3gpuE2ELNS1_3repE0EEENS1_30default_config_static_selectorELNS0_4arch9wavefront6targetE0EEEvT1_: ; @_ZN7rocprim17ROCPRIM_400000_NS6detail17trampoline_kernelINS0_14default_configENS1_35adjacent_difference_config_selectorILb0EdEEZNS1_24adjacent_difference_implIS3_Lb0ELb0EPKdPdN6thrust23THRUST_200600_302600_NS4plusIdEEEE10hipError_tPvRmT2_T3_mT4_P12ihipStream_tbEUlT_E_NS1_11comp_targetILNS1_3genE8ELNS1_11target_archE1030ELNS1_3gpuE2ELNS1_3repE0EEENS1_30default_config_static_selectorELNS0_4arch9wavefront6targetE0EEEvT1_
; %bb.0:
	.section	.rodata,"a",@progbits
	.p2align	6, 0x0
	.amdhsa_kernel _ZN7rocprim17ROCPRIM_400000_NS6detail17trampoline_kernelINS0_14default_configENS1_35adjacent_difference_config_selectorILb0EdEEZNS1_24adjacent_difference_implIS3_Lb0ELb0EPKdPdN6thrust23THRUST_200600_302600_NS4plusIdEEEE10hipError_tPvRmT2_T3_mT4_P12ihipStream_tbEUlT_E_NS1_11comp_targetILNS1_3genE8ELNS1_11target_archE1030ELNS1_3gpuE2ELNS1_3repE0EEENS1_30default_config_static_selectorELNS0_4arch9wavefront6targetE0EEEvT1_
		.amdhsa_group_segment_fixed_size 0
		.amdhsa_private_segment_fixed_size 0
		.amdhsa_kernarg_size 56
		.amdhsa_user_sgpr_count 15
		.amdhsa_user_sgpr_dispatch_ptr 0
		.amdhsa_user_sgpr_queue_ptr 0
		.amdhsa_user_sgpr_kernarg_segment_ptr 1
		.amdhsa_user_sgpr_dispatch_id 0
		.amdhsa_user_sgpr_private_segment_size 0
		.amdhsa_wavefront_size32 1
		.amdhsa_uses_dynamic_stack 0
		.amdhsa_enable_private_segment 0
		.amdhsa_system_sgpr_workgroup_id_x 1
		.amdhsa_system_sgpr_workgroup_id_y 0
		.amdhsa_system_sgpr_workgroup_id_z 0
		.amdhsa_system_sgpr_workgroup_info 0
		.amdhsa_system_vgpr_workitem_id 0
		.amdhsa_next_free_vgpr 1
		.amdhsa_next_free_sgpr 1
		.amdhsa_reserve_vcc 0
		.amdhsa_float_round_mode_32 0
		.amdhsa_float_round_mode_16_64 0
		.amdhsa_float_denorm_mode_32 3
		.amdhsa_float_denorm_mode_16_64 3
		.amdhsa_dx10_clamp 1
		.amdhsa_ieee_mode 1
		.amdhsa_fp16_overflow 0
		.amdhsa_workgroup_processor_mode 1
		.amdhsa_memory_ordered 1
		.amdhsa_forward_progress 0
		.amdhsa_shared_vgpr_count 0
		.amdhsa_exception_fp_ieee_invalid_op 0
		.amdhsa_exception_fp_denorm_src 0
		.amdhsa_exception_fp_ieee_div_zero 0
		.amdhsa_exception_fp_ieee_overflow 0
		.amdhsa_exception_fp_ieee_underflow 0
		.amdhsa_exception_fp_ieee_inexact 0
		.amdhsa_exception_int_div_zero 0
	.end_amdhsa_kernel
	.section	.text._ZN7rocprim17ROCPRIM_400000_NS6detail17trampoline_kernelINS0_14default_configENS1_35adjacent_difference_config_selectorILb0EdEEZNS1_24adjacent_difference_implIS3_Lb0ELb0EPKdPdN6thrust23THRUST_200600_302600_NS4plusIdEEEE10hipError_tPvRmT2_T3_mT4_P12ihipStream_tbEUlT_E_NS1_11comp_targetILNS1_3genE8ELNS1_11target_archE1030ELNS1_3gpuE2ELNS1_3repE0EEENS1_30default_config_static_selectorELNS0_4arch9wavefront6targetE0EEEvT1_,"axG",@progbits,_ZN7rocprim17ROCPRIM_400000_NS6detail17trampoline_kernelINS0_14default_configENS1_35adjacent_difference_config_selectorILb0EdEEZNS1_24adjacent_difference_implIS3_Lb0ELb0EPKdPdN6thrust23THRUST_200600_302600_NS4plusIdEEEE10hipError_tPvRmT2_T3_mT4_P12ihipStream_tbEUlT_E_NS1_11comp_targetILNS1_3genE8ELNS1_11target_archE1030ELNS1_3gpuE2ELNS1_3repE0EEENS1_30default_config_static_selectorELNS0_4arch9wavefront6targetE0EEEvT1_,comdat
.Lfunc_end580:
	.size	_ZN7rocprim17ROCPRIM_400000_NS6detail17trampoline_kernelINS0_14default_configENS1_35adjacent_difference_config_selectorILb0EdEEZNS1_24adjacent_difference_implIS3_Lb0ELb0EPKdPdN6thrust23THRUST_200600_302600_NS4plusIdEEEE10hipError_tPvRmT2_T3_mT4_P12ihipStream_tbEUlT_E_NS1_11comp_targetILNS1_3genE8ELNS1_11target_archE1030ELNS1_3gpuE2ELNS1_3repE0EEENS1_30default_config_static_selectorELNS0_4arch9wavefront6targetE0EEEvT1_, .Lfunc_end580-_ZN7rocprim17ROCPRIM_400000_NS6detail17trampoline_kernelINS0_14default_configENS1_35adjacent_difference_config_selectorILb0EdEEZNS1_24adjacent_difference_implIS3_Lb0ELb0EPKdPdN6thrust23THRUST_200600_302600_NS4plusIdEEEE10hipError_tPvRmT2_T3_mT4_P12ihipStream_tbEUlT_E_NS1_11comp_targetILNS1_3genE8ELNS1_11target_archE1030ELNS1_3gpuE2ELNS1_3repE0EEENS1_30default_config_static_selectorELNS0_4arch9wavefront6targetE0EEEvT1_
                                        ; -- End function
	.section	.AMDGPU.csdata,"",@progbits
; Kernel info:
; codeLenInByte = 0
; NumSgprs: 0
; NumVgprs: 0
; ScratchSize: 0
; MemoryBound: 0
; FloatMode: 240
; IeeeMode: 1
; LDSByteSize: 0 bytes/workgroup (compile time only)
; SGPRBlocks: 0
; VGPRBlocks: 0
; NumSGPRsForWavesPerEU: 1
; NumVGPRsForWavesPerEU: 1
; Occupancy: 16
; WaveLimiterHint : 0
; COMPUTE_PGM_RSRC2:SCRATCH_EN: 0
; COMPUTE_PGM_RSRC2:USER_SGPR: 15
; COMPUTE_PGM_RSRC2:TRAP_HANDLER: 0
; COMPUTE_PGM_RSRC2:TGID_X_EN: 1
; COMPUTE_PGM_RSRC2:TGID_Y_EN: 0
; COMPUTE_PGM_RSRC2:TGID_Z_EN: 0
; COMPUTE_PGM_RSRC2:TIDIG_COMP_CNT: 0
	.section	.text._ZN7rocprim17ROCPRIM_400000_NS6detail17trampoline_kernelINS0_14default_configENS1_25transform_config_selectorIdLb0EEEZNS1_14transform_implILb0ES3_S5_NS0_18transform_iteratorINS0_17counting_iteratorImlEEZNS1_24adjacent_difference_implIS3_Lb1ELb0EPKdPdN6thrust23THRUST_200600_302600_NS4plusIdEEEE10hipError_tPvRmT2_T3_mT4_P12ihipStream_tbEUlmE_dEESD_NS0_8identityIvEEEESI_SL_SM_mSN_SP_bEUlT_E_NS1_11comp_targetILNS1_3genE0ELNS1_11target_archE4294967295ELNS1_3gpuE0ELNS1_3repE0EEENS1_30default_config_static_selectorELNS0_4arch9wavefront6targetE0EEEvT1_,"axG",@progbits,_ZN7rocprim17ROCPRIM_400000_NS6detail17trampoline_kernelINS0_14default_configENS1_25transform_config_selectorIdLb0EEEZNS1_14transform_implILb0ES3_S5_NS0_18transform_iteratorINS0_17counting_iteratorImlEEZNS1_24adjacent_difference_implIS3_Lb1ELb0EPKdPdN6thrust23THRUST_200600_302600_NS4plusIdEEEE10hipError_tPvRmT2_T3_mT4_P12ihipStream_tbEUlmE_dEESD_NS0_8identityIvEEEESI_SL_SM_mSN_SP_bEUlT_E_NS1_11comp_targetILNS1_3genE0ELNS1_11target_archE4294967295ELNS1_3gpuE0ELNS1_3repE0EEENS1_30default_config_static_selectorELNS0_4arch9wavefront6targetE0EEEvT1_,comdat
	.protected	_ZN7rocprim17ROCPRIM_400000_NS6detail17trampoline_kernelINS0_14default_configENS1_25transform_config_selectorIdLb0EEEZNS1_14transform_implILb0ES3_S5_NS0_18transform_iteratorINS0_17counting_iteratorImlEEZNS1_24adjacent_difference_implIS3_Lb1ELb0EPKdPdN6thrust23THRUST_200600_302600_NS4plusIdEEEE10hipError_tPvRmT2_T3_mT4_P12ihipStream_tbEUlmE_dEESD_NS0_8identityIvEEEESI_SL_SM_mSN_SP_bEUlT_E_NS1_11comp_targetILNS1_3genE0ELNS1_11target_archE4294967295ELNS1_3gpuE0ELNS1_3repE0EEENS1_30default_config_static_selectorELNS0_4arch9wavefront6targetE0EEEvT1_ ; -- Begin function _ZN7rocprim17ROCPRIM_400000_NS6detail17trampoline_kernelINS0_14default_configENS1_25transform_config_selectorIdLb0EEEZNS1_14transform_implILb0ES3_S5_NS0_18transform_iteratorINS0_17counting_iteratorImlEEZNS1_24adjacent_difference_implIS3_Lb1ELb0EPKdPdN6thrust23THRUST_200600_302600_NS4plusIdEEEE10hipError_tPvRmT2_T3_mT4_P12ihipStream_tbEUlmE_dEESD_NS0_8identityIvEEEESI_SL_SM_mSN_SP_bEUlT_E_NS1_11comp_targetILNS1_3genE0ELNS1_11target_archE4294967295ELNS1_3gpuE0ELNS1_3repE0EEENS1_30default_config_static_selectorELNS0_4arch9wavefront6targetE0EEEvT1_
	.globl	_ZN7rocprim17ROCPRIM_400000_NS6detail17trampoline_kernelINS0_14default_configENS1_25transform_config_selectorIdLb0EEEZNS1_14transform_implILb0ES3_S5_NS0_18transform_iteratorINS0_17counting_iteratorImlEEZNS1_24adjacent_difference_implIS3_Lb1ELb0EPKdPdN6thrust23THRUST_200600_302600_NS4plusIdEEEE10hipError_tPvRmT2_T3_mT4_P12ihipStream_tbEUlmE_dEESD_NS0_8identityIvEEEESI_SL_SM_mSN_SP_bEUlT_E_NS1_11comp_targetILNS1_3genE0ELNS1_11target_archE4294967295ELNS1_3gpuE0ELNS1_3repE0EEENS1_30default_config_static_selectorELNS0_4arch9wavefront6targetE0EEEvT1_
	.p2align	8
	.type	_ZN7rocprim17ROCPRIM_400000_NS6detail17trampoline_kernelINS0_14default_configENS1_25transform_config_selectorIdLb0EEEZNS1_14transform_implILb0ES3_S5_NS0_18transform_iteratorINS0_17counting_iteratorImlEEZNS1_24adjacent_difference_implIS3_Lb1ELb0EPKdPdN6thrust23THRUST_200600_302600_NS4plusIdEEEE10hipError_tPvRmT2_T3_mT4_P12ihipStream_tbEUlmE_dEESD_NS0_8identityIvEEEESI_SL_SM_mSN_SP_bEUlT_E_NS1_11comp_targetILNS1_3genE0ELNS1_11target_archE4294967295ELNS1_3gpuE0ELNS1_3repE0EEENS1_30default_config_static_selectorELNS0_4arch9wavefront6targetE0EEEvT1_,@function
_ZN7rocprim17ROCPRIM_400000_NS6detail17trampoline_kernelINS0_14default_configENS1_25transform_config_selectorIdLb0EEEZNS1_14transform_implILb0ES3_S5_NS0_18transform_iteratorINS0_17counting_iteratorImlEEZNS1_24adjacent_difference_implIS3_Lb1ELb0EPKdPdN6thrust23THRUST_200600_302600_NS4plusIdEEEE10hipError_tPvRmT2_T3_mT4_P12ihipStream_tbEUlmE_dEESD_NS0_8identityIvEEEESI_SL_SM_mSN_SP_bEUlT_E_NS1_11comp_targetILNS1_3genE0ELNS1_11target_archE4294967295ELNS1_3gpuE0ELNS1_3repE0EEENS1_30default_config_static_selectorELNS0_4arch9wavefront6targetE0EEEvT1_: ; @_ZN7rocprim17ROCPRIM_400000_NS6detail17trampoline_kernelINS0_14default_configENS1_25transform_config_selectorIdLb0EEEZNS1_14transform_implILb0ES3_S5_NS0_18transform_iteratorINS0_17counting_iteratorImlEEZNS1_24adjacent_difference_implIS3_Lb1ELb0EPKdPdN6thrust23THRUST_200600_302600_NS4plusIdEEEE10hipError_tPvRmT2_T3_mT4_P12ihipStream_tbEUlmE_dEESD_NS0_8identityIvEEEESI_SL_SM_mSN_SP_bEUlT_E_NS1_11comp_targetILNS1_3genE0ELNS1_11target_archE4294967295ELNS1_3gpuE0ELNS1_3repE0EEENS1_30default_config_static_selectorELNS0_4arch9wavefront6targetE0EEEvT1_
; %bb.0:
	.section	.rodata,"a",@progbits
	.p2align	6, 0x0
	.amdhsa_kernel _ZN7rocprim17ROCPRIM_400000_NS6detail17trampoline_kernelINS0_14default_configENS1_25transform_config_selectorIdLb0EEEZNS1_14transform_implILb0ES3_S5_NS0_18transform_iteratorINS0_17counting_iteratorImlEEZNS1_24adjacent_difference_implIS3_Lb1ELb0EPKdPdN6thrust23THRUST_200600_302600_NS4plusIdEEEE10hipError_tPvRmT2_T3_mT4_P12ihipStream_tbEUlmE_dEESD_NS0_8identityIvEEEESI_SL_SM_mSN_SP_bEUlT_E_NS1_11comp_targetILNS1_3genE0ELNS1_11target_archE4294967295ELNS1_3gpuE0ELNS1_3repE0EEENS1_30default_config_static_selectorELNS0_4arch9wavefront6targetE0EEEvT1_
		.amdhsa_group_segment_fixed_size 0
		.amdhsa_private_segment_fixed_size 0
		.amdhsa_kernarg_size 56
		.amdhsa_user_sgpr_count 15
		.amdhsa_user_sgpr_dispatch_ptr 0
		.amdhsa_user_sgpr_queue_ptr 0
		.amdhsa_user_sgpr_kernarg_segment_ptr 1
		.amdhsa_user_sgpr_dispatch_id 0
		.amdhsa_user_sgpr_private_segment_size 0
		.amdhsa_wavefront_size32 1
		.amdhsa_uses_dynamic_stack 0
		.amdhsa_enable_private_segment 0
		.amdhsa_system_sgpr_workgroup_id_x 1
		.amdhsa_system_sgpr_workgroup_id_y 0
		.amdhsa_system_sgpr_workgroup_id_z 0
		.amdhsa_system_sgpr_workgroup_info 0
		.amdhsa_system_vgpr_workitem_id 0
		.amdhsa_next_free_vgpr 1
		.amdhsa_next_free_sgpr 1
		.amdhsa_reserve_vcc 0
		.amdhsa_float_round_mode_32 0
		.amdhsa_float_round_mode_16_64 0
		.amdhsa_float_denorm_mode_32 3
		.amdhsa_float_denorm_mode_16_64 3
		.amdhsa_dx10_clamp 1
		.amdhsa_ieee_mode 1
		.amdhsa_fp16_overflow 0
		.amdhsa_workgroup_processor_mode 1
		.amdhsa_memory_ordered 1
		.amdhsa_forward_progress 0
		.amdhsa_shared_vgpr_count 0
		.amdhsa_exception_fp_ieee_invalid_op 0
		.amdhsa_exception_fp_denorm_src 0
		.amdhsa_exception_fp_ieee_div_zero 0
		.amdhsa_exception_fp_ieee_overflow 0
		.amdhsa_exception_fp_ieee_underflow 0
		.amdhsa_exception_fp_ieee_inexact 0
		.amdhsa_exception_int_div_zero 0
	.end_amdhsa_kernel
	.section	.text._ZN7rocprim17ROCPRIM_400000_NS6detail17trampoline_kernelINS0_14default_configENS1_25transform_config_selectorIdLb0EEEZNS1_14transform_implILb0ES3_S5_NS0_18transform_iteratorINS0_17counting_iteratorImlEEZNS1_24adjacent_difference_implIS3_Lb1ELb0EPKdPdN6thrust23THRUST_200600_302600_NS4plusIdEEEE10hipError_tPvRmT2_T3_mT4_P12ihipStream_tbEUlmE_dEESD_NS0_8identityIvEEEESI_SL_SM_mSN_SP_bEUlT_E_NS1_11comp_targetILNS1_3genE0ELNS1_11target_archE4294967295ELNS1_3gpuE0ELNS1_3repE0EEENS1_30default_config_static_selectorELNS0_4arch9wavefront6targetE0EEEvT1_,"axG",@progbits,_ZN7rocprim17ROCPRIM_400000_NS6detail17trampoline_kernelINS0_14default_configENS1_25transform_config_selectorIdLb0EEEZNS1_14transform_implILb0ES3_S5_NS0_18transform_iteratorINS0_17counting_iteratorImlEEZNS1_24adjacent_difference_implIS3_Lb1ELb0EPKdPdN6thrust23THRUST_200600_302600_NS4plusIdEEEE10hipError_tPvRmT2_T3_mT4_P12ihipStream_tbEUlmE_dEESD_NS0_8identityIvEEEESI_SL_SM_mSN_SP_bEUlT_E_NS1_11comp_targetILNS1_3genE0ELNS1_11target_archE4294967295ELNS1_3gpuE0ELNS1_3repE0EEENS1_30default_config_static_selectorELNS0_4arch9wavefront6targetE0EEEvT1_,comdat
.Lfunc_end581:
	.size	_ZN7rocprim17ROCPRIM_400000_NS6detail17trampoline_kernelINS0_14default_configENS1_25transform_config_selectorIdLb0EEEZNS1_14transform_implILb0ES3_S5_NS0_18transform_iteratorINS0_17counting_iteratorImlEEZNS1_24adjacent_difference_implIS3_Lb1ELb0EPKdPdN6thrust23THRUST_200600_302600_NS4plusIdEEEE10hipError_tPvRmT2_T3_mT4_P12ihipStream_tbEUlmE_dEESD_NS0_8identityIvEEEESI_SL_SM_mSN_SP_bEUlT_E_NS1_11comp_targetILNS1_3genE0ELNS1_11target_archE4294967295ELNS1_3gpuE0ELNS1_3repE0EEENS1_30default_config_static_selectorELNS0_4arch9wavefront6targetE0EEEvT1_, .Lfunc_end581-_ZN7rocprim17ROCPRIM_400000_NS6detail17trampoline_kernelINS0_14default_configENS1_25transform_config_selectorIdLb0EEEZNS1_14transform_implILb0ES3_S5_NS0_18transform_iteratorINS0_17counting_iteratorImlEEZNS1_24adjacent_difference_implIS3_Lb1ELb0EPKdPdN6thrust23THRUST_200600_302600_NS4plusIdEEEE10hipError_tPvRmT2_T3_mT4_P12ihipStream_tbEUlmE_dEESD_NS0_8identityIvEEEESI_SL_SM_mSN_SP_bEUlT_E_NS1_11comp_targetILNS1_3genE0ELNS1_11target_archE4294967295ELNS1_3gpuE0ELNS1_3repE0EEENS1_30default_config_static_selectorELNS0_4arch9wavefront6targetE0EEEvT1_
                                        ; -- End function
	.section	.AMDGPU.csdata,"",@progbits
; Kernel info:
; codeLenInByte = 0
; NumSgprs: 0
; NumVgprs: 0
; ScratchSize: 0
; MemoryBound: 0
; FloatMode: 240
; IeeeMode: 1
; LDSByteSize: 0 bytes/workgroup (compile time only)
; SGPRBlocks: 0
; VGPRBlocks: 0
; NumSGPRsForWavesPerEU: 1
; NumVGPRsForWavesPerEU: 1
; Occupancy: 16
; WaveLimiterHint : 0
; COMPUTE_PGM_RSRC2:SCRATCH_EN: 0
; COMPUTE_PGM_RSRC2:USER_SGPR: 15
; COMPUTE_PGM_RSRC2:TRAP_HANDLER: 0
; COMPUTE_PGM_RSRC2:TGID_X_EN: 1
; COMPUTE_PGM_RSRC2:TGID_Y_EN: 0
; COMPUTE_PGM_RSRC2:TGID_Z_EN: 0
; COMPUTE_PGM_RSRC2:TIDIG_COMP_CNT: 0
	.section	.text._ZN7rocprim17ROCPRIM_400000_NS6detail17trampoline_kernelINS0_14default_configENS1_25transform_config_selectorIdLb0EEEZNS1_14transform_implILb0ES3_S5_NS0_18transform_iteratorINS0_17counting_iteratorImlEEZNS1_24adjacent_difference_implIS3_Lb1ELb0EPKdPdN6thrust23THRUST_200600_302600_NS4plusIdEEEE10hipError_tPvRmT2_T3_mT4_P12ihipStream_tbEUlmE_dEESD_NS0_8identityIvEEEESI_SL_SM_mSN_SP_bEUlT_E_NS1_11comp_targetILNS1_3genE5ELNS1_11target_archE942ELNS1_3gpuE9ELNS1_3repE0EEENS1_30default_config_static_selectorELNS0_4arch9wavefront6targetE0EEEvT1_,"axG",@progbits,_ZN7rocprim17ROCPRIM_400000_NS6detail17trampoline_kernelINS0_14default_configENS1_25transform_config_selectorIdLb0EEEZNS1_14transform_implILb0ES3_S5_NS0_18transform_iteratorINS0_17counting_iteratorImlEEZNS1_24adjacent_difference_implIS3_Lb1ELb0EPKdPdN6thrust23THRUST_200600_302600_NS4plusIdEEEE10hipError_tPvRmT2_T3_mT4_P12ihipStream_tbEUlmE_dEESD_NS0_8identityIvEEEESI_SL_SM_mSN_SP_bEUlT_E_NS1_11comp_targetILNS1_3genE5ELNS1_11target_archE942ELNS1_3gpuE9ELNS1_3repE0EEENS1_30default_config_static_selectorELNS0_4arch9wavefront6targetE0EEEvT1_,comdat
	.protected	_ZN7rocprim17ROCPRIM_400000_NS6detail17trampoline_kernelINS0_14default_configENS1_25transform_config_selectorIdLb0EEEZNS1_14transform_implILb0ES3_S5_NS0_18transform_iteratorINS0_17counting_iteratorImlEEZNS1_24adjacent_difference_implIS3_Lb1ELb0EPKdPdN6thrust23THRUST_200600_302600_NS4plusIdEEEE10hipError_tPvRmT2_T3_mT4_P12ihipStream_tbEUlmE_dEESD_NS0_8identityIvEEEESI_SL_SM_mSN_SP_bEUlT_E_NS1_11comp_targetILNS1_3genE5ELNS1_11target_archE942ELNS1_3gpuE9ELNS1_3repE0EEENS1_30default_config_static_selectorELNS0_4arch9wavefront6targetE0EEEvT1_ ; -- Begin function _ZN7rocprim17ROCPRIM_400000_NS6detail17trampoline_kernelINS0_14default_configENS1_25transform_config_selectorIdLb0EEEZNS1_14transform_implILb0ES3_S5_NS0_18transform_iteratorINS0_17counting_iteratorImlEEZNS1_24adjacent_difference_implIS3_Lb1ELb0EPKdPdN6thrust23THRUST_200600_302600_NS4plusIdEEEE10hipError_tPvRmT2_T3_mT4_P12ihipStream_tbEUlmE_dEESD_NS0_8identityIvEEEESI_SL_SM_mSN_SP_bEUlT_E_NS1_11comp_targetILNS1_3genE5ELNS1_11target_archE942ELNS1_3gpuE9ELNS1_3repE0EEENS1_30default_config_static_selectorELNS0_4arch9wavefront6targetE0EEEvT1_
	.globl	_ZN7rocprim17ROCPRIM_400000_NS6detail17trampoline_kernelINS0_14default_configENS1_25transform_config_selectorIdLb0EEEZNS1_14transform_implILb0ES3_S5_NS0_18transform_iteratorINS0_17counting_iteratorImlEEZNS1_24adjacent_difference_implIS3_Lb1ELb0EPKdPdN6thrust23THRUST_200600_302600_NS4plusIdEEEE10hipError_tPvRmT2_T3_mT4_P12ihipStream_tbEUlmE_dEESD_NS0_8identityIvEEEESI_SL_SM_mSN_SP_bEUlT_E_NS1_11comp_targetILNS1_3genE5ELNS1_11target_archE942ELNS1_3gpuE9ELNS1_3repE0EEENS1_30default_config_static_selectorELNS0_4arch9wavefront6targetE0EEEvT1_
	.p2align	8
	.type	_ZN7rocprim17ROCPRIM_400000_NS6detail17trampoline_kernelINS0_14default_configENS1_25transform_config_selectorIdLb0EEEZNS1_14transform_implILb0ES3_S5_NS0_18transform_iteratorINS0_17counting_iteratorImlEEZNS1_24adjacent_difference_implIS3_Lb1ELb0EPKdPdN6thrust23THRUST_200600_302600_NS4plusIdEEEE10hipError_tPvRmT2_T3_mT4_P12ihipStream_tbEUlmE_dEESD_NS0_8identityIvEEEESI_SL_SM_mSN_SP_bEUlT_E_NS1_11comp_targetILNS1_3genE5ELNS1_11target_archE942ELNS1_3gpuE9ELNS1_3repE0EEENS1_30default_config_static_selectorELNS0_4arch9wavefront6targetE0EEEvT1_,@function
_ZN7rocprim17ROCPRIM_400000_NS6detail17trampoline_kernelINS0_14default_configENS1_25transform_config_selectorIdLb0EEEZNS1_14transform_implILb0ES3_S5_NS0_18transform_iteratorINS0_17counting_iteratorImlEEZNS1_24adjacent_difference_implIS3_Lb1ELb0EPKdPdN6thrust23THRUST_200600_302600_NS4plusIdEEEE10hipError_tPvRmT2_T3_mT4_P12ihipStream_tbEUlmE_dEESD_NS0_8identityIvEEEESI_SL_SM_mSN_SP_bEUlT_E_NS1_11comp_targetILNS1_3genE5ELNS1_11target_archE942ELNS1_3gpuE9ELNS1_3repE0EEENS1_30default_config_static_selectorELNS0_4arch9wavefront6targetE0EEEvT1_: ; @_ZN7rocprim17ROCPRIM_400000_NS6detail17trampoline_kernelINS0_14default_configENS1_25transform_config_selectorIdLb0EEEZNS1_14transform_implILb0ES3_S5_NS0_18transform_iteratorINS0_17counting_iteratorImlEEZNS1_24adjacent_difference_implIS3_Lb1ELb0EPKdPdN6thrust23THRUST_200600_302600_NS4plusIdEEEE10hipError_tPvRmT2_T3_mT4_P12ihipStream_tbEUlmE_dEESD_NS0_8identityIvEEEESI_SL_SM_mSN_SP_bEUlT_E_NS1_11comp_targetILNS1_3genE5ELNS1_11target_archE942ELNS1_3gpuE9ELNS1_3repE0EEENS1_30default_config_static_selectorELNS0_4arch9wavefront6targetE0EEEvT1_
; %bb.0:
	.section	.rodata,"a",@progbits
	.p2align	6, 0x0
	.amdhsa_kernel _ZN7rocprim17ROCPRIM_400000_NS6detail17trampoline_kernelINS0_14default_configENS1_25transform_config_selectorIdLb0EEEZNS1_14transform_implILb0ES3_S5_NS0_18transform_iteratorINS0_17counting_iteratorImlEEZNS1_24adjacent_difference_implIS3_Lb1ELb0EPKdPdN6thrust23THRUST_200600_302600_NS4plusIdEEEE10hipError_tPvRmT2_T3_mT4_P12ihipStream_tbEUlmE_dEESD_NS0_8identityIvEEEESI_SL_SM_mSN_SP_bEUlT_E_NS1_11comp_targetILNS1_3genE5ELNS1_11target_archE942ELNS1_3gpuE9ELNS1_3repE0EEENS1_30default_config_static_selectorELNS0_4arch9wavefront6targetE0EEEvT1_
		.amdhsa_group_segment_fixed_size 0
		.amdhsa_private_segment_fixed_size 0
		.amdhsa_kernarg_size 56
		.amdhsa_user_sgpr_count 15
		.amdhsa_user_sgpr_dispatch_ptr 0
		.amdhsa_user_sgpr_queue_ptr 0
		.amdhsa_user_sgpr_kernarg_segment_ptr 1
		.amdhsa_user_sgpr_dispatch_id 0
		.amdhsa_user_sgpr_private_segment_size 0
		.amdhsa_wavefront_size32 1
		.amdhsa_uses_dynamic_stack 0
		.amdhsa_enable_private_segment 0
		.amdhsa_system_sgpr_workgroup_id_x 1
		.amdhsa_system_sgpr_workgroup_id_y 0
		.amdhsa_system_sgpr_workgroup_id_z 0
		.amdhsa_system_sgpr_workgroup_info 0
		.amdhsa_system_vgpr_workitem_id 0
		.amdhsa_next_free_vgpr 1
		.amdhsa_next_free_sgpr 1
		.amdhsa_reserve_vcc 0
		.amdhsa_float_round_mode_32 0
		.amdhsa_float_round_mode_16_64 0
		.amdhsa_float_denorm_mode_32 3
		.amdhsa_float_denorm_mode_16_64 3
		.amdhsa_dx10_clamp 1
		.amdhsa_ieee_mode 1
		.amdhsa_fp16_overflow 0
		.amdhsa_workgroup_processor_mode 1
		.amdhsa_memory_ordered 1
		.amdhsa_forward_progress 0
		.amdhsa_shared_vgpr_count 0
		.amdhsa_exception_fp_ieee_invalid_op 0
		.amdhsa_exception_fp_denorm_src 0
		.amdhsa_exception_fp_ieee_div_zero 0
		.amdhsa_exception_fp_ieee_overflow 0
		.amdhsa_exception_fp_ieee_underflow 0
		.amdhsa_exception_fp_ieee_inexact 0
		.amdhsa_exception_int_div_zero 0
	.end_amdhsa_kernel
	.section	.text._ZN7rocprim17ROCPRIM_400000_NS6detail17trampoline_kernelINS0_14default_configENS1_25transform_config_selectorIdLb0EEEZNS1_14transform_implILb0ES3_S5_NS0_18transform_iteratorINS0_17counting_iteratorImlEEZNS1_24adjacent_difference_implIS3_Lb1ELb0EPKdPdN6thrust23THRUST_200600_302600_NS4plusIdEEEE10hipError_tPvRmT2_T3_mT4_P12ihipStream_tbEUlmE_dEESD_NS0_8identityIvEEEESI_SL_SM_mSN_SP_bEUlT_E_NS1_11comp_targetILNS1_3genE5ELNS1_11target_archE942ELNS1_3gpuE9ELNS1_3repE0EEENS1_30default_config_static_selectorELNS0_4arch9wavefront6targetE0EEEvT1_,"axG",@progbits,_ZN7rocprim17ROCPRIM_400000_NS6detail17trampoline_kernelINS0_14default_configENS1_25transform_config_selectorIdLb0EEEZNS1_14transform_implILb0ES3_S5_NS0_18transform_iteratorINS0_17counting_iteratorImlEEZNS1_24adjacent_difference_implIS3_Lb1ELb0EPKdPdN6thrust23THRUST_200600_302600_NS4plusIdEEEE10hipError_tPvRmT2_T3_mT4_P12ihipStream_tbEUlmE_dEESD_NS0_8identityIvEEEESI_SL_SM_mSN_SP_bEUlT_E_NS1_11comp_targetILNS1_3genE5ELNS1_11target_archE942ELNS1_3gpuE9ELNS1_3repE0EEENS1_30default_config_static_selectorELNS0_4arch9wavefront6targetE0EEEvT1_,comdat
.Lfunc_end582:
	.size	_ZN7rocprim17ROCPRIM_400000_NS6detail17trampoline_kernelINS0_14default_configENS1_25transform_config_selectorIdLb0EEEZNS1_14transform_implILb0ES3_S5_NS0_18transform_iteratorINS0_17counting_iteratorImlEEZNS1_24adjacent_difference_implIS3_Lb1ELb0EPKdPdN6thrust23THRUST_200600_302600_NS4plusIdEEEE10hipError_tPvRmT2_T3_mT4_P12ihipStream_tbEUlmE_dEESD_NS0_8identityIvEEEESI_SL_SM_mSN_SP_bEUlT_E_NS1_11comp_targetILNS1_3genE5ELNS1_11target_archE942ELNS1_3gpuE9ELNS1_3repE0EEENS1_30default_config_static_selectorELNS0_4arch9wavefront6targetE0EEEvT1_, .Lfunc_end582-_ZN7rocprim17ROCPRIM_400000_NS6detail17trampoline_kernelINS0_14default_configENS1_25transform_config_selectorIdLb0EEEZNS1_14transform_implILb0ES3_S5_NS0_18transform_iteratorINS0_17counting_iteratorImlEEZNS1_24adjacent_difference_implIS3_Lb1ELb0EPKdPdN6thrust23THRUST_200600_302600_NS4plusIdEEEE10hipError_tPvRmT2_T3_mT4_P12ihipStream_tbEUlmE_dEESD_NS0_8identityIvEEEESI_SL_SM_mSN_SP_bEUlT_E_NS1_11comp_targetILNS1_3genE5ELNS1_11target_archE942ELNS1_3gpuE9ELNS1_3repE0EEENS1_30default_config_static_selectorELNS0_4arch9wavefront6targetE0EEEvT1_
                                        ; -- End function
	.section	.AMDGPU.csdata,"",@progbits
; Kernel info:
; codeLenInByte = 0
; NumSgprs: 0
; NumVgprs: 0
; ScratchSize: 0
; MemoryBound: 0
; FloatMode: 240
; IeeeMode: 1
; LDSByteSize: 0 bytes/workgroup (compile time only)
; SGPRBlocks: 0
; VGPRBlocks: 0
; NumSGPRsForWavesPerEU: 1
; NumVGPRsForWavesPerEU: 1
; Occupancy: 16
; WaveLimiterHint : 0
; COMPUTE_PGM_RSRC2:SCRATCH_EN: 0
; COMPUTE_PGM_RSRC2:USER_SGPR: 15
; COMPUTE_PGM_RSRC2:TRAP_HANDLER: 0
; COMPUTE_PGM_RSRC2:TGID_X_EN: 1
; COMPUTE_PGM_RSRC2:TGID_Y_EN: 0
; COMPUTE_PGM_RSRC2:TGID_Z_EN: 0
; COMPUTE_PGM_RSRC2:TIDIG_COMP_CNT: 0
	.section	.text._ZN7rocprim17ROCPRIM_400000_NS6detail17trampoline_kernelINS0_14default_configENS1_25transform_config_selectorIdLb0EEEZNS1_14transform_implILb0ES3_S5_NS0_18transform_iteratorINS0_17counting_iteratorImlEEZNS1_24adjacent_difference_implIS3_Lb1ELb0EPKdPdN6thrust23THRUST_200600_302600_NS4plusIdEEEE10hipError_tPvRmT2_T3_mT4_P12ihipStream_tbEUlmE_dEESD_NS0_8identityIvEEEESI_SL_SM_mSN_SP_bEUlT_E_NS1_11comp_targetILNS1_3genE4ELNS1_11target_archE910ELNS1_3gpuE8ELNS1_3repE0EEENS1_30default_config_static_selectorELNS0_4arch9wavefront6targetE0EEEvT1_,"axG",@progbits,_ZN7rocprim17ROCPRIM_400000_NS6detail17trampoline_kernelINS0_14default_configENS1_25transform_config_selectorIdLb0EEEZNS1_14transform_implILb0ES3_S5_NS0_18transform_iteratorINS0_17counting_iteratorImlEEZNS1_24adjacent_difference_implIS3_Lb1ELb0EPKdPdN6thrust23THRUST_200600_302600_NS4plusIdEEEE10hipError_tPvRmT2_T3_mT4_P12ihipStream_tbEUlmE_dEESD_NS0_8identityIvEEEESI_SL_SM_mSN_SP_bEUlT_E_NS1_11comp_targetILNS1_3genE4ELNS1_11target_archE910ELNS1_3gpuE8ELNS1_3repE0EEENS1_30default_config_static_selectorELNS0_4arch9wavefront6targetE0EEEvT1_,comdat
	.protected	_ZN7rocprim17ROCPRIM_400000_NS6detail17trampoline_kernelINS0_14default_configENS1_25transform_config_selectorIdLb0EEEZNS1_14transform_implILb0ES3_S5_NS0_18transform_iteratorINS0_17counting_iteratorImlEEZNS1_24adjacent_difference_implIS3_Lb1ELb0EPKdPdN6thrust23THRUST_200600_302600_NS4plusIdEEEE10hipError_tPvRmT2_T3_mT4_P12ihipStream_tbEUlmE_dEESD_NS0_8identityIvEEEESI_SL_SM_mSN_SP_bEUlT_E_NS1_11comp_targetILNS1_3genE4ELNS1_11target_archE910ELNS1_3gpuE8ELNS1_3repE0EEENS1_30default_config_static_selectorELNS0_4arch9wavefront6targetE0EEEvT1_ ; -- Begin function _ZN7rocprim17ROCPRIM_400000_NS6detail17trampoline_kernelINS0_14default_configENS1_25transform_config_selectorIdLb0EEEZNS1_14transform_implILb0ES3_S5_NS0_18transform_iteratorINS0_17counting_iteratorImlEEZNS1_24adjacent_difference_implIS3_Lb1ELb0EPKdPdN6thrust23THRUST_200600_302600_NS4plusIdEEEE10hipError_tPvRmT2_T3_mT4_P12ihipStream_tbEUlmE_dEESD_NS0_8identityIvEEEESI_SL_SM_mSN_SP_bEUlT_E_NS1_11comp_targetILNS1_3genE4ELNS1_11target_archE910ELNS1_3gpuE8ELNS1_3repE0EEENS1_30default_config_static_selectorELNS0_4arch9wavefront6targetE0EEEvT1_
	.globl	_ZN7rocprim17ROCPRIM_400000_NS6detail17trampoline_kernelINS0_14default_configENS1_25transform_config_selectorIdLb0EEEZNS1_14transform_implILb0ES3_S5_NS0_18transform_iteratorINS0_17counting_iteratorImlEEZNS1_24adjacent_difference_implIS3_Lb1ELb0EPKdPdN6thrust23THRUST_200600_302600_NS4plusIdEEEE10hipError_tPvRmT2_T3_mT4_P12ihipStream_tbEUlmE_dEESD_NS0_8identityIvEEEESI_SL_SM_mSN_SP_bEUlT_E_NS1_11comp_targetILNS1_3genE4ELNS1_11target_archE910ELNS1_3gpuE8ELNS1_3repE0EEENS1_30default_config_static_selectorELNS0_4arch9wavefront6targetE0EEEvT1_
	.p2align	8
	.type	_ZN7rocprim17ROCPRIM_400000_NS6detail17trampoline_kernelINS0_14default_configENS1_25transform_config_selectorIdLb0EEEZNS1_14transform_implILb0ES3_S5_NS0_18transform_iteratorINS0_17counting_iteratorImlEEZNS1_24adjacent_difference_implIS3_Lb1ELb0EPKdPdN6thrust23THRUST_200600_302600_NS4plusIdEEEE10hipError_tPvRmT2_T3_mT4_P12ihipStream_tbEUlmE_dEESD_NS0_8identityIvEEEESI_SL_SM_mSN_SP_bEUlT_E_NS1_11comp_targetILNS1_3genE4ELNS1_11target_archE910ELNS1_3gpuE8ELNS1_3repE0EEENS1_30default_config_static_selectorELNS0_4arch9wavefront6targetE0EEEvT1_,@function
_ZN7rocprim17ROCPRIM_400000_NS6detail17trampoline_kernelINS0_14default_configENS1_25transform_config_selectorIdLb0EEEZNS1_14transform_implILb0ES3_S5_NS0_18transform_iteratorINS0_17counting_iteratorImlEEZNS1_24adjacent_difference_implIS3_Lb1ELb0EPKdPdN6thrust23THRUST_200600_302600_NS4plusIdEEEE10hipError_tPvRmT2_T3_mT4_P12ihipStream_tbEUlmE_dEESD_NS0_8identityIvEEEESI_SL_SM_mSN_SP_bEUlT_E_NS1_11comp_targetILNS1_3genE4ELNS1_11target_archE910ELNS1_3gpuE8ELNS1_3repE0EEENS1_30default_config_static_selectorELNS0_4arch9wavefront6targetE0EEEvT1_: ; @_ZN7rocprim17ROCPRIM_400000_NS6detail17trampoline_kernelINS0_14default_configENS1_25transform_config_selectorIdLb0EEEZNS1_14transform_implILb0ES3_S5_NS0_18transform_iteratorINS0_17counting_iteratorImlEEZNS1_24adjacent_difference_implIS3_Lb1ELb0EPKdPdN6thrust23THRUST_200600_302600_NS4plusIdEEEE10hipError_tPvRmT2_T3_mT4_P12ihipStream_tbEUlmE_dEESD_NS0_8identityIvEEEESI_SL_SM_mSN_SP_bEUlT_E_NS1_11comp_targetILNS1_3genE4ELNS1_11target_archE910ELNS1_3gpuE8ELNS1_3repE0EEENS1_30default_config_static_selectorELNS0_4arch9wavefront6targetE0EEEvT1_
; %bb.0:
	.section	.rodata,"a",@progbits
	.p2align	6, 0x0
	.amdhsa_kernel _ZN7rocprim17ROCPRIM_400000_NS6detail17trampoline_kernelINS0_14default_configENS1_25transform_config_selectorIdLb0EEEZNS1_14transform_implILb0ES3_S5_NS0_18transform_iteratorINS0_17counting_iteratorImlEEZNS1_24adjacent_difference_implIS3_Lb1ELb0EPKdPdN6thrust23THRUST_200600_302600_NS4plusIdEEEE10hipError_tPvRmT2_T3_mT4_P12ihipStream_tbEUlmE_dEESD_NS0_8identityIvEEEESI_SL_SM_mSN_SP_bEUlT_E_NS1_11comp_targetILNS1_3genE4ELNS1_11target_archE910ELNS1_3gpuE8ELNS1_3repE0EEENS1_30default_config_static_selectorELNS0_4arch9wavefront6targetE0EEEvT1_
		.amdhsa_group_segment_fixed_size 0
		.amdhsa_private_segment_fixed_size 0
		.amdhsa_kernarg_size 56
		.amdhsa_user_sgpr_count 15
		.amdhsa_user_sgpr_dispatch_ptr 0
		.amdhsa_user_sgpr_queue_ptr 0
		.amdhsa_user_sgpr_kernarg_segment_ptr 1
		.amdhsa_user_sgpr_dispatch_id 0
		.amdhsa_user_sgpr_private_segment_size 0
		.amdhsa_wavefront_size32 1
		.amdhsa_uses_dynamic_stack 0
		.amdhsa_enable_private_segment 0
		.amdhsa_system_sgpr_workgroup_id_x 1
		.amdhsa_system_sgpr_workgroup_id_y 0
		.amdhsa_system_sgpr_workgroup_id_z 0
		.amdhsa_system_sgpr_workgroup_info 0
		.amdhsa_system_vgpr_workitem_id 0
		.amdhsa_next_free_vgpr 1
		.amdhsa_next_free_sgpr 1
		.amdhsa_reserve_vcc 0
		.amdhsa_float_round_mode_32 0
		.amdhsa_float_round_mode_16_64 0
		.amdhsa_float_denorm_mode_32 3
		.amdhsa_float_denorm_mode_16_64 3
		.amdhsa_dx10_clamp 1
		.amdhsa_ieee_mode 1
		.amdhsa_fp16_overflow 0
		.amdhsa_workgroup_processor_mode 1
		.amdhsa_memory_ordered 1
		.amdhsa_forward_progress 0
		.amdhsa_shared_vgpr_count 0
		.amdhsa_exception_fp_ieee_invalid_op 0
		.amdhsa_exception_fp_denorm_src 0
		.amdhsa_exception_fp_ieee_div_zero 0
		.amdhsa_exception_fp_ieee_overflow 0
		.amdhsa_exception_fp_ieee_underflow 0
		.amdhsa_exception_fp_ieee_inexact 0
		.amdhsa_exception_int_div_zero 0
	.end_amdhsa_kernel
	.section	.text._ZN7rocprim17ROCPRIM_400000_NS6detail17trampoline_kernelINS0_14default_configENS1_25transform_config_selectorIdLb0EEEZNS1_14transform_implILb0ES3_S5_NS0_18transform_iteratorINS0_17counting_iteratorImlEEZNS1_24adjacent_difference_implIS3_Lb1ELb0EPKdPdN6thrust23THRUST_200600_302600_NS4plusIdEEEE10hipError_tPvRmT2_T3_mT4_P12ihipStream_tbEUlmE_dEESD_NS0_8identityIvEEEESI_SL_SM_mSN_SP_bEUlT_E_NS1_11comp_targetILNS1_3genE4ELNS1_11target_archE910ELNS1_3gpuE8ELNS1_3repE0EEENS1_30default_config_static_selectorELNS0_4arch9wavefront6targetE0EEEvT1_,"axG",@progbits,_ZN7rocprim17ROCPRIM_400000_NS6detail17trampoline_kernelINS0_14default_configENS1_25transform_config_selectorIdLb0EEEZNS1_14transform_implILb0ES3_S5_NS0_18transform_iteratorINS0_17counting_iteratorImlEEZNS1_24adjacent_difference_implIS3_Lb1ELb0EPKdPdN6thrust23THRUST_200600_302600_NS4plusIdEEEE10hipError_tPvRmT2_T3_mT4_P12ihipStream_tbEUlmE_dEESD_NS0_8identityIvEEEESI_SL_SM_mSN_SP_bEUlT_E_NS1_11comp_targetILNS1_3genE4ELNS1_11target_archE910ELNS1_3gpuE8ELNS1_3repE0EEENS1_30default_config_static_selectorELNS0_4arch9wavefront6targetE0EEEvT1_,comdat
.Lfunc_end583:
	.size	_ZN7rocprim17ROCPRIM_400000_NS6detail17trampoline_kernelINS0_14default_configENS1_25transform_config_selectorIdLb0EEEZNS1_14transform_implILb0ES3_S5_NS0_18transform_iteratorINS0_17counting_iteratorImlEEZNS1_24adjacent_difference_implIS3_Lb1ELb0EPKdPdN6thrust23THRUST_200600_302600_NS4plusIdEEEE10hipError_tPvRmT2_T3_mT4_P12ihipStream_tbEUlmE_dEESD_NS0_8identityIvEEEESI_SL_SM_mSN_SP_bEUlT_E_NS1_11comp_targetILNS1_3genE4ELNS1_11target_archE910ELNS1_3gpuE8ELNS1_3repE0EEENS1_30default_config_static_selectorELNS0_4arch9wavefront6targetE0EEEvT1_, .Lfunc_end583-_ZN7rocprim17ROCPRIM_400000_NS6detail17trampoline_kernelINS0_14default_configENS1_25transform_config_selectorIdLb0EEEZNS1_14transform_implILb0ES3_S5_NS0_18transform_iteratorINS0_17counting_iteratorImlEEZNS1_24adjacent_difference_implIS3_Lb1ELb0EPKdPdN6thrust23THRUST_200600_302600_NS4plusIdEEEE10hipError_tPvRmT2_T3_mT4_P12ihipStream_tbEUlmE_dEESD_NS0_8identityIvEEEESI_SL_SM_mSN_SP_bEUlT_E_NS1_11comp_targetILNS1_3genE4ELNS1_11target_archE910ELNS1_3gpuE8ELNS1_3repE0EEENS1_30default_config_static_selectorELNS0_4arch9wavefront6targetE0EEEvT1_
                                        ; -- End function
	.section	.AMDGPU.csdata,"",@progbits
; Kernel info:
; codeLenInByte = 0
; NumSgprs: 0
; NumVgprs: 0
; ScratchSize: 0
; MemoryBound: 0
; FloatMode: 240
; IeeeMode: 1
; LDSByteSize: 0 bytes/workgroup (compile time only)
; SGPRBlocks: 0
; VGPRBlocks: 0
; NumSGPRsForWavesPerEU: 1
; NumVGPRsForWavesPerEU: 1
; Occupancy: 16
; WaveLimiterHint : 0
; COMPUTE_PGM_RSRC2:SCRATCH_EN: 0
; COMPUTE_PGM_RSRC2:USER_SGPR: 15
; COMPUTE_PGM_RSRC2:TRAP_HANDLER: 0
; COMPUTE_PGM_RSRC2:TGID_X_EN: 1
; COMPUTE_PGM_RSRC2:TGID_Y_EN: 0
; COMPUTE_PGM_RSRC2:TGID_Z_EN: 0
; COMPUTE_PGM_RSRC2:TIDIG_COMP_CNT: 0
	.section	.text._ZN7rocprim17ROCPRIM_400000_NS6detail17trampoline_kernelINS0_14default_configENS1_25transform_config_selectorIdLb0EEEZNS1_14transform_implILb0ES3_S5_NS0_18transform_iteratorINS0_17counting_iteratorImlEEZNS1_24adjacent_difference_implIS3_Lb1ELb0EPKdPdN6thrust23THRUST_200600_302600_NS4plusIdEEEE10hipError_tPvRmT2_T3_mT4_P12ihipStream_tbEUlmE_dEESD_NS0_8identityIvEEEESI_SL_SM_mSN_SP_bEUlT_E_NS1_11comp_targetILNS1_3genE3ELNS1_11target_archE908ELNS1_3gpuE7ELNS1_3repE0EEENS1_30default_config_static_selectorELNS0_4arch9wavefront6targetE0EEEvT1_,"axG",@progbits,_ZN7rocprim17ROCPRIM_400000_NS6detail17trampoline_kernelINS0_14default_configENS1_25transform_config_selectorIdLb0EEEZNS1_14transform_implILb0ES3_S5_NS0_18transform_iteratorINS0_17counting_iteratorImlEEZNS1_24adjacent_difference_implIS3_Lb1ELb0EPKdPdN6thrust23THRUST_200600_302600_NS4plusIdEEEE10hipError_tPvRmT2_T3_mT4_P12ihipStream_tbEUlmE_dEESD_NS0_8identityIvEEEESI_SL_SM_mSN_SP_bEUlT_E_NS1_11comp_targetILNS1_3genE3ELNS1_11target_archE908ELNS1_3gpuE7ELNS1_3repE0EEENS1_30default_config_static_selectorELNS0_4arch9wavefront6targetE0EEEvT1_,comdat
	.protected	_ZN7rocprim17ROCPRIM_400000_NS6detail17trampoline_kernelINS0_14default_configENS1_25transform_config_selectorIdLb0EEEZNS1_14transform_implILb0ES3_S5_NS0_18transform_iteratorINS0_17counting_iteratorImlEEZNS1_24adjacent_difference_implIS3_Lb1ELb0EPKdPdN6thrust23THRUST_200600_302600_NS4plusIdEEEE10hipError_tPvRmT2_T3_mT4_P12ihipStream_tbEUlmE_dEESD_NS0_8identityIvEEEESI_SL_SM_mSN_SP_bEUlT_E_NS1_11comp_targetILNS1_3genE3ELNS1_11target_archE908ELNS1_3gpuE7ELNS1_3repE0EEENS1_30default_config_static_selectorELNS0_4arch9wavefront6targetE0EEEvT1_ ; -- Begin function _ZN7rocprim17ROCPRIM_400000_NS6detail17trampoline_kernelINS0_14default_configENS1_25transform_config_selectorIdLb0EEEZNS1_14transform_implILb0ES3_S5_NS0_18transform_iteratorINS0_17counting_iteratorImlEEZNS1_24adjacent_difference_implIS3_Lb1ELb0EPKdPdN6thrust23THRUST_200600_302600_NS4plusIdEEEE10hipError_tPvRmT2_T3_mT4_P12ihipStream_tbEUlmE_dEESD_NS0_8identityIvEEEESI_SL_SM_mSN_SP_bEUlT_E_NS1_11comp_targetILNS1_3genE3ELNS1_11target_archE908ELNS1_3gpuE7ELNS1_3repE0EEENS1_30default_config_static_selectorELNS0_4arch9wavefront6targetE0EEEvT1_
	.globl	_ZN7rocprim17ROCPRIM_400000_NS6detail17trampoline_kernelINS0_14default_configENS1_25transform_config_selectorIdLb0EEEZNS1_14transform_implILb0ES3_S5_NS0_18transform_iteratorINS0_17counting_iteratorImlEEZNS1_24adjacent_difference_implIS3_Lb1ELb0EPKdPdN6thrust23THRUST_200600_302600_NS4plusIdEEEE10hipError_tPvRmT2_T3_mT4_P12ihipStream_tbEUlmE_dEESD_NS0_8identityIvEEEESI_SL_SM_mSN_SP_bEUlT_E_NS1_11comp_targetILNS1_3genE3ELNS1_11target_archE908ELNS1_3gpuE7ELNS1_3repE0EEENS1_30default_config_static_selectorELNS0_4arch9wavefront6targetE0EEEvT1_
	.p2align	8
	.type	_ZN7rocprim17ROCPRIM_400000_NS6detail17trampoline_kernelINS0_14default_configENS1_25transform_config_selectorIdLb0EEEZNS1_14transform_implILb0ES3_S5_NS0_18transform_iteratorINS0_17counting_iteratorImlEEZNS1_24adjacent_difference_implIS3_Lb1ELb0EPKdPdN6thrust23THRUST_200600_302600_NS4plusIdEEEE10hipError_tPvRmT2_T3_mT4_P12ihipStream_tbEUlmE_dEESD_NS0_8identityIvEEEESI_SL_SM_mSN_SP_bEUlT_E_NS1_11comp_targetILNS1_3genE3ELNS1_11target_archE908ELNS1_3gpuE7ELNS1_3repE0EEENS1_30default_config_static_selectorELNS0_4arch9wavefront6targetE0EEEvT1_,@function
_ZN7rocprim17ROCPRIM_400000_NS6detail17trampoline_kernelINS0_14default_configENS1_25transform_config_selectorIdLb0EEEZNS1_14transform_implILb0ES3_S5_NS0_18transform_iteratorINS0_17counting_iteratorImlEEZNS1_24adjacent_difference_implIS3_Lb1ELb0EPKdPdN6thrust23THRUST_200600_302600_NS4plusIdEEEE10hipError_tPvRmT2_T3_mT4_P12ihipStream_tbEUlmE_dEESD_NS0_8identityIvEEEESI_SL_SM_mSN_SP_bEUlT_E_NS1_11comp_targetILNS1_3genE3ELNS1_11target_archE908ELNS1_3gpuE7ELNS1_3repE0EEENS1_30default_config_static_selectorELNS0_4arch9wavefront6targetE0EEEvT1_: ; @_ZN7rocprim17ROCPRIM_400000_NS6detail17trampoline_kernelINS0_14default_configENS1_25transform_config_selectorIdLb0EEEZNS1_14transform_implILb0ES3_S5_NS0_18transform_iteratorINS0_17counting_iteratorImlEEZNS1_24adjacent_difference_implIS3_Lb1ELb0EPKdPdN6thrust23THRUST_200600_302600_NS4plusIdEEEE10hipError_tPvRmT2_T3_mT4_P12ihipStream_tbEUlmE_dEESD_NS0_8identityIvEEEESI_SL_SM_mSN_SP_bEUlT_E_NS1_11comp_targetILNS1_3genE3ELNS1_11target_archE908ELNS1_3gpuE7ELNS1_3repE0EEENS1_30default_config_static_selectorELNS0_4arch9wavefront6targetE0EEEvT1_
; %bb.0:
	.section	.rodata,"a",@progbits
	.p2align	6, 0x0
	.amdhsa_kernel _ZN7rocprim17ROCPRIM_400000_NS6detail17trampoline_kernelINS0_14default_configENS1_25transform_config_selectorIdLb0EEEZNS1_14transform_implILb0ES3_S5_NS0_18transform_iteratorINS0_17counting_iteratorImlEEZNS1_24adjacent_difference_implIS3_Lb1ELb0EPKdPdN6thrust23THRUST_200600_302600_NS4plusIdEEEE10hipError_tPvRmT2_T3_mT4_P12ihipStream_tbEUlmE_dEESD_NS0_8identityIvEEEESI_SL_SM_mSN_SP_bEUlT_E_NS1_11comp_targetILNS1_3genE3ELNS1_11target_archE908ELNS1_3gpuE7ELNS1_3repE0EEENS1_30default_config_static_selectorELNS0_4arch9wavefront6targetE0EEEvT1_
		.amdhsa_group_segment_fixed_size 0
		.amdhsa_private_segment_fixed_size 0
		.amdhsa_kernarg_size 56
		.amdhsa_user_sgpr_count 15
		.amdhsa_user_sgpr_dispatch_ptr 0
		.amdhsa_user_sgpr_queue_ptr 0
		.amdhsa_user_sgpr_kernarg_segment_ptr 1
		.amdhsa_user_sgpr_dispatch_id 0
		.amdhsa_user_sgpr_private_segment_size 0
		.amdhsa_wavefront_size32 1
		.amdhsa_uses_dynamic_stack 0
		.amdhsa_enable_private_segment 0
		.amdhsa_system_sgpr_workgroup_id_x 1
		.amdhsa_system_sgpr_workgroup_id_y 0
		.amdhsa_system_sgpr_workgroup_id_z 0
		.amdhsa_system_sgpr_workgroup_info 0
		.amdhsa_system_vgpr_workitem_id 0
		.amdhsa_next_free_vgpr 1
		.amdhsa_next_free_sgpr 1
		.amdhsa_reserve_vcc 0
		.amdhsa_float_round_mode_32 0
		.amdhsa_float_round_mode_16_64 0
		.amdhsa_float_denorm_mode_32 3
		.amdhsa_float_denorm_mode_16_64 3
		.amdhsa_dx10_clamp 1
		.amdhsa_ieee_mode 1
		.amdhsa_fp16_overflow 0
		.amdhsa_workgroup_processor_mode 1
		.amdhsa_memory_ordered 1
		.amdhsa_forward_progress 0
		.amdhsa_shared_vgpr_count 0
		.amdhsa_exception_fp_ieee_invalid_op 0
		.amdhsa_exception_fp_denorm_src 0
		.amdhsa_exception_fp_ieee_div_zero 0
		.amdhsa_exception_fp_ieee_overflow 0
		.amdhsa_exception_fp_ieee_underflow 0
		.amdhsa_exception_fp_ieee_inexact 0
		.amdhsa_exception_int_div_zero 0
	.end_amdhsa_kernel
	.section	.text._ZN7rocprim17ROCPRIM_400000_NS6detail17trampoline_kernelINS0_14default_configENS1_25transform_config_selectorIdLb0EEEZNS1_14transform_implILb0ES3_S5_NS0_18transform_iteratorINS0_17counting_iteratorImlEEZNS1_24adjacent_difference_implIS3_Lb1ELb0EPKdPdN6thrust23THRUST_200600_302600_NS4plusIdEEEE10hipError_tPvRmT2_T3_mT4_P12ihipStream_tbEUlmE_dEESD_NS0_8identityIvEEEESI_SL_SM_mSN_SP_bEUlT_E_NS1_11comp_targetILNS1_3genE3ELNS1_11target_archE908ELNS1_3gpuE7ELNS1_3repE0EEENS1_30default_config_static_selectorELNS0_4arch9wavefront6targetE0EEEvT1_,"axG",@progbits,_ZN7rocprim17ROCPRIM_400000_NS6detail17trampoline_kernelINS0_14default_configENS1_25transform_config_selectorIdLb0EEEZNS1_14transform_implILb0ES3_S5_NS0_18transform_iteratorINS0_17counting_iteratorImlEEZNS1_24adjacent_difference_implIS3_Lb1ELb0EPKdPdN6thrust23THRUST_200600_302600_NS4plusIdEEEE10hipError_tPvRmT2_T3_mT4_P12ihipStream_tbEUlmE_dEESD_NS0_8identityIvEEEESI_SL_SM_mSN_SP_bEUlT_E_NS1_11comp_targetILNS1_3genE3ELNS1_11target_archE908ELNS1_3gpuE7ELNS1_3repE0EEENS1_30default_config_static_selectorELNS0_4arch9wavefront6targetE0EEEvT1_,comdat
.Lfunc_end584:
	.size	_ZN7rocprim17ROCPRIM_400000_NS6detail17trampoline_kernelINS0_14default_configENS1_25transform_config_selectorIdLb0EEEZNS1_14transform_implILb0ES3_S5_NS0_18transform_iteratorINS0_17counting_iteratorImlEEZNS1_24adjacent_difference_implIS3_Lb1ELb0EPKdPdN6thrust23THRUST_200600_302600_NS4plusIdEEEE10hipError_tPvRmT2_T3_mT4_P12ihipStream_tbEUlmE_dEESD_NS0_8identityIvEEEESI_SL_SM_mSN_SP_bEUlT_E_NS1_11comp_targetILNS1_3genE3ELNS1_11target_archE908ELNS1_3gpuE7ELNS1_3repE0EEENS1_30default_config_static_selectorELNS0_4arch9wavefront6targetE0EEEvT1_, .Lfunc_end584-_ZN7rocprim17ROCPRIM_400000_NS6detail17trampoline_kernelINS0_14default_configENS1_25transform_config_selectorIdLb0EEEZNS1_14transform_implILb0ES3_S5_NS0_18transform_iteratorINS0_17counting_iteratorImlEEZNS1_24adjacent_difference_implIS3_Lb1ELb0EPKdPdN6thrust23THRUST_200600_302600_NS4plusIdEEEE10hipError_tPvRmT2_T3_mT4_P12ihipStream_tbEUlmE_dEESD_NS0_8identityIvEEEESI_SL_SM_mSN_SP_bEUlT_E_NS1_11comp_targetILNS1_3genE3ELNS1_11target_archE908ELNS1_3gpuE7ELNS1_3repE0EEENS1_30default_config_static_selectorELNS0_4arch9wavefront6targetE0EEEvT1_
                                        ; -- End function
	.section	.AMDGPU.csdata,"",@progbits
; Kernel info:
; codeLenInByte = 0
; NumSgprs: 0
; NumVgprs: 0
; ScratchSize: 0
; MemoryBound: 0
; FloatMode: 240
; IeeeMode: 1
; LDSByteSize: 0 bytes/workgroup (compile time only)
; SGPRBlocks: 0
; VGPRBlocks: 0
; NumSGPRsForWavesPerEU: 1
; NumVGPRsForWavesPerEU: 1
; Occupancy: 16
; WaveLimiterHint : 0
; COMPUTE_PGM_RSRC2:SCRATCH_EN: 0
; COMPUTE_PGM_RSRC2:USER_SGPR: 15
; COMPUTE_PGM_RSRC2:TRAP_HANDLER: 0
; COMPUTE_PGM_RSRC2:TGID_X_EN: 1
; COMPUTE_PGM_RSRC2:TGID_Y_EN: 0
; COMPUTE_PGM_RSRC2:TGID_Z_EN: 0
; COMPUTE_PGM_RSRC2:TIDIG_COMP_CNT: 0
	.section	.text._ZN7rocprim17ROCPRIM_400000_NS6detail17trampoline_kernelINS0_14default_configENS1_25transform_config_selectorIdLb0EEEZNS1_14transform_implILb0ES3_S5_NS0_18transform_iteratorINS0_17counting_iteratorImlEEZNS1_24adjacent_difference_implIS3_Lb1ELb0EPKdPdN6thrust23THRUST_200600_302600_NS4plusIdEEEE10hipError_tPvRmT2_T3_mT4_P12ihipStream_tbEUlmE_dEESD_NS0_8identityIvEEEESI_SL_SM_mSN_SP_bEUlT_E_NS1_11comp_targetILNS1_3genE2ELNS1_11target_archE906ELNS1_3gpuE6ELNS1_3repE0EEENS1_30default_config_static_selectorELNS0_4arch9wavefront6targetE0EEEvT1_,"axG",@progbits,_ZN7rocprim17ROCPRIM_400000_NS6detail17trampoline_kernelINS0_14default_configENS1_25transform_config_selectorIdLb0EEEZNS1_14transform_implILb0ES3_S5_NS0_18transform_iteratorINS0_17counting_iteratorImlEEZNS1_24adjacent_difference_implIS3_Lb1ELb0EPKdPdN6thrust23THRUST_200600_302600_NS4plusIdEEEE10hipError_tPvRmT2_T3_mT4_P12ihipStream_tbEUlmE_dEESD_NS0_8identityIvEEEESI_SL_SM_mSN_SP_bEUlT_E_NS1_11comp_targetILNS1_3genE2ELNS1_11target_archE906ELNS1_3gpuE6ELNS1_3repE0EEENS1_30default_config_static_selectorELNS0_4arch9wavefront6targetE0EEEvT1_,comdat
	.protected	_ZN7rocprim17ROCPRIM_400000_NS6detail17trampoline_kernelINS0_14default_configENS1_25transform_config_selectorIdLb0EEEZNS1_14transform_implILb0ES3_S5_NS0_18transform_iteratorINS0_17counting_iteratorImlEEZNS1_24adjacent_difference_implIS3_Lb1ELb0EPKdPdN6thrust23THRUST_200600_302600_NS4plusIdEEEE10hipError_tPvRmT2_T3_mT4_P12ihipStream_tbEUlmE_dEESD_NS0_8identityIvEEEESI_SL_SM_mSN_SP_bEUlT_E_NS1_11comp_targetILNS1_3genE2ELNS1_11target_archE906ELNS1_3gpuE6ELNS1_3repE0EEENS1_30default_config_static_selectorELNS0_4arch9wavefront6targetE0EEEvT1_ ; -- Begin function _ZN7rocprim17ROCPRIM_400000_NS6detail17trampoline_kernelINS0_14default_configENS1_25transform_config_selectorIdLb0EEEZNS1_14transform_implILb0ES3_S5_NS0_18transform_iteratorINS0_17counting_iteratorImlEEZNS1_24adjacent_difference_implIS3_Lb1ELb0EPKdPdN6thrust23THRUST_200600_302600_NS4plusIdEEEE10hipError_tPvRmT2_T3_mT4_P12ihipStream_tbEUlmE_dEESD_NS0_8identityIvEEEESI_SL_SM_mSN_SP_bEUlT_E_NS1_11comp_targetILNS1_3genE2ELNS1_11target_archE906ELNS1_3gpuE6ELNS1_3repE0EEENS1_30default_config_static_selectorELNS0_4arch9wavefront6targetE0EEEvT1_
	.globl	_ZN7rocprim17ROCPRIM_400000_NS6detail17trampoline_kernelINS0_14default_configENS1_25transform_config_selectorIdLb0EEEZNS1_14transform_implILb0ES3_S5_NS0_18transform_iteratorINS0_17counting_iteratorImlEEZNS1_24adjacent_difference_implIS3_Lb1ELb0EPKdPdN6thrust23THRUST_200600_302600_NS4plusIdEEEE10hipError_tPvRmT2_T3_mT4_P12ihipStream_tbEUlmE_dEESD_NS0_8identityIvEEEESI_SL_SM_mSN_SP_bEUlT_E_NS1_11comp_targetILNS1_3genE2ELNS1_11target_archE906ELNS1_3gpuE6ELNS1_3repE0EEENS1_30default_config_static_selectorELNS0_4arch9wavefront6targetE0EEEvT1_
	.p2align	8
	.type	_ZN7rocprim17ROCPRIM_400000_NS6detail17trampoline_kernelINS0_14default_configENS1_25transform_config_selectorIdLb0EEEZNS1_14transform_implILb0ES3_S5_NS0_18transform_iteratorINS0_17counting_iteratorImlEEZNS1_24adjacent_difference_implIS3_Lb1ELb0EPKdPdN6thrust23THRUST_200600_302600_NS4plusIdEEEE10hipError_tPvRmT2_T3_mT4_P12ihipStream_tbEUlmE_dEESD_NS0_8identityIvEEEESI_SL_SM_mSN_SP_bEUlT_E_NS1_11comp_targetILNS1_3genE2ELNS1_11target_archE906ELNS1_3gpuE6ELNS1_3repE0EEENS1_30default_config_static_selectorELNS0_4arch9wavefront6targetE0EEEvT1_,@function
_ZN7rocprim17ROCPRIM_400000_NS6detail17trampoline_kernelINS0_14default_configENS1_25transform_config_selectorIdLb0EEEZNS1_14transform_implILb0ES3_S5_NS0_18transform_iteratorINS0_17counting_iteratorImlEEZNS1_24adjacent_difference_implIS3_Lb1ELb0EPKdPdN6thrust23THRUST_200600_302600_NS4plusIdEEEE10hipError_tPvRmT2_T3_mT4_P12ihipStream_tbEUlmE_dEESD_NS0_8identityIvEEEESI_SL_SM_mSN_SP_bEUlT_E_NS1_11comp_targetILNS1_3genE2ELNS1_11target_archE906ELNS1_3gpuE6ELNS1_3repE0EEENS1_30default_config_static_selectorELNS0_4arch9wavefront6targetE0EEEvT1_: ; @_ZN7rocprim17ROCPRIM_400000_NS6detail17trampoline_kernelINS0_14default_configENS1_25transform_config_selectorIdLb0EEEZNS1_14transform_implILb0ES3_S5_NS0_18transform_iteratorINS0_17counting_iteratorImlEEZNS1_24adjacent_difference_implIS3_Lb1ELb0EPKdPdN6thrust23THRUST_200600_302600_NS4plusIdEEEE10hipError_tPvRmT2_T3_mT4_P12ihipStream_tbEUlmE_dEESD_NS0_8identityIvEEEESI_SL_SM_mSN_SP_bEUlT_E_NS1_11comp_targetILNS1_3genE2ELNS1_11target_archE906ELNS1_3gpuE6ELNS1_3repE0EEENS1_30default_config_static_selectorELNS0_4arch9wavefront6targetE0EEEvT1_
; %bb.0:
	.section	.rodata,"a",@progbits
	.p2align	6, 0x0
	.amdhsa_kernel _ZN7rocprim17ROCPRIM_400000_NS6detail17trampoline_kernelINS0_14default_configENS1_25transform_config_selectorIdLb0EEEZNS1_14transform_implILb0ES3_S5_NS0_18transform_iteratorINS0_17counting_iteratorImlEEZNS1_24adjacent_difference_implIS3_Lb1ELb0EPKdPdN6thrust23THRUST_200600_302600_NS4plusIdEEEE10hipError_tPvRmT2_T3_mT4_P12ihipStream_tbEUlmE_dEESD_NS0_8identityIvEEEESI_SL_SM_mSN_SP_bEUlT_E_NS1_11comp_targetILNS1_3genE2ELNS1_11target_archE906ELNS1_3gpuE6ELNS1_3repE0EEENS1_30default_config_static_selectorELNS0_4arch9wavefront6targetE0EEEvT1_
		.amdhsa_group_segment_fixed_size 0
		.amdhsa_private_segment_fixed_size 0
		.amdhsa_kernarg_size 56
		.amdhsa_user_sgpr_count 15
		.amdhsa_user_sgpr_dispatch_ptr 0
		.amdhsa_user_sgpr_queue_ptr 0
		.amdhsa_user_sgpr_kernarg_segment_ptr 1
		.amdhsa_user_sgpr_dispatch_id 0
		.amdhsa_user_sgpr_private_segment_size 0
		.amdhsa_wavefront_size32 1
		.amdhsa_uses_dynamic_stack 0
		.amdhsa_enable_private_segment 0
		.amdhsa_system_sgpr_workgroup_id_x 1
		.amdhsa_system_sgpr_workgroup_id_y 0
		.amdhsa_system_sgpr_workgroup_id_z 0
		.amdhsa_system_sgpr_workgroup_info 0
		.amdhsa_system_vgpr_workitem_id 0
		.amdhsa_next_free_vgpr 1
		.amdhsa_next_free_sgpr 1
		.amdhsa_reserve_vcc 0
		.amdhsa_float_round_mode_32 0
		.amdhsa_float_round_mode_16_64 0
		.amdhsa_float_denorm_mode_32 3
		.amdhsa_float_denorm_mode_16_64 3
		.amdhsa_dx10_clamp 1
		.amdhsa_ieee_mode 1
		.amdhsa_fp16_overflow 0
		.amdhsa_workgroup_processor_mode 1
		.amdhsa_memory_ordered 1
		.amdhsa_forward_progress 0
		.amdhsa_shared_vgpr_count 0
		.amdhsa_exception_fp_ieee_invalid_op 0
		.amdhsa_exception_fp_denorm_src 0
		.amdhsa_exception_fp_ieee_div_zero 0
		.amdhsa_exception_fp_ieee_overflow 0
		.amdhsa_exception_fp_ieee_underflow 0
		.amdhsa_exception_fp_ieee_inexact 0
		.amdhsa_exception_int_div_zero 0
	.end_amdhsa_kernel
	.section	.text._ZN7rocprim17ROCPRIM_400000_NS6detail17trampoline_kernelINS0_14default_configENS1_25transform_config_selectorIdLb0EEEZNS1_14transform_implILb0ES3_S5_NS0_18transform_iteratorINS0_17counting_iteratorImlEEZNS1_24adjacent_difference_implIS3_Lb1ELb0EPKdPdN6thrust23THRUST_200600_302600_NS4plusIdEEEE10hipError_tPvRmT2_T3_mT4_P12ihipStream_tbEUlmE_dEESD_NS0_8identityIvEEEESI_SL_SM_mSN_SP_bEUlT_E_NS1_11comp_targetILNS1_3genE2ELNS1_11target_archE906ELNS1_3gpuE6ELNS1_3repE0EEENS1_30default_config_static_selectorELNS0_4arch9wavefront6targetE0EEEvT1_,"axG",@progbits,_ZN7rocprim17ROCPRIM_400000_NS6detail17trampoline_kernelINS0_14default_configENS1_25transform_config_selectorIdLb0EEEZNS1_14transform_implILb0ES3_S5_NS0_18transform_iteratorINS0_17counting_iteratorImlEEZNS1_24adjacent_difference_implIS3_Lb1ELb0EPKdPdN6thrust23THRUST_200600_302600_NS4plusIdEEEE10hipError_tPvRmT2_T3_mT4_P12ihipStream_tbEUlmE_dEESD_NS0_8identityIvEEEESI_SL_SM_mSN_SP_bEUlT_E_NS1_11comp_targetILNS1_3genE2ELNS1_11target_archE906ELNS1_3gpuE6ELNS1_3repE0EEENS1_30default_config_static_selectorELNS0_4arch9wavefront6targetE0EEEvT1_,comdat
.Lfunc_end585:
	.size	_ZN7rocprim17ROCPRIM_400000_NS6detail17trampoline_kernelINS0_14default_configENS1_25transform_config_selectorIdLb0EEEZNS1_14transform_implILb0ES3_S5_NS0_18transform_iteratorINS0_17counting_iteratorImlEEZNS1_24adjacent_difference_implIS3_Lb1ELb0EPKdPdN6thrust23THRUST_200600_302600_NS4plusIdEEEE10hipError_tPvRmT2_T3_mT4_P12ihipStream_tbEUlmE_dEESD_NS0_8identityIvEEEESI_SL_SM_mSN_SP_bEUlT_E_NS1_11comp_targetILNS1_3genE2ELNS1_11target_archE906ELNS1_3gpuE6ELNS1_3repE0EEENS1_30default_config_static_selectorELNS0_4arch9wavefront6targetE0EEEvT1_, .Lfunc_end585-_ZN7rocprim17ROCPRIM_400000_NS6detail17trampoline_kernelINS0_14default_configENS1_25transform_config_selectorIdLb0EEEZNS1_14transform_implILb0ES3_S5_NS0_18transform_iteratorINS0_17counting_iteratorImlEEZNS1_24adjacent_difference_implIS3_Lb1ELb0EPKdPdN6thrust23THRUST_200600_302600_NS4plusIdEEEE10hipError_tPvRmT2_T3_mT4_P12ihipStream_tbEUlmE_dEESD_NS0_8identityIvEEEESI_SL_SM_mSN_SP_bEUlT_E_NS1_11comp_targetILNS1_3genE2ELNS1_11target_archE906ELNS1_3gpuE6ELNS1_3repE0EEENS1_30default_config_static_selectorELNS0_4arch9wavefront6targetE0EEEvT1_
                                        ; -- End function
	.section	.AMDGPU.csdata,"",@progbits
; Kernel info:
; codeLenInByte = 0
; NumSgprs: 0
; NumVgprs: 0
; ScratchSize: 0
; MemoryBound: 0
; FloatMode: 240
; IeeeMode: 1
; LDSByteSize: 0 bytes/workgroup (compile time only)
; SGPRBlocks: 0
; VGPRBlocks: 0
; NumSGPRsForWavesPerEU: 1
; NumVGPRsForWavesPerEU: 1
; Occupancy: 16
; WaveLimiterHint : 0
; COMPUTE_PGM_RSRC2:SCRATCH_EN: 0
; COMPUTE_PGM_RSRC2:USER_SGPR: 15
; COMPUTE_PGM_RSRC2:TRAP_HANDLER: 0
; COMPUTE_PGM_RSRC2:TGID_X_EN: 1
; COMPUTE_PGM_RSRC2:TGID_Y_EN: 0
; COMPUTE_PGM_RSRC2:TGID_Z_EN: 0
; COMPUTE_PGM_RSRC2:TIDIG_COMP_CNT: 0
	.section	.text._ZN7rocprim17ROCPRIM_400000_NS6detail17trampoline_kernelINS0_14default_configENS1_25transform_config_selectorIdLb0EEEZNS1_14transform_implILb0ES3_S5_NS0_18transform_iteratorINS0_17counting_iteratorImlEEZNS1_24adjacent_difference_implIS3_Lb1ELb0EPKdPdN6thrust23THRUST_200600_302600_NS4plusIdEEEE10hipError_tPvRmT2_T3_mT4_P12ihipStream_tbEUlmE_dEESD_NS0_8identityIvEEEESI_SL_SM_mSN_SP_bEUlT_E_NS1_11comp_targetILNS1_3genE10ELNS1_11target_archE1201ELNS1_3gpuE5ELNS1_3repE0EEENS1_30default_config_static_selectorELNS0_4arch9wavefront6targetE0EEEvT1_,"axG",@progbits,_ZN7rocprim17ROCPRIM_400000_NS6detail17trampoline_kernelINS0_14default_configENS1_25transform_config_selectorIdLb0EEEZNS1_14transform_implILb0ES3_S5_NS0_18transform_iteratorINS0_17counting_iteratorImlEEZNS1_24adjacent_difference_implIS3_Lb1ELb0EPKdPdN6thrust23THRUST_200600_302600_NS4plusIdEEEE10hipError_tPvRmT2_T3_mT4_P12ihipStream_tbEUlmE_dEESD_NS0_8identityIvEEEESI_SL_SM_mSN_SP_bEUlT_E_NS1_11comp_targetILNS1_3genE10ELNS1_11target_archE1201ELNS1_3gpuE5ELNS1_3repE0EEENS1_30default_config_static_selectorELNS0_4arch9wavefront6targetE0EEEvT1_,comdat
	.protected	_ZN7rocprim17ROCPRIM_400000_NS6detail17trampoline_kernelINS0_14default_configENS1_25transform_config_selectorIdLb0EEEZNS1_14transform_implILb0ES3_S5_NS0_18transform_iteratorINS0_17counting_iteratorImlEEZNS1_24adjacent_difference_implIS3_Lb1ELb0EPKdPdN6thrust23THRUST_200600_302600_NS4plusIdEEEE10hipError_tPvRmT2_T3_mT4_P12ihipStream_tbEUlmE_dEESD_NS0_8identityIvEEEESI_SL_SM_mSN_SP_bEUlT_E_NS1_11comp_targetILNS1_3genE10ELNS1_11target_archE1201ELNS1_3gpuE5ELNS1_3repE0EEENS1_30default_config_static_selectorELNS0_4arch9wavefront6targetE0EEEvT1_ ; -- Begin function _ZN7rocprim17ROCPRIM_400000_NS6detail17trampoline_kernelINS0_14default_configENS1_25transform_config_selectorIdLb0EEEZNS1_14transform_implILb0ES3_S5_NS0_18transform_iteratorINS0_17counting_iteratorImlEEZNS1_24adjacent_difference_implIS3_Lb1ELb0EPKdPdN6thrust23THRUST_200600_302600_NS4plusIdEEEE10hipError_tPvRmT2_T3_mT4_P12ihipStream_tbEUlmE_dEESD_NS0_8identityIvEEEESI_SL_SM_mSN_SP_bEUlT_E_NS1_11comp_targetILNS1_3genE10ELNS1_11target_archE1201ELNS1_3gpuE5ELNS1_3repE0EEENS1_30default_config_static_selectorELNS0_4arch9wavefront6targetE0EEEvT1_
	.globl	_ZN7rocprim17ROCPRIM_400000_NS6detail17trampoline_kernelINS0_14default_configENS1_25transform_config_selectorIdLb0EEEZNS1_14transform_implILb0ES3_S5_NS0_18transform_iteratorINS0_17counting_iteratorImlEEZNS1_24adjacent_difference_implIS3_Lb1ELb0EPKdPdN6thrust23THRUST_200600_302600_NS4plusIdEEEE10hipError_tPvRmT2_T3_mT4_P12ihipStream_tbEUlmE_dEESD_NS0_8identityIvEEEESI_SL_SM_mSN_SP_bEUlT_E_NS1_11comp_targetILNS1_3genE10ELNS1_11target_archE1201ELNS1_3gpuE5ELNS1_3repE0EEENS1_30default_config_static_selectorELNS0_4arch9wavefront6targetE0EEEvT1_
	.p2align	8
	.type	_ZN7rocprim17ROCPRIM_400000_NS6detail17trampoline_kernelINS0_14default_configENS1_25transform_config_selectorIdLb0EEEZNS1_14transform_implILb0ES3_S5_NS0_18transform_iteratorINS0_17counting_iteratorImlEEZNS1_24adjacent_difference_implIS3_Lb1ELb0EPKdPdN6thrust23THRUST_200600_302600_NS4plusIdEEEE10hipError_tPvRmT2_T3_mT4_P12ihipStream_tbEUlmE_dEESD_NS0_8identityIvEEEESI_SL_SM_mSN_SP_bEUlT_E_NS1_11comp_targetILNS1_3genE10ELNS1_11target_archE1201ELNS1_3gpuE5ELNS1_3repE0EEENS1_30default_config_static_selectorELNS0_4arch9wavefront6targetE0EEEvT1_,@function
_ZN7rocprim17ROCPRIM_400000_NS6detail17trampoline_kernelINS0_14default_configENS1_25transform_config_selectorIdLb0EEEZNS1_14transform_implILb0ES3_S5_NS0_18transform_iteratorINS0_17counting_iteratorImlEEZNS1_24adjacent_difference_implIS3_Lb1ELb0EPKdPdN6thrust23THRUST_200600_302600_NS4plusIdEEEE10hipError_tPvRmT2_T3_mT4_P12ihipStream_tbEUlmE_dEESD_NS0_8identityIvEEEESI_SL_SM_mSN_SP_bEUlT_E_NS1_11comp_targetILNS1_3genE10ELNS1_11target_archE1201ELNS1_3gpuE5ELNS1_3repE0EEENS1_30default_config_static_selectorELNS0_4arch9wavefront6targetE0EEEvT1_: ; @_ZN7rocprim17ROCPRIM_400000_NS6detail17trampoline_kernelINS0_14default_configENS1_25transform_config_selectorIdLb0EEEZNS1_14transform_implILb0ES3_S5_NS0_18transform_iteratorINS0_17counting_iteratorImlEEZNS1_24adjacent_difference_implIS3_Lb1ELb0EPKdPdN6thrust23THRUST_200600_302600_NS4plusIdEEEE10hipError_tPvRmT2_T3_mT4_P12ihipStream_tbEUlmE_dEESD_NS0_8identityIvEEEESI_SL_SM_mSN_SP_bEUlT_E_NS1_11comp_targetILNS1_3genE10ELNS1_11target_archE1201ELNS1_3gpuE5ELNS1_3repE0EEENS1_30default_config_static_selectorELNS0_4arch9wavefront6targetE0EEEvT1_
; %bb.0:
	.section	.rodata,"a",@progbits
	.p2align	6, 0x0
	.amdhsa_kernel _ZN7rocprim17ROCPRIM_400000_NS6detail17trampoline_kernelINS0_14default_configENS1_25transform_config_selectorIdLb0EEEZNS1_14transform_implILb0ES3_S5_NS0_18transform_iteratorINS0_17counting_iteratorImlEEZNS1_24adjacent_difference_implIS3_Lb1ELb0EPKdPdN6thrust23THRUST_200600_302600_NS4plusIdEEEE10hipError_tPvRmT2_T3_mT4_P12ihipStream_tbEUlmE_dEESD_NS0_8identityIvEEEESI_SL_SM_mSN_SP_bEUlT_E_NS1_11comp_targetILNS1_3genE10ELNS1_11target_archE1201ELNS1_3gpuE5ELNS1_3repE0EEENS1_30default_config_static_selectorELNS0_4arch9wavefront6targetE0EEEvT1_
		.amdhsa_group_segment_fixed_size 0
		.amdhsa_private_segment_fixed_size 0
		.amdhsa_kernarg_size 56
		.amdhsa_user_sgpr_count 15
		.amdhsa_user_sgpr_dispatch_ptr 0
		.amdhsa_user_sgpr_queue_ptr 0
		.amdhsa_user_sgpr_kernarg_segment_ptr 1
		.amdhsa_user_sgpr_dispatch_id 0
		.amdhsa_user_sgpr_private_segment_size 0
		.amdhsa_wavefront_size32 1
		.amdhsa_uses_dynamic_stack 0
		.amdhsa_enable_private_segment 0
		.amdhsa_system_sgpr_workgroup_id_x 1
		.amdhsa_system_sgpr_workgroup_id_y 0
		.amdhsa_system_sgpr_workgroup_id_z 0
		.amdhsa_system_sgpr_workgroup_info 0
		.amdhsa_system_vgpr_workitem_id 0
		.amdhsa_next_free_vgpr 1
		.amdhsa_next_free_sgpr 1
		.amdhsa_reserve_vcc 0
		.amdhsa_float_round_mode_32 0
		.amdhsa_float_round_mode_16_64 0
		.amdhsa_float_denorm_mode_32 3
		.amdhsa_float_denorm_mode_16_64 3
		.amdhsa_dx10_clamp 1
		.amdhsa_ieee_mode 1
		.amdhsa_fp16_overflow 0
		.amdhsa_workgroup_processor_mode 1
		.amdhsa_memory_ordered 1
		.amdhsa_forward_progress 0
		.amdhsa_shared_vgpr_count 0
		.amdhsa_exception_fp_ieee_invalid_op 0
		.amdhsa_exception_fp_denorm_src 0
		.amdhsa_exception_fp_ieee_div_zero 0
		.amdhsa_exception_fp_ieee_overflow 0
		.amdhsa_exception_fp_ieee_underflow 0
		.amdhsa_exception_fp_ieee_inexact 0
		.amdhsa_exception_int_div_zero 0
	.end_amdhsa_kernel
	.section	.text._ZN7rocprim17ROCPRIM_400000_NS6detail17trampoline_kernelINS0_14default_configENS1_25transform_config_selectorIdLb0EEEZNS1_14transform_implILb0ES3_S5_NS0_18transform_iteratorINS0_17counting_iteratorImlEEZNS1_24adjacent_difference_implIS3_Lb1ELb0EPKdPdN6thrust23THRUST_200600_302600_NS4plusIdEEEE10hipError_tPvRmT2_T3_mT4_P12ihipStream_tbEUlmE_dEESD_NS0_8identityIvEEEESI_SL_SM_mSN_SP_bEUlT_E_NS1_11comp_targetILNS1_3genE10ELNS1_11target_archE1201ELNS1_3gpuE5ELNS1_3repE0EEENS1_30default_config_static_selectorELNS0_4arch9wavefront6targetE0EEEvT1_,"axG",@progbits,_ZN7rocprim17ROCPRIM_400000_NS6detail17trampoline_kernelINS0_14default_configENS1_25transform_config_selectorIdLb0EEEZNS1_14transform_implILb0ES3_S5_NS0_18transform_iteratorINS0_17counting_iteratorImlEEZNS1_24adjacent_difference_implIS3_Lb1ELb0EPKdPdN6thrust23THRUST_200600_302600_NS4plusIdEEEE10hipError_tPvRmT2_T3_mT4_P12ihipStream_tbEUlmE_dEESD_NS0_8identityIvEEEESI_SL_SM_mSN_SP_bEUlT_E_NS1_11comp_targetILNS1_3genE10ELNS1_11target_archE1201ELNS1_3gpuE5ELNS1_3repE0EEENS1_30default_config_static_selectorELNS0_4arch9wavefront6targetE0EEEvT1_,comdat
.Lfunc_end586:
	.size	_ZN7rocprim17ROCPRIM_400000_NS6detail17trampoline_kernelINS0_14default_configENS1_25transform_config_selectorIdLb0EEEZNS1_14transform_implILb0ES3_S5_NS0_18transform_iteratorINS0_17counting_iteratorImlEEZNS1_24adjacent_difference_implIS3_Lb1ELb0EPKdPdN6thrust23THRUST_200600_302600_NS4plusIdEEEE10hipError_tPvRmT2_T3_mT4_P12ihipStream_tbEUlmE_dEESD_NS0_8identityIvEEEESI_SL_SM_mSN_SP_bEUlT_E_NS1_11comp_targetILNS1_3genE10ELNS1_11target_archE1201ELNS1_3gpuE5ELNS1_3repE0EEENS1_30default_config_static_selectorELNS0_4arch9wavefront6targetE0EEEvT1_, .Lfunc_end586-_ZN7rocprim17ROCPRIM_400000_NS6detail17trampoline_kernelINS0_14default_configENS1_25transform_config_selectorIdLb0EEEZNS1_14transform_implILb0ES3_S5_NS0_18transform_iteratorINS0_17counting_iteratorImlEEZNS1_24adjacent_difference_implIS3_Lb1ELb0EPKdPdN6thrust23THRUST_200600_302600_NS4plusIdEEEE10hipError_tPvRmT2_T3_mT4_P12ihipStream_tbEUlmE_dEESD_NS0_8identityIvEEEESI_SL_SM_mSN_SP_bEUlT_E_NS1_11comp_targetILNS1_3genE10ELNS1_11target_archE1201ELNS1_3gpuE5ELNS1_3repE0EEENS1_30default_config_static_selectorELNS0_4arch9wavefront6targetE0EEEvT1_
                                        ; -- End function
	.section	.AMDGPU.csdata,"",@progbits
; Kernel info:
; codeLenInByte = 0
; NumSgprs: 0
; NumVgprs: 0
; ScratchSize: 0
; MemoryBound: 0
; FloatMode: 240
; IeeeMode: 1
; LDSByteSize: 0 bytes/workgroup (compile time only)
; SGPRBlocks: 0
; VGPRBlocks: 0
; NumSGPRsForWavesPerEU: 1
; NumVGPRsForWavesPerEU: 1
; Occupancy: 16
; WaveLimiterHint : 0
; COMPUTE_PGM_RSRC2:SCRATCH_EN: 0
; COMPUTE_PGM_RSRC2:USER_SGPR: 15
; COMPUTE_PGM_RSRC2:TRAP_HANDLER: 0
; COMPUTE_PGM_RSRC2:TGID_X_EN: 1
; COMPUTE_PGM_RSRC2:TGID_Y_EN: 0
; COMPUTE_PGM_RSRC2:TGID_Z_EN: 0
; COMPUTE_PGM_RSRC2:TIDIG_COMP_CNT: 0
	.section	.text._ZN7rocprim17ROCPRIM_400000_NS6detail17trampoline_kernelINS0_14default_configENS1_25transform_config_selectorIdLb0EEEZNS1_14transform_implILb0ES3_S5_NS0_18transform_iteratorINS0_17counting_iteratorImlEEZNS1_24adjacent_difference_implIS3_Lb1ELb0EPKdPdN6thrust23THRUST_200600_302600_NS4plusIdEEEE10hipError_tPvRmT2_T3_mT4_P12ihipStream_tbEUlmE_dEESD_NS0_8identityIvEEEESI_SL_SM_mSN_SP_bEUlT_E_NS1_11comp_targetILNS1_3genE10ELNS1_11target_archE1200ELNS1_3gpuE4ELNS1_3repE0EEENS1_30default_config_static_selectorELNS0_4arch9wavefront6targetE0EEEvT1_,"axG",@progbits,_ZN7rocprim17ROCPRIM_400000_NS6detail17trampoline_kernelINS0_14default_configENS1_25transform_config_selectorIdLb0EEEZNS1_14transform_implILb0ES3_S5_NS0_18transform_iteratorINS0_17counting_iteratorImlEEZNS1_24adjacent_difference_implIS3_Lb1ELb0EPKdPdN6thrust23THRUST_200600_302600_NS4plusIdEEEE10hipError_tPvRmT2_T3_mT4_P12ihipStream_tbEUlmE_dEESD_NS0_8identityIvEEEESI_SL_SM_mSN_SP_bEUlT_E_NS1_11comp_targetILNS1_3genE10ELNS1_11target_archE1200ELNS1_3gpuE4ELNS1_3repE0EEENS1_30default_config_static_selectorELNS0_4arch9wavefront6targetE0EEEvT1_,comdat
	.protected	_ZN7rocprim17ROCPRIM_400000_NS6detail17trampoline_kernelINS0_14default_configENS1_25transform_config_selectorIdLb0EEEZNS1_14transform_implILb0ES3_S5_NS0_18transform_iteratorINS0_17counting_iteratorImlEEZNS1_24adjacent_difference_implIS3_Lb1ELb0EPKdPdN6thrust23THRUST_200600_302600_NS4plusIdEEEE10hipError_tPvRmT2_T3_mT4_P12ihipStream_tbEUlmE_dEESD_NS0_8identityIvEEEESI_SL_SM_mSN_SP_bEUlT_E_NS1_11comp_targetILNS1_3genE10ELNS1_11target_archE1200ELNS1_3gpuE4ELNS1_3repE0EEENS1_30default_config_static_selectorELNS0_4arch9wavefront6targetE0EEEvT1_ ; -- Begin function _ZN7rocprim17ROCPRIM_400000_NS6detail17trampoline_kernelINS0_14default_configENS1_25transform_config_selectorIdLb0EEEZNS1_14transform_implILb0ES3_S5_NS0_18transform_iteratorINS0_17counting_iteratorImlEEZNS1_24adjacent_difference_implIS3_Lb1ELb0EPKdPdN6thrust23THRUST_200600_302600_NS4plusIdEEEE10hipError_tPvRmT2_T3_mT4_P12ihipStream_tbEUlmE_dEESD_NS0_8identityIvEEEESI_SL_SM_mSN_SP_bEUlT_E_NS1_11comp_targetILNS1_3genE10ELNS1_11target_archE1200ELNS1_3gpuE4ELNS1_3repE0EEENS1_30default_config_static_selectorELNS0_4arch9wavefront6targetE0EEEvT1_
	.globl	_ZN7rocprim17ROCPRIM_400000_NS6detail17trampoline_kernelINS0_14default_configENS1_25transform_config_selectorIdLb0EEEZNS1_14transform_implILb0ES3_S5_NS0_18transform_iteratorINS0_17counting_iteratorImlEEZNS1_24adjacent_difference_implIS3_Lb1ELb0EPKdPdN6thrust23THRUST_200600_302600_NS4plusIdEEEE10hipError_tPvRmT2_T3_mT4_P12ihipStream_tbEUlmE_dEESD_NS0_8identityIvEEEESI_SL_SM_mSN_SP_bEUlT_E_NS1_11comp_targetILNS1_3genE10ELNS1_11target_archE1200ELNS1_3gpuE4ELNS1_3repE0EEENS1_30default_config_static_selectorELNS0_4arch9wavefront6targetE0EEEvT1_
	.p2align	8
	.type	_ZN7rocprim17ROCPRIM_400000_NS6detail17trampoline_kernelINS0_14default_configENS1_25transform_config_selectorIdLb0EEEZNS1_14transform_implILb0ES3_S5_NS0_18transform_iteratorINS0_17counting_iteratorImlEEZNS1_24adjacent_difference_implIS3_Lb1ELb0EPKdPdN6thrust23THRUST_200600_302600_NS4plusIdEEEE10hipError_tPvRmT2_T3_mT4_P12ihipStream_tbEUlmE_dEESD_NS0_8identityIvEEEESI_SL_SM_mSN_SP_bEUlT_E_NS1_11comp_targetILNS1_3genE10ELNS1_11target_archE1200ELNS1_3gpuE4ELNS1_3repE0EEENS1_30default_config_static_selectorELNS0_4arch9wavefront6targetE0EEEvT1_,@function
_ZN7rocprim17ROCPRIM_400000_NS6detail17trampoline_kernelINS0_14default_configENS1_25transform_config_selectorIdLb0EEEZNS1_14transform_implILb0ES3_S5_NS0_18transform_iteratorINS0_17counting_iteratorImlEEZNS1_24adjacent_difference_implIS3_Lb1ELb0EPKdPdN6thrust23THRUST_200600_302600_NS4plusIdEEEE10hipError_tPvRmT2_T3_mT4_P12ihipStream_tbEUlmE_dEESD_NS0_8identityIvEEEESI_SL_SM_mSN_SP_bEUlT_E_NS1_11comp_targetILNS1_3genE10ELNS1_11target_archE1200ELNS1_3gpuE4ELNS1_3repE0EEENS1_30default_config_static_selectorELNS0_4arch9wavefront6targetE0EEEvT1_: ; @_ZN7rocprim17ROCPRIM_400000_NS6detail17trampoline_kernelINS0_14default_configENS1_25transform_config_selectorIdLb0EEEZNS1_14transform_implILb0ES3_S5_NS0_18transform_iteratorINS0_17counting_iteratorImlEEZNS1_24adjacent_difference_implIS3_Lb1ELb0EPKdPdN6thrust23THRUST_200600_302600_NS4plusIdEEEE10hipError_tPvRmT2_T3_mT4_P12ihipStream_tbEUlmE_dEESD_NS0_8identityIvEEEESI_SL_SM_mSN_SP_bEUlT_E_NS1_11comp_targetILNS1_3genE10ELNS1_11target_archE1200ELNS1_3gpuE4ELNS1_3repE0EEENS1_30default_config_static_selectorELNS0_4arch9wavefront6targetE0EEEvT1_
; %bb.0:
	.section	.rodata,"a",@progbits
	.p2align	6, 0x0
	.amdhsa_kernel _ZN7rocprim17ROCPRIM_400000_NS6detail17trampoline_kernelINS0_14default_configENS1_25transform_config_selectorIdLb0EEEZNS1_14transform_implILb0ES3_S5_NS0_18transform_iteratorINS0_17counting_iteratorImlEEZNS1_24adjacent_difference_implIS3_Lb1ELb0EPKdPdN6thrust23THRUST_200600_302600_NS4plusIdEEEE10hipError_tPvRmT2_T3_mT4_P12ihipStream_tbEUlmE_dEESD_NS0_8identityIvEEEESI_SL_SM_mSN_SP_bEUlT_E_NS1_11comp_targetILNS1_3genE10ELNS1_11target_archE1200ELNS1_3gpuE4ELNS1_3repE0EEENS1_30default_config_static_selectorELNS0_4arch9wavefront6targetE0EEEvT1_
		.amdhsa_group_segment_fixed_size 0
		.amdhsa_private_segment_fixed_size 0
		.amdhsa_kernarg_size 56
		.amdhsa_user_sgpr_count 15
		.amdhsa_user_sgpr_dispatch_ptr 0
		.amdhsa_user_sgpr_queue_ptr 0
		.amdhsa_user_sgpr_kernarg_segment_ptr 1
		.amdhsa_user_sgpr_dispatch_id 0
		.amdhsa_user_sgpr_private_segment_size 0
		.amdhsa_wavefront_size32 1
		.amdhsa_uses_dynamic_stack 0
		.amdhsa_enable_private_segment 0
		.amdhsa_system_sgpr_workgroup_id_x 1
		.amdhsa_system_sgpr_workgroup_id_y 0
		.amdhsa_system_sgpr_workgroup_id_z 0
		.amdhsa_system_sgpr_workgroup_info 0
		.amdhsa_system_vgpr_workitem_id 0
		.amdhsa_next_free_vgpr 1
		.amdhsa_next_free_sgpr 1
		.amdhsa_reserve_vcc 0
		.amdhsa_float_round_mode_32 0
		.amdhsa_float_round_mode_16_64 0
		.amdhsa_float_denorm_mode_32 3
		.amdhsa_float_denorm_mode_16_64 3
		.amdhsa_dx10_clamp 1
		.amdhsa_ieee_mode 1
		.amdhsa_fp16_overflow 0
		.amdhsa_workgroup_processor_mode 1
		.amdhsa_memory_ordered 1
		.amdhsa_forward_progress 0
		.amdhsa_shared_vgpr_count 0
		.amdhsa_exception_fp_ieee_invalid_op 0
		.amdhsa_exception_fp_denorm_src 0
		.amdhsa_exception_fp_ieee_div_zero 0
		.amdhsa_exception_fp_ieee_overflow 0
		.amdhsa_exception_fp_ieee_underflow 0
		.amdhsa_exception_fp_ieee_inexact 0
		.amdhsa_exception_int_div_zero 0
	.end_amdhsa_kernel
	.section	.text._ZN7rocprim17ROCPRIM_400000_NS6detail17trampoline_kernelINS0_14default_configENS1_25transform_config_selectorIdLb0EEEZNS1_14transform_implILb0ES3_S5_NS0_18transform_iteratorINS0_17counting_iteratorImlEEZNS1_24adjacent_difference_implIS3_Lb1ELb0EPKdPdN6thrust23THRUST_200600_302600_NS4plusIdEEEE10hipError_tPvRmT2_T3_mT4_P12ihipStream_tbEUlmE_dEESD_NS0_8identityIvEEEESI_SL_SM_mSN_SP_bEUlT_E_NS1_11comp_targetILNS1_3genE10ELNS1_11target_archE1200ELNS1_3gpuE4ELNS1_3repE0EEENS1_30default_config_static_selectorELNS0_4arch9wavefront6targetE0EEEvT1_,"axG",@progbits,_ZN7rocprim17ROCPRIM_400000_NS6detail17trampoline_kernelINS0_14default_configENS1_25transform_config_selectorIdLb0EEEZNS1_14transform_implILb0ES3_S5_NS0_18transform_iteratorINS0_17counting_iteratorImlEEZNS1_24adjacent_difference_implIS3_Lb1ELb0EPKdPdN6thrust23THRUST_200600_302600_NS4plusIdEEEE10hipError_tPvRmT2_T3_mT4_P12ihipStream_tbEUlmE_dEESD_NS0_8identityIvEEEESI_SL_SM_mSN_SP_bEUlT_E_NS1_11comp_targetILNS1_3genE10ELNS1_11target_archE1200ELNS1_3gpuE4ELNS1_3repE0EEENS1_30default_config_static_selectorELNS0_4arch9wavefront6targetE0EEEvT1_,comdat
.Lfunc_end587:
	.size	_ZN7rocprim17ROCPRIM_400000_NS6detail17trampoline_kernelINS0_14default_configENS1_25transform_config_selectorIdLb0EEEZNS1_14transform_implILb0ES3_S5_NS0_18transform_iteratorINS0_17counting_iteratorImlEEZNS1_24adjacent_difference_implIS3_Lb1ELb0EPKdPdN6thrust23THRUST_200600_302600_NS4plusIdEEEE10hipError_tPvRmT2_T3_mT4_P12ihipStream_tbEUlmE_dEESD_NS0_8identityIvEEEESI_SL_SM_mSN_SP_bEUlT_E_NS1_11comp_targetILNS1_3genE10ELNS1_11target_archE1200ELNS1_3gpuE4ELNS1_3repE0EEENS1_30default_config_static_selectorELNS0_4arch9wavefront6targetE0EEEvT1_, .Lfunc_end587-_ZN7rocprim17ROCPRIM_400000_NS6detail17trampoline_kernelINS0_14default_configENS1_25transform_config_selectorIdLb0EEEZNS1_14transform_implILb0ES3_S5_NS0_18transform_iteratorINS0_17counting_iteratorImlEEZNS1_24adjacent_difference_implIS3_Lb1ELb0EPKdPdN6thrust23THRUST_200600_302600_NS4plusIdEEEE10hipError_tPvRmT2_T3_mT4_P12ihipStream_tbEUlmE_dEESD_NS0_8identityIvEEEESI_SL_SM_mSN_SP_bEUlT_E_NS1_11comp_targetILNS1_3genE10ELNS1_11target_archE1200ELNS1_3gpuE4ELNS1_3repE0EEENS1_30default_config_static_selectorELNS0_4arch9wavefront6targetE0EEEvT1_
                                        ; -- End function
	.section	.AMDGPU.csdata,"",@progbits
; Kernel info:
; codeLenInByte = 0
; NumSgprs: 0
; NumVgprs: 0
; ScratchSize: 0
; MemoryBound: 0
; FloatMode: 240
; IeeeMode: 1
; LDSByteSize: 0 bytes/workgroup (compile time only)
; SGPRBlocks: 0
; VGPRBlocks: 0
; NumSGPRsForWavesPerEU: 1
; NumVGPRsForWavesPerEU: 1
; Occupancy: 16
; WaveLimiterHint : 0
; COMPUTE_PGM_RSRC2:SCRATCH_EN: 0
; COMPUTE_PGM_RSRC2:USER_SGPR: 15
; COMPUTE_PGM_RSRC2:TRAP_HANDLER: 0
; COMPUTE_PGM_RSRC2:TGID_X_EN: 1
; COMPUTE_PGM_RSRC2:TGID_Y_EN: 0
; COMPUTE_PGM_RSRC2:TGID_Z_EN: 0
; COMPUTE_PGM_RSRC2:TIDIG_COMP_CNT: 0
	.section	.text._ZN7rocprim17ROCPRIM_400000_NS6detail17trampoline_kernelINS0_14default_configENS1_25transform_config_selectorIdLb0EEEZNS1_14transform_implILb0ES3_S5_NS0_18transform_iteratorINS0_17counting_iteratorImlEEZNS1_24adjacent_difference_implIS3_Lb1ELb0EPKdPdN6thrust23THRUST_200600_302600_NS4plusIdEEEE10hipError_tPvRmT2_T3_mT4_P12ihipStream_tbEUlmE_dEESD_NS0_8identityIvEEEESI_SL_SM_mSN_SP_bEUlT_E_NS1_11comp_targetILNS1_3genE9ELNS1_11target_archE1100ELNS1_3gpuE3ELNS1_3repE0EEENS1_30default_config_static_selectorELNS0_4arch9wavefront6targetE0EEEvT1_,"axG",@progbits,_ZN7rocprim17ROCPRIM_400000_NS6detail17trampoline_kernelINS0_14default_configENS1_25transform_config_selectorIdLb0EEEZNS1_14transform_implILb0ES3_S5_NS0_18transform_iteratorINS0_17counting_iteratorImlEEZNS1_24adjacent_difference_implIS3_Lb1ELb0EPKdPdN6thrust23THRUST_200600_302600_NS4plusIdEEEE10hipError_tPvRmT2_T3_mT4_P12ihipStream_tbEUlmE_dEESD_NS0_8identityIvEEEESI_SL_SM_mSN_SP_bEUlT_E_NS1_11comp_targetILNS1_3genE9ELNS1_11target_archE1100ELNS1_3gpuE3ELNS1_3repE0EEENS1_30default_config_static_selectorELNS0_4arch9wavefront6targetE0EEEvT1_,comdat
	.protected	_ZN7rocprim17ROCPRIM_400000_NS6detail17trampoline_kernelINS0_14default_configENS1_25transform_config_selectorIdLb0EEEZNS1_14transform_implILb0ES3_S5_NS0_18transform_iteratorINS0_17counting_iteratorImlEEZNS1_24adjacent_difference_implIS3_Lb1ELb0EPKdPdN6thrust23THRUST_200600_302600_NS4plusIdEEEE10hipError_tPvRmT2_T3_mT4_P12ihipStream_tbEUlmE_dEESD_NS0_8identityIvEEEESI_SL_SM_mSN_SP_bEUlT_E_NS1_11comp_targetILNS1_3genE9ELNS1_11target_archE1100ELNS1_3gpuE3ELNS1_3repE0EEENS1_30default_config_static_selectorELNS0_4arch9wavefront6targetE0EEEvT1_ ; -- Begin function _ZN7rocprim17ROCPRIM_400000_NS6detail17trampoline_kernelINS0_14default_configENS1_25transform_config_selectorIdLb0EEEZNS1_14transform_implILb0ES3_S5_NS0_18transform_iteratorINS0_17counting_iteratorImlEEZNS1_24adjacent_difference_implIS3_Lb1ELb0EPKdPdN6thrust23THRUST_200600_302600_NS4plusIdEEEE10hipError_tPvRmT2_T3_mT4_P12ihipStream_tbEUlmE_dEESD_NS0_8identityIvEEEESI_SL_SM_mSN_SP_bEUlT_E_NS1_11comp_targetILNS1_3genE9ELNS1_11target_archE1100ELNS1_3gpuE3ELNS1_3repE0EEENS1_30default_config_static_selectorELNS0_4arch9wavefront6targetE0EEEvT1_
	.globl	_ZN7rocprim17ROCPRIM_400000_NS6detail17trampoline_kernelINS0_14default_configENS1_25transform_config_selectorIdLb0EEEZNS1_14transform_implILb0ES3_S5_NS0_18transform_iteratorINS0_17counting_iteratorImlEEZNS1_24adjacent_difference_implIS3_Lb1ELb0EPKdPdN6thrust23THRUST_200600_302600_NS4plusIdEEEE10hipError_tPvRmT2_T3_mT4_P12ihipStream_tbEUlmE_dEESD_NS0_8identityIvEEEESI_SL_SM_mSN_SP_bEUlT_E_NS1_11comp_targetILNS1_3genE9ELNS1_11target_archE1100ELNS1_3gpuE3ELNS1_3repE0EEENS1_30default_config_static_selectorELNS0_4arch9wavefront6targetE0EEEvT1_
	.p2align	8
	.type	_ZN7rocprim17ROCPRIM_400000_NS6detail17trampoline_kernelINS0_14default_configENS1_25transform_config_selectorIdLb0EEEZNS1_14transform_implILb0ES3_S5_NS0_18transform_iteratorINS0_17counting_iteratorImlEEZNS1_24adjacent_difference_implIS3_Lb1ELb0EPKdPdN6thrust23THRUST_200600_302600_NS4plusIdEEEE10hipError_tPvRmT2_T3_mT4_P12ihipStream_tbEUlmE_dEESD_NS0_8identityIvEEEESI_SL_SM_mSN_SP_bEUlT_E_NS1_11comp_targetILNS1_3genE9ELNS1_11target_archE1100ELNS1_3gpuE3ELNS1_3repE0EEENS1_30default_config_static_selectorELNS0_4arch9wavefront6targetE0EEEvT1_,@function
_ZN7rocprim17ROCPRIM_400000_NS6detail17trampoline_kernelINS0_14default_configENS1_25transform_config_selectorIdLb0EEEZNS1_14transform_implILb0ES3_S5_NS0_18transform_iteratorINS0_17counting_iteratorImlEEZNS1_24adjacent_difference_implIS3_Lb1ELb0EPKdPdN6thrust23THRUST_200600_302600_NS4plusIdEEEE10hipError_tPvRmT2_T3_mT4_P12ihipStream_tbEUlmE_dEESD_NS0_8identityIvEEEESI_SL_SM_mSN_SP_bEUlT_E_NS1_11comp_targetILNS1_3genE9ELNS1_11target_archE1100ELNS1_3gpuE3ELNS1_3repE0EEENS1_30default_config_static_selectorELNS0_4arch9wavefront6targetE0EEEvT1_: ; @_ZN7rocprim17ROCPRIM_400000_NS6detail17trampoline_kernelINS0_14default_configENS1_25transform_config_selectorIdLb0EEEZNS1_14transform_implILb0ES3_S5_NS0_18transform_iteratorINS0_17counting_iteratorImlEEZNS1_24adjacent_difference_implIS3_Lb1ELb0EPKdPdN6thrust23THRUST_200600_302600_NS4plusIdEEEE10hipError_tPvRmT2_T3_mT4_P12ihipStream_tbEUlmE_dEESD_NS0_8identityIvEEEESI_SL_SM_mSN_SP_bEUlT_E_NS1_11comp_targetILNS1_3genE9ELNS1_11target_archE1100ELNS1_3gpuE3ELNS1_3repE0EEENS1_30default_config_static_selectorELNS0_4arch9wavefront6targetE0EEEvT1_
; %bb.0:
	s_clause 0x4
	s_load_b128 s[4:7], s[0:1], 0x0
	s_load_b64 s[2:3], s[0:1], 0x18
	s_load_b64 s[12:13], s[0:1], 0x28
	s_load_b32 s11, s[0:1], 0x38
	s_load_b32 s8, s[0:1], 0x10
	s_waitcnt lgkmcnt(0)
	s_add_u32 s9, s2, s4
	s_addc_u32 s10, s3, s5
	s_lshl_b64 s[2:3], s[2:3], 3
	s_delay_alu instid0(SALU_CYCLE_1)
	s_add_u32 s4, s12, s2
	s_addc_u32 s5, s13, s3
	s_add_i32 s11, s11, -1
	s_lshl_b32 s2, s15, 9
	s_mov_b32 s3, 0
	s_cmp_lg_u32 s15, s11
	s_mov_b32 s11, -1
	s_cbranch_scc0 .LBB588_2
; %bb.1:
	s_add_u32 s11, s9, s2
	s_addc_u32 s12, s10, 0
	v_add_co_u32 v3, s11, s11, v0
	s_delay_alu instid0(VALU_DEP_1) | instskip(SKIP_1) | instid1(VALU_DEP_2)
	v_add_co_ci_u32_e64 v5, null, s12, 0, s11
	s_lshl_b64 s[12:13], s[2:3], 3
	v_mad_u64_u32 v[1:2], null, v3, s8, 0
	s_add_u32 s12, s4, s12
	s_addc_u32 s13, s5, s13
	s_mov_b32 s11, s3
	s_delay_alu instid0(VALU_DEP_1) | instskip(NEXT) | instid1(VALU_DEP_1)
	v_mad_u64_u32 v[3:4], null, v5, s8, v[2:3]
	v_dual_mov_b32 v2, v3 :: v_dual_lshlrev_b32 v3, 3, v0
	s_delay_alu instid0(VALU_DEP_1) | instskip(NEXT) | instid1(VALU_DEP_1)
	v_lshlrev_b64 v[1:2], 3, v[1:2]
	v_add_co_u32 v1, vcc_lo, s6, v1
	s_delay_alu instid0(VALU_DEP_2)
	v_add_co_ci_u32_e32 v2, vcc_lo, s7, v2, vcc_lo
	global_load_b64 v[1:2], v[1:2], off
	s_waitcnt vmcnt(0)
	global_store_b64 v3, v[1:2], s[12:13]
.LBB588_2:
	s_and_not1_b32 vcc_lo, exec_lo, s11
	s_cbranch_vccnz .LBB588_7
; %bb.3:
	s_load_b32 s0, s[0:1], 0x20
                                        ; implicit-def: $vgpr1_vgpr2
	s_waitcnt lgkmcnt(0)
	s_sub_i32 s0, s0, s2
	s_delay_alu instid0(SALU_CYCLE_1)
	v_cmp_gt_u32_e32 vcc_lo, s0, v0
	s_and_saveexec_b32 s1, vcc_lo
	s_cbranch_execz .LBB588_5
; %bb.4:
	s_add_u32 s0, s9, s2
	s_addc_u32 s9, s10, 0
	v_add_co_u32 v3, s0, s0, v0
	s_delay_alu instid0(VALU_DEP_1) | instskip(NEXT) | instid1(VALU_DEP_2)
	v_add_co_ci_u32_e64 v5, null, s9, 0, s0
	v_mad_u64_u32 v[1:2], null, v3, s8, 0
	s_delay_alu instid0(VALU_DEP_1) | instskip(NEXT) | instid1(VALU_DEP_1)
	v_mad_u64_u32 v[3:4], null, v5, s8, v[2:3]
	v_mov_b32_e32 v2, v3
	s_delay_alu instid0(VALU_DEP_1) | instskip(NEXT) | instid1(VALU_DEP_1)
	v_lshlrev_b64 v[1:2], 3, v[1:2]
	v_add_co_u32 v1, s0, s6, v1
	s_delay_alu instid0(VALU_DEP_1)
	v_add_co_ci_u32_e64 v2, s0, s7, v2, s0
	global_load_b64 v[1:2], v[1:2], off
.LBB588_5:
	s_or_b32 exec_lo, exec_lo, s1
	s_and_saveexec_b32 s0, vcc_lo
	s_cbranch_execz .LBB588_7
; %bb.6:
	s_lshl_b64 s[0:1], s[2:3], 3
	v_lshlrev_b32_e32 v0, 3, v0
	s_add_u32 s0, s4, s0
	s_addc_u32 s1, s5, s1
	s_waitcnt vmcnt(0)
	global_store_b64 v0, v[1:2], s[0:1]
.LBB588_7:
	s_nop 0
	s_sendmsg sendmsg(MSG_DEALLOC_VGPRS)
	s_endpgm
	.section	.rodata,"a",@progbits
	.p2align	6, 0x0
	.amdhsa_kernel _ZN7rocprim17ROCPRIM_400000_NS6detail17trampoline_kernelINS0_14default_configENS1_25transform_config_selectorIdLb0EEEZNS1_14transform_implILb0ES3_S5_NS0_18transform_iteratorINS0_17counting_iteratorImlEEZNS1_24adjacent_difference_implIS3_Lb1ELb0EPKdPdN6thrust23THRUST_200600_302600_NS4plusIdEEEE10hipError_tPvRmT2_T3_mT4_P12ihipStream_tbEUlmE_dEESD_NS0_8identityIvEEEESI_SL_SM_mSN_SP_bEUlT_E_NS1_11comp_targetILNS1_3genE9ELNS1_11target_archE1100ELNS1_3gpuE3ELNS1_3repE0EEENS1_30default_config_static_selectorELNS0_4arch9wavefront6targetE0EEEvT1_
		.amdhsa_group_segment_fixed_size 0
		.amdhsa_private_segment_fixed_size 0
		.amdhsa_kernarg_size 312
		.amdhsa_user_sgpr_count 15
		.amdhsa_user_sgpr_dispatch_ptr 0
		.amdhsa_user_sgpr_queue_ptr 0
		.amdhsa_user_sgpr_kernarg_segment_ptr 1
		.amdhsa_user_sgpr_dispatch_id 0
		.amdhsa_user_sgpr_private_segment_size 0
		.amdhsa_wavefront_size32 1
		.amdhsa_uses_dynamic_stack 0
		.amdhsa_enable_private_segment 0
		.amdhsa_system_sgpr_workgroup_id_x 1
		.amdhsa_system_sgpr_workgroup_id_y 0
		.amdhsa_system_sgpr_workgroup_id_z 0
		.amdhsa_system_sgpr_workgroup_info 0
		.amdhsa_system_vgpr_workitem_id 0
		.amdhsa_next_free_vgpr 6
		.amdhsa_next_free_sgpr 16
		.amdhsa_reserve_vcc 1
		.amdhsa_float_round_mode_32 0
		.amdhsa_float_round_mode_16_64 0
		.amdhsa_float_denorm_mode_32 3
		.amdhsa_float_denorm_mode_16_64 3
		.amdhsa_dx10_clamp 1
		.amdhsa_ieee_mode 1
		.amdhsa_fp16_overflow 0
		.amdhsa_workgroup_processor_mode 1
		.amdhsa_memory_ordered 1
		.amdhsa_forward_progress 0
		.amdhsa_shared_vgpr_count 0
		.amdhsa_exception_fp_ieee_invalid_op 0
		.amdhsa_exception_fp_denorm_src 0
		.amdhsa_exception_fp_ieee_div_zero 0
		.amdhsa_exception_fp_ieee_overflow 0
		.amdhsa_exception_fp_ieee_underflow 0
		.amdhsa_exception_fp_ieee_inexact 0
		.amdhsa_exception_int_div_zero 0
	.end_amdhsa_kernel
	.section	.text._ZN7rocprim17ROCPRIM_400000_NS6detail17trampoline_kernelINS0_14default_configENS1_25transform_config_selectorIdLb0EEEZNS1_14transform_implILb0ES3_S5_NS0_18transform_iteratorINS0_17counting_iteratorImlEEZNS1_24adjacent_difference_implIS3_Lb1ELb0EPKdPdN6thrust23THRUST_200600_302600_NS4plusIdEEEE10hipError_tPvRmT2_T3_mT4_P12ihipStream_tbEUlmE_dEESD_NS0_8identityIvEEEESI_SL_SM_mSN_SP_bEUlT_E_NS1_11comp_targetILNS1_3genE9ELNS1_11target_archE1100ELNS1_3gpuE3ELNS1_3repE0EEENS1_30default_config_static_selectorELNS0_4arch9wavefront6targetE0EEEvT1_,"axG",@progbits,_ZN7rocprim17ROCPRIM_400000_NS6detail17trampoline_kernelINS0_14default_configENS1_25transform_config_selectorIdLb0EEEZNS1_14transform_implILb0ES3_S5_NS0_18transform_iteratorINS0_17counting_iteratorImlEEZNS1_24adjacent_difference_implIS3_Lb1ELb0EPKdPdN6thrust23THRUST_200600_302600_NS4plusIdEEEE10hipError_tPvRmT2_T3_mT4_P12ihipStream_tbEUlmE_dEESD_NS0_8identityIvEEEESI_SL_SM_mSN_SP_bEUlT_E_NS1_11comp_targetILNS1_3genE9ELNS1_11target_archE1100ELNS1_3gpuE3ELNS1_3repE0EEENS1_30default_config_static_selectorELNS0_4arch9wavefront6targetE0EEEvT1_,comdat
.Lfunc_end588:
	.size	_ZN7rocprim17ROCPRIM_400000_NS6detail17trampoline_kernelINS0_14default_configENS1_25transform_config_selectorIdLb0EEEZNS1_14transform_implILb0ES3_S5_NS0_18transform_iteratorINS0_17counting_iteratorImlEEZNS1_24adjacent_difference_implIS3_Lb1ELb0EPKdPdN6thrust23THRUST_200600_302600_NS4plusIdEEEE10hipError_tPvRmT2_T3_mT4_P12ihipStream_tbEUlmE_dEESD_NS0_8identityIvEEEESI_SL_SM_mSN_SP_bEUlT_E_NS1_11comp_targetILNS1_3genE9ELNS1_11target_archE1100ELNS1_3gpuE3ELNS1_3repE0EEENS1_30default_config_static_selectorELNS0_4arch9wavefront6targetE0EEEvT1_, .Lfunc_end588-_ZN7rocprim17ROCPRIM_400000_NS6detail17trampoline_kernelINS0_14default_configENS1_25transform_config_selectorIdLb0EEEZNS1_14transform_implILb0ES3_S5_NS0_18transform_iteratorINS0_17counting_iteratorImlEEZNS1_24adjacent_difference_implIS3_Lb1ELb0EPKdPdN6thrust23THRUST_200600_302600_NS4plusIdEEEE10hipError_tPvRmT2_T3_mT4_P12ihipStream_tbEUlmE_dEESD_NS0_8identityIvEEEESI_SL_SM_mSN_SP_bEUlT_E_NS1_11comp_targetILNS1_3genE9ELNS1_11target_archE1100ELNS1_3gpuE3ELNS1_3repE0EEENS1_30default_config_static_selectorELNS0_4arch9wavefront6targetE0EEEvT1_
                                        ; -- End function
	.section	.AMDGPU.csdata,"",@progbits
; Kernel info:
; codeLenInByte = 400
; NumSgprs: 18
; NumVgprs: 6
; ScratchSize: 0
; MemoryBound: 0
; FloatMode: 240
; IeeeMode: 1
; LDSByteSize: 0 bytes/workgroup (compile time only)
; SGPRBlocks: 2
; VGPRBlocks: 0
; NumSGPRsForWavesPerEU: 18
; NumVGPRsForWavesPerEU: 6
; Occupancy: 16
; WaveLimiterHint : 0
; COMPUTE_PGM_RSRC2:SCRATCH_EN: 0
; COMPUTE_PGM_RSRC2:USER_SGPR: 15
; COMPUTE_PGM_RSRC2:TRAP_HANDLER: 0
; COMPUTE_PGM_RSRC2:TGID_X_EN: 1
; COMPUTE_PGM_RSRC2:TGID_Y_EN: 0
; COMPUTE_PGM_RSRC2:TGID_Z_EN: 0
; COMPUTE_PGM_RSRC2:TIDIG_COMP_CNT: 0
	.section	.text._ZN7rocprim17ROCPRIM_400000_NS6detail17trampoline_kernelINS0_14default_configENS1_25transform_config_selectorIdLb0EEEZNS1_14transform_implILb0ES3_S5_NS0_18transform_iteratorINS0_17counting_iteratorImlEEZNS1_24adjacent_difference_implIS3_Lb1ELb0EPKdPdN6thrust23THRUST_200600_302600_NS4plusIdEEEE10hipError_tPvRmT2_T3_mT4_P12ihipStream_tbEUlmE_dEESD_NS0_8identityIvEEEESI_SL_SM_mSN_SP_bEUlT_E_NS1_11comp_targetILNS1_3genE8ELNS1_11target_archE1030ELNS1_3gpuE2ELNS1_3repE0EEENS1_30default_config_static_selectorELNS0_4arch9wavefront6targetE0EEEvT1_,"axG",@progbits,_ZN7rocprim17ROCPRIM_400000_NS6detail17trampoline_kernelINS0_14default_configENS1_25transform_config_selectorIdLb0EEEZNS1_14transform_implILb0ES3_S5_NS0_18transform_iteratorINS0_17counting_iteratorImlEEZNS1_24adjacent_difference_implIS3_Lb1ELb0EPKdPdN6thrust23THRUST_200600_302600_NS4plusIdEEEE10hipError_tPvRmT2_T3_mT4_P12ihipStream_tbEUlmE_dEESD_NS0_8identityIvEEEESI_SL_SM_mSN_SP_bEUlT_E_NS1_11comp_targetILNS1_3genE8ELNS1_11target_archE1030ELNS1_3gpuE2ELNS1_3repE0EEENS1_30default_config_static_selectorELNS0_4arch9wavefront6targetE0EEEvT1_,comdat
	.protected	_ZN7rocprim17ROCPRIM_400000_NS6detail17trampoline_kernelINS0_14default_configENS1_25transform_config_selectorIdLb0EEEZNS1_14transform_implILb0ES3_S5_NS0_18transform_iteratorINS0_17counting_iteratorImlEEZNS1_24adjacent_difference_implIS3_Lb1ELb0EPKdPdN6thrust23THRUST_200600_302600_NS4plusIdEEEE10hipError_tPvRmT2_T3_mT4_P12ihipStream_tbEUlmE_dEESD_NS0_8identityIvEEEESI_SL_SM_mSN_SP_bEUlT_E_NS1_11comp_targetILNS1_3genE8ELNS1_11target_archE1030ELNS1_3gpuE2ELNS1_3repE0EEENS1_30default_config_static_selectorELNS0_4arch9wavefront6targetE0EEEvT1_ ; -- Begin function _ZN7rocprim17ROCPRIM_400000_NS6detail17trampoline_kernelINS0_14default_configENS1_25transform_config_selectorIdLb0EEEZNS1_14transform_implILb0ES3_S5_NS0_18transform_iteratorINS0_17counting_iteratorImlEEZNS1_24adjacent_difference_implIS3_Lb1ELb0EPKdPdN6thrust23THRUST_200600_302600_NS4plusIdEEEE10hipError_tPvRmT2_T3_mT4_P12ihipStream_tbEUlmE_dEESD_NS0_8identityIvEEEESI_SL_SM_mSN_SP_bEUlT_E_NS1_11comp_targetILNS1_3genE8ELNS1_11target_archE1030ELNS1_3gpuE2ELNS1_3repE0EEENS1_30default_config_static_selectorELNS0_4arch9wavefront6targetE0EEEvT1_
	.globl	_ZN7rocprim17ROCPRIM_400000_NS6detail17trampoline_kernelINS0_14default_configENS1_25transform_config_selectorIdLb0EEEZNS1_14transform_implILb0ES3_S5_NS0_18transform_iteratorINS0_17counting_iteratorImlEEZNS1_24adjacent_difference_implIS3_Lb1ELb0EPKdPdN6thrust23THRUST_200600_302600_NS4plusIdEEEE10hipError_tPvRmT2_T3_mT4_P12ihipStream_tbEUlmE_dEESD_NS0_8identityIvEEEESI_SL_SM_mSN_SP_bEUlT_E_NS1_11comp_targetILNS1_3genE8ELNS1_11target_archE1030ELNS1_3gpuE2ELNS1_3repE0EEENS1_30default_config_static_selectorELNS0_4arch9wavefront6targetE0EEEvT1_
	.p2align	8
	.type	_ZN7rocprim17ROCPRIM_400000_NS6detail17trampoline_kernelINS0_14default_configENS1_25transform_config_selectorIdLb0EEEZNS1_14transform_implILb0ES3_S5_NS0_18transform_iteratorINS0_17counting_iteratorImlEEZNS1_24adjacent_difference_implIS3_Lb1ELb0EPKdPdN6thrust23THRUST_200600_302600_NS4plusIdEEEE10hipError_tPvRmT2_T3_mT4_P12ihipStream_tbEUlmE_dEESD_NS0_8identityIvEEEESI_SL_SM_mSN_SP_bEUlT_E_NS1_11comp_targetILNS1_3genE8ELNS1_11target_archE1030ELNS1_3gpuE2ELNS1_3repE0EEENS1_30default_config_static_selectorELNS0_4arch9wavefront6targetE0EEEvT1_,@function
_ZN7rocprim17ROCPRIM_400000_NS6detail17trampoline_kernelINS0_14default_configENS1_25transform_config_selectorIdLb0EEEZNS1_14transform_implILb0ES3_S5_NS0_18transform_iteratorINS0_17counting_iteratorImlEEZNS1_24adjacent_difference_implIS3_Lb1ELb0EPKdPdN6thrust23THRUST_200600_302600_NS4plusIdEEEE10hipError_tPvRmT2_T3_mT4_P12ihipStream_tbEUlmE_dEESD_NS0_8identityIvEEEESI_SL_SM_mSN_SP_bEUlT_E_NS1_11comp_targetILNS1_3genE8ELNS1_11target_archE1030ELNS1_3gpuE2ELNS1_3repE0EEENS1_30default_config_static_selectorELNS0_4arch9wavefront6targetE0EEEvT1_: ; @_ZN7rocprim17ROCPRIM_400000_NS6detail17trampoline_kernelINS0_14default_configENS1_25transform_config_selectorIdLb0EEEZNS1_14transform_implILb0ES3_S5_NS0_18transform_iteratorINS0_17counting_iteratorImlEEZNS1_24adjacent_difference_implIS3_Lb1ELb0EPKdPdN6thrust23THRUST_200600_302600_NS4plusIdEEEE10hipError_tPvRmT2_T3_mT4_P12ihipStream_tbEUlmE_dEESD_NS0_8identityIvEEEESI_SL_SM_mSN_SP_bEUlT_E_NS1_11comp_targetILNS1_3genE8ELNS1_11target_archE1030ELNS1_3gpuE2ELNS1_3repE0EEENS1_30default_config_static_selectorELNS0_4arch9wavefront6targetE0EEEvT1_
; %bb.0:
	.section	.rodata,"a",@progbits
	.p2align	6, 0x0
	.amdhsa_kernel _ZN7rocprim17ROCPRIM_400000_NS6detail17trampoline_kernelINS0_14default_configENS1_25transform_config_selectorIdLb0EEEZNS1_14transform_implILb0ES3_S5_NS0_18transform_iteratorINS0_17counting_iteratorImlEEZNS1_24adjacent_difference_implIS3_Lb1ELb0EPKdPdN6thrust23THRUST_200600_302600_NS4plusIdEEEE10hipError_tPvRmT2_T3_mT4_P12ihipStream_tbEUlmE_dEESD_NS0_8identityIvEEEESI_SL_SM_mSN_SP_bEUlT_E_NS1_11comp_targetILNS1_3genE8ELNS1_11target_archE1030ELNS1_3gpuE2ELNS1_3repE0EEENS1_30default_config_static_selectorELNS0_4arch9wavefront6targetE0EEEvT1_
		.amdhsa_group_segment_fixed_size 0
		.amdhsa_private_segment_fixed_size 0
		.amdhsa_kernarg_size 56
		.amdhsa_user_sgpr_count 15
		.amdhsa_user_sgpr_dispatch_ptr 0
		.amdhsa_user_sgpr_queue_ptr 0
		.amdhsa_user_sgpr_kernarg_segment_ptr 1
		.amdhsa_user_sgpr_dispatch_id 0
		.amdhsa_user_sgpr_private_segment_size 0
		.amdhsa_wavefront_size32 1
		.amdhsa_uses_dynamic_stack 0
		.amdhsa_enable_private_segment 0
		.amdhsa_system_sgpr_workgroup_id_x 1
		.amdhsa_system_sgpr_workgroup_id_y 0
		.amdhsa_system_sgpr_workgroup_id_z 0
		.amdhsa_system_sgpr_workgroup_info 0
		.amdhsa_system_vgpr_workitem_id 0
		.amdhsa_next_free_vgpr 1
		.amdhsa_next_free_sgpr 1
		.amdhsa_reserve_vcc 0
		.amdhsa_float_round_mode_32 0
		.amdhsa_float_round_mode_16_64 0
		.amdhsa_float_denorm_mode_32 3
		.amdhsa_float_denorm_mode_16_64 3
		.amdhsa_dx10_clamp 1
		.amdhsa_ieee_mode 1
		.amdhsa_fp16_overflow 0
		.amdhsa_workgroup_processor_mode 1
		.amdhsa_memory_ordered 1
		.amdhsa_forward_progress 0
		.amdhsa_shared_vgpr_count 0
		.amdhsa_exception_fp_ieee_invalid_op 0
		.amdhsa_exception_fp_denorm_src 0
		.amdhsa_exception_fp_ieee_div_zero 0
		.amdhsa_exception_fp_ieee_overflow 0
		.amdhsa_exception_fp_ieee_underflow 0
		.amdhsa_exception_fp_ieee_inexact 0
		.amdhsa_exception_int_div_zero 0
	.end_amdhsa_kernel
	.section	.text._ZN7rocprim17ROCPRIM_400000_NS6detail17trampoline_kernelINS0_14default_configENS1_25transform_config_selectorIdLb0EEEZNS1_14transform_implILb0ES3_S5_NS0_18transform_iteratorINS0_17counting_iteratorImlEEZNS1_24adjacent_difference_implIS3_Lb1ELb0EPKdPdN6thrust23THRUST_200600_302600_NS4plusIdEEEE10hipError_tPvRmT2_T3_mT4_P12ihipStream_tbEUlmE_dEESD_NS0_8identityIvEEEESI_SL_SM_mSN_SP_bEUlT_E_NS1_11comp_targetILNS1_3genE8ELNS1_11target_archE1030ELNS1_3gpuE2ELNS1_3repE0EEENS1_30default_config_static_selectorELNS0_4arch9wavefront6targetE0EEEvT1_,"axG",@progbits,_ZN7rocprim17ROCPRIM_400000_NS6detail17trampoline_kernelINS0_14default_configENS1_25transform_config_selectorIdLb0EEEZNS1_14transform_implILb0ES3_S5_NS0_18transform_iteratorINS0_17counting_iteratorImlEEZNS1_24adjacent_difference_implIS3_Lb1ELb0EPKdPdN6thrust23THRUST_200600_302600_NS4plusIdEEEE10hipError_tPvRmT2_T3_mT4_P12ihipStream_tbEUlmE_dEESD_NS0_8identityIvEEEESI_SL_SM_mSN_SP_bEUlT_E_NS1_11comp_targetILNS1_3genE8ELNS1_11target_archE1030ELNS1_3gpuE2ELNS1_3repE0EEENS1_30default_config_static_selectorELNS0_4arch9wavefront6targetE0EEEvT1_,comdat
.Lfunc_end589:
	.size	_ZN7rocprim17ROCPRIM_400000_NS6detail17trampoline_kernelINS0_14default_configENS1_25transform_config_selectorIdLb0EEEZNS1_14transform_implILb0ES3_S5_NS0_18transform_iteratorINS0_17counting_iteratorImlEEZNS1_24adjacent_difference_implIS3_Lb1ELb0EPKdPdN6thrust23THRUST_200600_302600_NS4plusIdEEEE10hipError_tPvRmT2_T3_mT4_P12ihipStream_tbEUlmE_dEESD_NS0_8identityIvEEEESI_SL_SM_mSN_SP_bEUlT_E_NS1_11comp_targetILNS1_3genE8ELNS1_11target_archE1030ELNS1_3gpuE2ELNS1_3repE0EEENS1_30default_config_static_selectorELNS0_4arch9wavefront6targetE0EEEvT1_, .Lfunc_end589-_ZN7rocprim17ROCPRIM_400000_NS6detail17trampoline_kernelINS0_14default_configENS1_25transform_config_selectorIdLb0EEEZNS1_14transform_implILb0ES3_S5_NS0_18transform_iteratorINS0_17counting_iteratorImlEEZNS1_24adjacent_difference_implIS3_Lb1ELb0EPKdPdN6thrust23THRUST_200600_302600_NS4plusIdEEEE10hipError_tPvRmT2_T3_mT4_P12ihipStream_tbEUlmE_dEESD_NS0_8identityIvEEEESI_SL_SM_mSN_SP_bEUlT_E_NS1_11comp_targetILNS1_3genE8ELNS1_11target_archE1030ELNS1_3gpuE2ELNS1_3repE0EEENS1_30default_config_static_selectorELNS0_4arch9wavefront6targetE0EEEvT1_
                                        ; -- End function
	.section	.AMDGPU.csdata,"",@progbits
; Kernel info:
; codeLenInByte = 0
; NumSgprs: 0
; NumVgprs: 0
; ScratchSize: 0
; MemoryBound: 0
; FloatMode: 240
; IeeeMode: 1
; LDSByteSize: 0 bytes/workgroup (compile time only)
; SGPRBlocks: 0
; VGPRBlocks: 0
; NumSGPRsForWavesPerEU: 1
; NumVGPRsForWavesPerEU: 1
; Occupancy: 16
; WaveLimiterHint : 0
; COMPUTE_PGM_RSRC2:SCRATCH_EN: 0
; COMPUTE_PGM_RSRC2:USER_SGPR: 15
; COMPUTE_PGM_RSRC2:TRAP_HANDLER: 0
; COMPUTE_PGM_RSRC2:TGID_X_EN: 1
; COMPUTE_PGM_RSRC2:TGID_Y_EN: 0
; COMPUTE_PGM_RSRC2:TGID_Z_EN: 0
; COMPUTE_PGM_RSRC2:TIDIG_COMP_CNT: 0
	.section	.text._ZN7rocprim17ROCPRIM_400000_NS6detail17trampoline_kernelINS0_14default_configENS1_35adjacent_difference_config_selectorILb1EdEEZNS1_24adjacent_difference_implIS3_Lb1ELb0EPKdPdN6thrust23THRUST_200600_302600_NS4plusIdEEEE10hipError_tPvRmT2_T3_mT4_P12ihipStream_tbEUlT_E_NS1_11comp_targetILNS1_3genE0ELNS1_11target_archE4294967295ELNS1_3gpuE0ELNS1_3repE0EEENS1_30default_config_static_selectorELNS0_4arch9wavefront6targetE0EEEvT1_,"axG",@progbits,_ZN7rocprim17ROCPRIM_400000_NS6detail17trampoline_kernelINS0_14default_configENS1_35adjacent_difference_config_selectorILb1EdEEZNS1_24adjacent_difference_implIS3_Lb1ELb0EPKdPdN6thrust23THRUST_200600_302600_NS4plusIdEEEE10hipError_tPvRmT2_T3_mT4_P12ihipStream_tbEUlT_E_NS1_11comp_targetILNS1_3genE0ELNS1_11target_archE4294967295ELNS1_3gpuE0ELNS1_3repE0EEENS1_30default_config_static_selectorELNS0_4arch9wavefront6targetE0EEEvT1_,comdat
	.protected	_ZN7rocprim17ROCPRIM_400000_NS6detail17trampoline_kernelINS0_14default_configENS1_35adjacent_difference_config_selectorILb1EdEEZNS1_24adjacent_difference_implIS3_Lb1ELb0EPKdPdN6thrust23THRUST_200600_302600_NS4plusIdEEEE10hipError_tPvRmT2_T3_mT4_P12ihipStream_tbEUlT_E_NS1_11comp_targetILNS1_3genE0ELNS1_11target_archE4294967295ELNS1_3gpuE0ELNS1_3repE0EEENS1_30default_config_static_selectorELNS0_4arch9wavefront6targetE0EEEvT1_ ; -- Begin function _ZN7rocprim17ROCPRIM_400000_NS6detail17trampoline_kernelINS0_14default_configENS1_35adjacent_difference_config_selectorILb1EdEEZNS1_24adjacent_difference_implIS3_Lb1ELb0EPKdPdN6thrust23THRUST_200600_302600_NS4plusIdEEEE10hipError_tPvRmT2_T3_mT4_P12ihipStream_tbEUlT_E_NS1_11comp_targetILNS1_3genE0ELNS1_11target_archE4294967295ELNS1_3gpuE0ELNS1_3repE0EEENS1_30default_config_static_selectorELNS0_4arch9wavefront6targetE0EEEvT1_
	.globl	_ZN7rocprim17ROCPRIM_400000_NS6detail17trampoline_kernelINS0_14default_configENS1_35adjacent_difference_config_selectorILb1EdEEZNS1_24adjacent_difference_implIS3_Lb1ELb0EPKdPdN6thrust23THRUST_200600_302600_NS4plusIdEEEE10hipError_tPvRmT2_T3_mT4_P12ihipStream_tbEUlT_E_NS1_11comp_targetILNS1_3genE0ELNS1_11target_archE4294967295ELNS1_3gpuE0ELNS1_3repE0EEENS1_30default_config_static_selectorELNS0_4arch9wavefront6targetE0EEEvT1_
	.p2align	8
	.type	_ZN7rocprim17ROCPRIM_400000_NS6detail17trampoline_kernelINS0_14default_configENS1_35adjacent_difference_config_selectorILb1EdEEZNS1_24adjacent_difference_implIS3_Lb1ELb0EPKdPdN6thrust23THRUST_200600_302600_NS4plusIdEEEE10hipError_tPvRmT2_T3_mT4_P12ihipStream_tbEUlT_E_NS1_11comp_targetILNS1_3genE0ELNS1_11target_archE4294967295ELNS1_3gpuE0ELNS1_3repE0EEENS1_30default_config_static_selectorELNS0_4arch9wavefront6targetE0EEEvT1_,@function
_ZN7rocprim17ROCPRIM_400000_NS6detail17trampoline_kernelINS0_14default_configENS1_35adjacent_difference_config_selectorILb1EdEEZNS1_24adjacent_difference_implIS3_Lb1ELb0EPKdPdN6thrust23THRUST_200600_302600_NS4plusIdEEEE10hipError_tPvRmT2_T3_mT4_P12ihipStream_tbEUlT_E_NS1_11comp_targetILNS1_3genE0ELNS1_11target_archE4294967295ELNS1_3gpuE0ELNS1_3repE0EEENS1_30default_config_static_selectorELNS0_4arch9wavefront6targetE0EEEvT1_: ; @_ZN7rocprim17ROCPRIM_400000_NS6detail17trampoline_kernelINS0_14default_configENS1_35adjacent_difference_config_selectorILb1EdEEZNS1_24adjacent_difference_implIS3_Lb1ELb0EPKdPdN6thrust23THRUST_200600_302600_NS4plusIdEEEE10hipError_tPvRmT2_T3_mT4_P12ihipStream_tbEUlT_E_NS1_11comp_targetILNS1_3genE0ELNS1_11target_archE4294967295ELNS1_3gpuE0ELNS1_3repE0EEENS1_30default_config_static_selectorELNS0_4arch9wavefront6targetE0EEEvT1_
; %bb.0:
	.section	.rodata,"a",@progbits
	.p2align	6, 0x0
	.amdhsa_kernel _ZN7rocprim17ROCPRIM_400000_NS6detail17trampoline_kernelINS0_14default_configENS1_35adjacent_difference_config_selectorILb1EdEEZNS1_24adjacent_difference_implIS3_Lb1ELb0EPKdPdN6thrust23THRUST_200600_302600_NS4plusIdEEEE10hipError_tPvRmT2_T3_mT4_P12ihipStream_tbEUlT_E_NS1_11comp_targetILNS1_3genE0ELNS1_11target_archE4294967295ELNS1_3gpuE0ELNS1_3repE0EEENS1_30default_config_static_selectorELNS0_4arch9wavefront6targetE0EEEvT1_
		.amdhsa_group_segment_fixed_size 0
		.amdhsa_private_segment_fixed_size 0
		.amdhsa_kernarg_size 56
		.amdhsa_user_sgpr_count 15
		.amdhsa_user_sgpr_dispatch_ptr 0
		.amdhsa_user_sgpr_queue_ptr 0
		.amdhsa_user_sgpr_kernarg_segment_ptr 1
		.amdhsa_user_sgpr_dispatch_id 0
		.amdhsa_user_sgpr_private_segment_size 0
		.amdhsa_wavefront_size32 1
		.amdhsa_uses_dynamic_stack 0
		.amdhsa_enable_private_segment 0
		.amdhsa_system_sgpr_workgroup_id_x 1
		.amdhsa_system_sgpr_workgroup_id_y 0
		.amdhsa_system_sgpr_workgroup_id_z 0
		.amdhsa_system_sgpr_workgroup_info 0
		.amdhsa_system_vgpr_workitem_id 0
		.amdhsa_next_free_vgpr 1
		.amdhsa_next_free_sgpr 1
		.amdhsa_reserve_vcc 0
		.amdhsa_float_round_mode_32 0
		.amdhsa_float_round_mode_16_64 0
		.amdhsa_float_denorm_mode_32 3
		.amdhsa_float_denorm_mode_16_64 3
		.amdhsa_dx10_clamp 1
		.amdhsa_ieee_mode 1
		.amdhsa_fp16_overflow 0
		.amdhsa_workgroup_processor_mode 1
		.amdhsa_memory_ordered 1
		.amdhsa_forward_progress 0
		.amdhsa_shared_vgpr_count 0
		.amdhsa_exception_fp_ieee_invalid_op 0
		.amdhsa_exception_fp_denorm_src 0
		.amdhsa_exception_fp_ieee_div_zero 0
		.amdhsa_exception_fp_ieee_overflow 0
		.amdhsa_exception_fp_ieee_underflow 0
		.amdhsa_exception_fp_ieee_inexact 0
		.amdhsa_exception_int_div_zero 0
	.end_amdhsa_kernel
	.section	.text._ZN7rocprim17ROCPRIM_400000_NS6detail17trampoline_kernelINS0_14default_configENS1_35adjacent_difference_config_selectorILb1EdEEZNS1_24adjacent_difference_implIS3_Lb1ELb0EPKdPdN6thrust23THRUST_200600_302600_NS4plusIdEEEE10hipError_tPvRmT2_T3_mT4_P12ihipStream_tbEUlT_E_NS1_11comp_targetILNS1_3genE0ELNS1_11target_archE4294967295ELNS1_3gpuE0ELNS1_3repE0EEENS1_30default_config_static_selectorELNS0_4arch9wavefront6targetE0EEEvT1_,"axG",@progbits,_ZN7rocprim17ROCPRIM_400000_NS6detail17trampoline_kernelINS0_14default_configENS1_35adjacent_difference_config_selectorILb1EdEEZNS1_24adjacent_difference_implIS3_Lb1ELb0EPKdPdN6thrust23THRUST_200600_302600_NS4plusIdEEEE10hipError_tPvRmT2_T3_mT4_P12ihipStream_tbEUlT_E_NS1_11comp_targetILNS1_3genE0ELNS1_11target_archE4294967295ELNS1_3gpuE0ELNS1_3repE0EEENS1_30default_config_static_selectorELNS0_4arch9wavefront6targetE0EEEvT1_,comdat
.Lfunc_end590:
	.size	_ZN7rocprim17ROCPRIM_400000_NS6detail17trampoline_kernelINS0_14default_configENS1_35adjacent_difference_config_selectorILb1EdEEZNS1_24adjacent_difference_implIS3_Lb1ELb0EPKdPdN6thrust23THRUST_200600_302600_NS4plusIdEEEE10hipError_tPvRmT2_T3_mT4_P12ihipStream_tbEUlT_E_NS1_11comp_targetILNS1_3genE0ELNS1_11target_archE4294967295ELNS1_3gpuE0ELNS1_3repE0EEENS1_30default_config_static_selectorELNS0_4arch9wavefront6targetE0EEEvT1_, .Lfunc_end590-_ZN7rocprim17ROCPRIM_400000_NS6detail17trampoline_kernelINS0_14default_configENS1_35adjacent_difference_config_selectorILb1EdEEZNS1_24adjacent_difference_implIS3_Lb1ELb0EPKdPdN6thrust23THRUST_200600_302600_NS4plusIdEEEE10hipError_tPvRmT2_T3_mT4_P12ihipStream_tbEUlT_E_NS1_11comp_targetILNS1_3genE0ELNS1_11target_archE4294967295ELNS1_3gpuE0ELNS1_3repE0EEENS1_30default_config_static_selectorELNS0_4arch9wavefront6targetE0EEEvT1_
                                        ; -- End function
	.section	.AMDGPU.csdata,"",@progbits
; Kernel info:
; codeLenInByte = 0
; NumSgprs: 0
; NumVgprs: 0
; ScratchSize: 0
; MemoryBound: 0
; FloatMode: 240
; IeeeMode: 1
; LDSByteSize: 0 bytes/workgroup (compile time only)
; SGPRBlocks: 0
; VGPRBlocks: 0
; NumSGPRsForWavesPerEU: 1
; NumVGPRsForWavesPerEU: 1
; Occupancy: 16
; WaveLimiterHint : 0
; COMPUTE_PGM_RSRC2:SCRATCH_EN: 0
; COMPUTE_PGM_RSRC2:USER_SGPR: 15
; COMPUTE_PGM_RSRC2:TRAP_HANDLER: 0
; COMPUTE_PGM_RSRC2:TGID_X_EN: 1
; COMPUTE_PGM_RSRC2:TGID_Y_EN: 0
; COMPUTE_PGM_RSRC2:TGID_Z_EN: 0
; COMPUTE_PGM_RSRC2:TIDIG_COMP_CNT: 0
	.section	.text._ZN7rocprim17ROCPRIM_400000_NS6detail17trampoline_kernelINS0_14default_configENS1_35adjacent_difference_config_selectorILb1EdEEZNS1_24adjacent_difference_implIS3_Lb1ELb0EPKdPdN6thrust23THRUST_200600_302600_NS4plusIdEEEE10hipError_tPvRmT2_T3_mT4_P12ihipStream_tbEUlT_E_NS1_11comp_targetILNS1_3genE10ELNS1_11target_archE1201ELNS1_3gpuE5ELNS1_3repE0EEENS1_30default_config_static_selectorELNS0_4arch9wavefront6targetE0EEEvT1_,"axG",@progbits,_ZN7rocprim17ROCPRIM_400000_NS6detail17trampoline_kernelINS0_14default_configENS1_35adjacent_difference_config_selectorILb1EdEEZNS1_24adjacent_difference_implIS3_Lb1ELb0EPKdPdN6thrust23THRUST_200600_302600_NS4plusIdEEEE10hipError_tPvRmT2_T3_mT4_P12ihipStream_tbEUlT_E_NS1_11comp_targetILNS1_3genE10ELNS1_11target_archE1201ELNS1_3gpuE5ELNS1_3repE0EEENS1_30default_config_static_selectorELNS0_4arch9wavefront6targetE0EEEvT1_,comdat
	.protected	_ZN7rocprim17ROCPRIM_400000_NS6detail17trampoline_kernelINS0_14default_configENS1_35adjacent_difference_config_selectorILb1EdEEZNS1_24adjacent_difference_implIS3_Lb1ELb0EPKdPdN6thrust23THRUST_200600_302600_NS4plusIdEEEE10hipError_tPvRmT2_T3_mT4_P12ihipStream_tbEUlT_E_NS1_11comp_targetILNS1_3genE10ELNS1_11target_archE1201ELNS1_3gpuE5ELNS1_3repE0EEENS1_30default_config_static_selectorELNS0_4arch9wavefront6targetE0EEEvT1_ ; -- Begin function _ZN7rocprim17ROCPRIM_400000_NS6detail17trampoline_kernelINS0_14default_configENS1_35adjacent_difference_config_selectorILb1EdEEZNS1_24adjacent_difference_implIS3_Lb1ELb0EPKdPdN6thrust23THRUST_200600_302600_NS4plusIdEEEE10hipError_tPvRmT2_T3_mT4_P12ihipStream_tbEUlT_E_NS1_11comp_targetILNS1_3genE10ELNS1_11target_archE1201ELNS1_3gpuE5ELNS1_3repE0EEENS1_30default_config_static_selectorELNS0_4arch9wavefront6targetE0EEEvT1_
	.globl	_ZN7rocprim17ROCPRIM_400000_NS6detail17trampoline_kernelINS0_14default_configENS1_35adjacent_difference_config_selectorILb1EdEEZNS1_24adjacent_difference_implIS3_Lb1ELb0EPKdPdN6thrust23THRUST_200600_302600_NS4plusIdEEEE10hipError_tPvRmT2_T3_mT4_P12ihipStream_tbEUlT_E_NS1_11comp_targetILNS1_3genE10ELNS1_11target_archE1201ELNS1_3gpuE5ELNS1_3repE0EEENS1_30default_config_static_selectorELNS0_4arch9wavefront6targetE0EEEvT1_
	.p2align	8
	.type	_ZN7rocprim17ROCPRIM_400000_NS6detail17trampoline_kernelINS0_14default_configENS1_35adjacent_difference_config_selectorILb1EdEEZNS1_24adjacent_difference_implIS3_Lb1ELb0EPKdPdN6thrust23THRUST_200600_302600_NS4plusIdEEEE10hipError_tPvRmT2_T3_mT4_P12ihipStream_tbEUlT_E_NS1_11comp_targetILNS1_3genE10ELNS1_11target_archE1201ELNS1_3gpuE5ELNS1_3repE0EEENS1_30default_config_static_selectorELNS0_4arch9wavefront6targetE0EEEvT1_,@function
_ZN7rocprim17ROCPRIM_400000_NS6detail17trampoline_kernelINS0_14default_configENS1_35adjacent_difference_config_selectorILb1EdEEZNS1_24adjacent_difference_implIS3_Lb1ELb0EPKdPdN6thrust23THRUST_200600_302600_NS4plusIdEEEE10hipError_tPvRmT2_T3_mT4_P12ihipStream_tbEUlT_E_NS1_11comp_targetILNS1_3genE10ELNS1_11target_archE1201ELNS1_3gpuE5ELNS1_3repE0EEENS1_30default_config_static_selectorELNS0_4arch9wavefront6targetE0EEEvT1_: ; @_ZN7rocprim17ROCPRIM_400000_NS6detail17trampoline_kernelINS0_14default_configENS1_35adjacent_difference_config_selectorILb1EdEEZNS1_24adjacent_difference_implIS3_Lb1ELb0EPKdPdN6thrust23THRUST_200600_302600_NS4plusIdEEEE10hipError_tPvRmT2_T3_mT4_P12ihipStream_tbEUlT_E_NS1_11comp_targetILNS1_3genE10ELNS1_11target_archE1201ELNS1_3gpuE5ELNS1_3repE0EEENS1_30default_config_static_selectorELNS0_4arch9wavefront6targetE0EEEvT1_
; %bb.0:
	.section	.rodata,"a",@progbits
	.p2align	6, 0x0
	.amdhsa_kernel _ZN7rocprim17ROCPRIM_400000_NS6detail17trampoline_kernelINS0_14default_configENS1_35adjacent_difference_config_selectorILb1EdEEZNS1_24adjacent_difference_implIS3_Lb1ELb0EPKdPdN6thrust23THRUST_200600_302600_NS4plusIdEEEE10hipError_tPvRmT2_T3_mT4_P12ihipStream_tbEUlT_E_NS1_11comp_targetILNS1_3genE10ELNS1_11target_archE1201ELNS1_3gpuE5ELNS1_3repE0EEENS1_30default_config_static_selectorELNS0_4arch9wavefront6targetE0EEEvT1_
		.amdhsa_group_segment_fixed_size 0
		.amdhsa_private_segment_fixed_size 0
		.amdhsa_kernarg_size 56
		.amdhsa_user_sgpr_count 15
		.amdhsa_user_sgpr_dispatch_ptr 0
		.amdhsa_user_sgpr_queue_ptr 0
		.amdhsa_user_sgpr_kernarg_segment_ptr 1
		.amdhsa_user_sgpr_dispatch_id 0
		.amdhsa_user_sgpr_private_segment_size 0
		.amdhsa_wavefront_size32 1
		.amdhsa_uses_dynamic_stack 0
		.amdhsa_enable_private_segment 0
		.amdhsa_system_sgpr_workgroup_id_x 1
		.amdhsa_system_sgpr_workgroup_id_y 0
		.amdhsa_system_sgpr_workgroup_id_z 0
		.amdhsa_system_sgpr_workgroup_info 0
		.amdhsa_system_vgpr_workitem_id 0
		.amdhsa_next_free_vgpr 1
		.amdhsa_next_free_sgpr 1
		.amdhsa_reserve_vcc 0
		.amdhsa_float_round_mode_32 0
		.amdhsa_float_round_mode_16_64 0
		.amdhsa_float_denorm_mode_32 3
		.amdhsa_float_denorm_mode_16_64 3
		.amdhsa_dx10_clamp 1
		.amdhsa_ieee_mode 1
		.amdhsa_fp16_overflow 0
		.amdhsa_workgroup_processor_mode 1
		.amdhsa_memory_ordered 1
		.amdhsa_forward_progress 0
		.amdhsa_shared_vgpr_count 0
		.amdhsa_exception_fp_ieee_invalid_op 0
		.amdhsa_exception_fp_denorm_src 0
		.amdhsa_exception_fp_ieee_div_zero 0
		.amdhsa_exception_fp_ieee_overflow 0
		.amdhsa_exception_fp_ieee_underflow 0
		.amdhsa_exception_fp_ieee_inexact 0
		.amdhsa_exception_int_div_zero 0
	.end_amdhsa_kernel
	.section	.text._ZN7rocprim17ROCPRIM_400000_NS6detail17trampoline_kernelINS0_14default_configENS1_35adjacent_difference_config_selectorILb1EdEEZNS1_24adjacent_difference_implIS3_Lb1ELb0EPKdPdN6thrust23THRUST_200600_302600_NS4plusIdEEEE10hipError_tPvRmT2_T3_mT4_P12ihipStream_tbEUlT_E_NS1_11comp_targetILNS1_3genE10ELNS1_11target_archE1201ELNS1_3gpuE5ELNS1_3repE0EEENS1_30default_config_static_selectorELNS0_4arch9wavefront6targetE0EEEvT1_,"axG",@progbits,_ZN7rocprim17ROCPRIM_400000_NS6detail17trampoline_kernelINS0_14default_configENS1_35adjacent_difference_config_selectorILb1EdEEZNS1_24adjacent_difference_implIS3_Lb1ELb0EPKdPdN6thrust23THRUST_200600_302600_NS4plusIdEEEE10hipError_tPvRmT2_T3_mT4_P12ihipStream_tbEUlT_E_NS1_11comp_targetILNS1_3genE10ELNS1_11target_archE1201ELNS1_3gpuE5ELNS1_3repE0EEENS1_30default_config_static_selectorELNS0_4arch9wavefront6targetE0EEEvT1_,comdat
.Lfunc_end591:
	.size	_ZN7rocprim17ROCPRIM_400000_NS6detail17trampoline_kernelINS0_14default_configENS1_35adjacent_difference_config_selectorILb1EdEEZNS1_24adjacent_difference_implIS3_Lb1ELb0EPKdPdN6thrust23THRUST_200600_302600_NS4plusIdEEEE10hipError_tPvRmT2_T3_mT4_P12ihipStream_tbEUlT_E_NS1_11comp_targetILNS1_3genE10ELNS1_11target_archE1201ELNS1_3gpuE5ELNS1_3repE0EEENS1_30default_config_static_selectorELNS0_4arch9wavefront6targetE0EEEvT1_, .Lfunc_end591-_ZN7rocprim17ROCPRIM_400000_NS6detail17trampoline_kernelINS0_14default_configENS1_35adjacent_difference_config_selectorILb1EdEEZNS1_24adjacent_difference_implIS3_Lb1ELb0EPKdPdN6thrust23THRUST_200600_302600_NS4plusIdEEEE10hipError_tPvRmT2_T3_mT4_P12ihipStream_tbEUlT_E_NS1_11comp_targetILNS1_3genE10ELNS1_11target_archE1201ELNS1_3gpuE5ELNS1_3repE0EEENS1_30default_config_static_selectorELNS0_4arch9wavefront6targetE0EEEvT1_
                                        ; -- End function
	.section	.AMDGPU.csdata,"",@progbits
; Kernel info:
; codeLenInByte = 0
; NumSgprs: 0
; NumVgprs: 0
; ScratchSize: 0
; MemoryBound: 0
; FloatMode: 240
; IeeeMode: 1
; LDSByteSize: 0 bytes/workgroup (compile time only)
; SGPRBlocks: 0
; VGPRBlocks: 0
; NumSGPRsForWavesPerEU: 1
; NumVGPRsForWavesPerEU: 1
; Occupancy: 16
; WaveLimiterHint : 0
; COMPUTE_PGM_RSRC2:SCRATCH_EN: 0
; COMPUTE_PGM_RSRC2:USER_SGPR: 15
; COMPUTE_PGM_RSRC2:TRAP_HANDLER: 0
; COMPUTE_PGM_RSRC2:TGID_X_EN: 1
; COMPUTE_PGM_RSRC2:TGID_Y_EN: 0
; COMPUTE_PGM_RSRC2:TGID_Z_EN: 0
; COMPUTE_PGM_RSRC2:TIDIG_COMP_CNT: 0
	.section	.text._ZN7rocprim17ROCPRIM_400000_NS6detail17trampoline_kernelINS0_14default_configENS1_35adjacent_difference_config_selectorILb1EdEEZNS1_24adjacent_difference_implIS3_Lb1ELb0EPKdPdN6thrust23THRUST_200600_302600_NS4plusIdEEEE10hipError_tPvRmT2_T3_mT4_P12ihipStream_tbEUlT_E_NS1_11comp_targetILNS1_3genE5ELNS1_11target_archE942ELNS1_3gpuE9ELNS1_3repE0EEENS1_30default_config_static_selectorELNS0_4arch9wavefront6targetE0EEEvT1_,"axG",@progbits,_ZN7rocprim17ROCPRIM_400000_NS6detail17trampoline_kernelINS0_14default_configENS1_35adjacent_difference_config_selectorILb1EdEEZNS1_24adjacent_difference_implIS3_Lb1ELb0EPKdPdN6thrust23THRUST_200600_302600_NS4plusIdEEEE10hipError_tPvRmT2_T3_mT4_P12ihipStream_tbEUlT_E_NS1_11comp_targetILNS1_3genE5ELNS1_11target_archE942ELNS1_3gpuE9ELNS1_3repE0EEENS1_30default_config_static_selectorELNS0_4arch9wavefront6targetE0EEEvT1_,comdat
	.protected	_ZN7rocprim17ROCPRIM_400000_NS6detail17trampoline_kernelINS0_14default_configENS1_35adjacent_difference_config_selectorILb1EdEEZNS1_24adjacent_difference_implIS3_Lb1ELb0EPKdPdN6thrust23THRUST_200600_302600_NS4plusIdEEEE10hipError_tPvRmT2_T3_mT4_P12ihipStream_tbEUlT_E_NS1_11comp_targetILNS1_3genE5ELNS1_11target_archE942ELNS1_3gpuE9ELNS1_3repE0EEENS1_30default_config_static_selectorELNS0_4arch9wavefront6targetE0EEEvT1_ ; -- Begin function _ZN7rocprim17ROCPRIM_400000_NS6detail17trampoline_kernelINS0_14default_configENS1_35adjacent_difference_config_selectorILb1EdEEZNS1_24adjacent_difference_implIS3_Lb1ELb0EPKdPdN6thrust23THRUST_200600_302600_NS4plusIdEEEE10hipError_tPvRmT2_T3_mT4_P12ihipStream_tbEUlT_E_NS1_11comp_targetILNS1_3genE5ELNS1_11target_archE942ELNS1_3gpuE9ELNS1_3repE0EEENS1_30default_config_static_selectorELNS0_4arch9wavefront6targetE0EEEvT1_
	.globl	_ZN7rocprim17ROCPRIM_400000_NS6detail17trampoline_kernelINS0_14default_configENS1_35adjacent_difference_config_selectorILb1EdEEZNS1_24adjacent_difference_implIS3_Lb1ELb0EPKdPdN6thrust23THRUST_200600_302600_NS4plusIdEEEE10hipError_tPvRmT2_T3_mT4_P12ihipStream_tbEUlT_E_NS1_11comp_targetILNS1_3genE5ELNS1_11target_archE942ELNS1_3gpuE9ELNS1_3repE0EEENS1_30default_config_static_selectorELNS0_4arch9wavefront6targetE0EEEvT1_
	.p2align	8
	.type	_ZN7rocprim17ROCPRIM_400000_NS6detail17trampoline_kernelINS0_14default_configENS1_35adjacent_difference_config_selectorILb1EdEEZNS1_24adjacent_difference_implIS3_Lb1ELb0EPKdPdN6thrust23THRUST_200600_302600_NS4plusIdEEEE10hipError_tPvRmT2_T3_mT4_P12ihipStream_tbEUlT_E_NS1_11comp_targetILNS1_3genE5ELNS1_11target_archE942ELNS1_3gpuE9ELNS1_3repE0EEENS1_30default_config_static_selectorELNS0_4arch9wavefront6targetE0EEEvT1_,@function
_ZN7rocprim17ROCPRIM_400000_NS6detail17trampoline_kernelINS0_14default_configENS1_35adjacent_difference_config_selectorILb1EdEEZNS1_24adjacent_difference_implIS3_Lb1ELb0EPKdPdN6thrust23THRUST_200600_302600_NS4plusIdEEEE10hipError_tPvRmT2_T3_mT4_P12ihipStream_tbEUlT_E_NS1_11comp_targetILNS1_3genE5ELNS1_11target_archE942ELNS1_3gpuE9ELNS1_3repE0EEENS1_30default_config_static_selectorELNS0_4arch9wavefront6targetE0EEEvT1_: ; @_ZN7rocprim17ROCPRIM_400000_NS6detail17trampoline_kernelINS0_14default_configENS1_35adjacent_difference_config_selectorILb1EdEEZNS1_24adjacent_difference_implIS3_Lb1ELb0EPKdPdN6thrust23THRUST_200600_302600_NS4plusIdEEEE10hipError_tPvRmT2_T3_mT4_P12ihipStream_tbEUlT_E_NS1_11comp_targetILNS1_3genE5ELNS1_11target_archE942ELNS1_3gpuE9ELNS1_3repE0EEENS1_30default_config_static_selectorELNS0_4arch9wavefront6targetE0EEEvT1_
; %bb.0:
	.section	.rodata,"a",@progbits
	.p2align	6, 0x0
	.amdhsa_kernel _ZN7rocprim17ROCPRIM_400000_NS6detail17trampoline_kernelINS0_14default_configENS1_35adjacent_difference_config_selectorILb1EdEEZNS1_24adjacent_difference_implIS3_Lb1ELb0EPKdPdN6thrust23THRUST_200600_302600_NS4plusIdEEEE10hipError_tPvRmT2_T3_mT4_P12ihipStream_tbEUlT_E_NS1_11comp_targetILNS1_3genE5ELNS1_11target_archE942ELNS1_3gpuE9ELNS1_3repE0EEENS1_30default_config_static_selectorELNS0_4arch9wavefront6targetE0EEEvT1_
		.amdhsa_group_segment_fixed_size 0
		.amdhsa_private_segment_fixed_size 0
		.amdhsa_kernarg_size 56
		.amdhsa_user_sgpr_count 15
		.amdhsa_user_sgpr_dispatch_ptr 0
		.amdhsa_user_sgpr_queue_ptr 0
		.amdhsa_user_sgpr_kernarg_segment_ptr 1
		.amdhsa_user_sgpr_dispatch_id 0
		.amdhsa_user_sgpr_private_segment_size 0
		.amdhsa_wavefront_size32 1
		.amdhsa_uses_dynamic_stack 0
		.amdhsa_enable_private_segment 0
		.amdhsa_system_sgpr_workgroup_id_x 1
		.amdhsa_system_sgpr_workgroup_id_y 0
		.amdhsa_system_sgpr_workgroup_id_z 0
		.amdhsa_system_sgpr_workgroup_info 0
		.amdhsa_system_vgpr_workitem_id 0
		.amdhsa_next_free_vgpr 1
		.amdhsa_next_free_sgpr 1
		.amdhsa_reserve_vcc 0
		.amdhsa_float_round_mode_32 0
		.amdhsa_float_round_mode_16_64 0
		.amdhsa_float_denorm_mode_32 3
		.amdhsa_float_denorm_mode_16_64 3
		.amdhsa_dx10_clamp 1
		.amdhsa_ieee_mode 1
		.amdhsa_fp16_overflow 0
		.amdhsa_workgroup_processor_mode 1
		.amdhsa_memory_ordered 1
		.amdhsa_forward_progress 0
		.amdhsa_shared_vgpr_count 0
		.amdhsa_exception_fp_ieee_invalid_op 0
		.amdhsa_exception_fp_denorm_src 0
		.amdhsa_exception_fp_ieee_div_zero 0
		.amdhsa_exception_fp_ieee_overflow 0
		.amdhsa_exception_fp_ieee_underflow 0
		.amdhsa_exception_fp_ieee_inexact 0
		.amdhsa_exception_int_div_zero 0
	.end_amdhsa_kernel
	.section	.text._ZN7rocprim17ROCPRIM_400000_NS6detail17trampoline_kernelINS0_14default_configENS1_35adjacent_difference_config_selectorILb1EdEEZNS1_24adjacent_difference_implIS3_Lb1ELb0EPKdPdN6thrust23THRUST_200600_302600_NS4plusIdEEEE10hipError_tPvRmT2_T3_mT4_P12ihipStream_tbEUlT_E_NS1_11comp_targetILNS1_3genE5ELNS1_11target_archE942ELNS1_3gpuE9ELNS1_3repE0EEENS1_30default_config_static_selectorELNS0_4arch9wavefront6targetE0EEEvT1_,"axG",@progbits,_ZN7rocprim17ROCPRIM_400000_NS6detail17trampoline_kernelINS0_14default_configENS1_35adjacent_difference_config_selectorILb1EdEEZNS1_24adjacent_difference_implIS3_Lb1ELb0EPKdPdN6thrust23THRUST_200600_302600_NS4plusIdEEEE10hipError_tPvRmT2_T3_mT4_P12ihipStream_tbEUlT_E_NS1_11comp_targetILNS1_3genE5ELNS1_11target_archE942ELNS1_3gpuE9ELNS1_3repE0EEENS1_30default_config_static_selectorELNS0_4arch9wavefront6targetE0EEEvT1_,comdat
.Lfunc_end592:
	.size	_ZN7rocprim17ROCPRIM_400000_NS6detail17trampoline_kernelINS0_14default_configENS1_35adjacent_difference_config_selectorILb1EdEEZNS1_24adjacent_difference_implIS3_Lb1ELb0EPKdPdN6thrust23THRUST_200600_302600_NS4plusIdEEEE10hipError_tPvRmT2_T3_mT4_P12ihipStream_tbEUlT_E_NS1_11comp_targetILNS1_3genE5ELNS1_11target_archE942ELNS1_3gpuE9ELNS1_3repE0EEENS1_30default_config_static_selectorELNS0_4arch9wavefront6targetE0EEEvT1_, .Lfunc_end592-_ZN7rocprim17ROCPRIM_400000_NS6detail17trampoline_kernelINS0_14default_configENS1_35adjacent_difference_config_selectorILb1EdEEZNS1_24adjacent_difference_implIS3_Lb1ELb0EPKdPdN6thrust23THRUST_200600_302600_NS4plusIdEEEE10hipError_tPvRmT2_T3_mT4_P12ihipStream_tbEUlT_E_NS1_11comp_targetILNS1_3genE5ELNS1_11target_archE942ELNS1_3gpuE9ELNS1_3repE0EEENS1_30default_config_static_selectorELNS0_4arch9wavefront6targetE0EEEvT1_
                                        ; -- End function
	.section	.AMDGPU.csdata,"",@progbits
; Kernel info:
; codeLenInByte = 0
; NumSgprs: 0
; NumVgprs: 0
; ScratchSize: 0
; MemoryBound: 0
; FloatMode: 240
; IeeeMode: 1
; LDSByteSize: 0 bytes/workgroup (compile time only)
; SGPRBlocks: 0
; VGPRBlocks: 0
; NumSGPRsForWavesPerEU: 1
; NumVGPRsForWavesPerEU: 1
; Occupancy: 16
; WaveLimiterHint : 0
; COMPUTE_PGM_RSRC2:SCRATCH_EN: 0
; COMPUTE_PGM_RSRC2:USER_SGPR: 15
; COMPUTE_PGM_RSRC2:TRAP_HANDLER: 0
; COMPUTE_PGM_RSRC2:TGID_X_EN: 1
; COMPUTE_PGM_RSRC2:TGID_Y_EN: 0
; COMPUTE_PGM_RSRC2:TGID_Z_EN: 0
; COMPUTE_PGM_RSRC2:TIDIG_COMP_CNT: 0
	.section	.text._ZN7rocprim17ROCPRIM_400000_NS6detail17trampoline_kernelINS0_14default_configENS1_35adjacent_difference_config_selectorILb1EdEEZNS1_24adjacent_difference_implIS3_Lb1ELb0EPKdPdN6thrust23THRUST_200600_302600_NS4plusIdEEEE10hipError_tPvRmT2_T3_mT4_P12ihipStream_tbEUlT_E_NS1_11comp_targetILNS1_3genE4ELNS1_11target_archE910ELNS1_3gpuE8ELNS1_3repE0EEENS1_30default_config_static_selectorELNS0_4arch9wavefront6targetE0EEEvT1_,"axG",@progbits,_ZN7rocprim17ROCPRIM_400000_NS6detail17trampoline_kernelINS0_14default_configENS1_35adjacent_difference_config_selectorILb1EdEEZNS1_24adjacent_difference_implIS3_Lb1ELb0EPKdPdN6thrust23THRUST_200600_302600_NS4plusIdEEEE10hipError_tPvRmT2_T3_mT4_P12ihipStream_tbEUlT_E_NS1_11comp_targetILNS1_3genE4ELNS1_11target_archE910ELNS1_3gpuE8ELNS1_3repE0EEENS1_30default_config_static_selectorELNS0_4arch9wavefront6targetE0EEEvT1_,comdat
	.protected	_ZN7rocprim17ROCPRIM_400000_NS6detail17trampoline_kernelINS0_14default_configENS1_35adjacent_difference_config_selectorILb1EdEEZNS1_24adjacent_difference_implIS3_Lb1ELb0EPKdPdN6thrust23THRUST_200600_302600_NS4plusIdEEEE10hipError_tPvRmT2_T3_mT4_P12ihipStream_tbEUlT_E_NS1_11comp_targetILNS1_3genE4ELNS1_11target_archE910ELNS1_3gpuE8ELNS1_3repE0EEENS1_30default_config_static_selectorELNS0_4arch9wavefront6targetE0EEEvT1_ ; -- Begin function _ZN7rocprim17ROCPRIM_400000_NS6detail17trampoline_kernelINS0_14default_configENS1_35adjacent_difference_config_selectorILb1EdEEZNS1_24adjacent_difference_implIS3_Lb1ELb0EPKdPdN6thrust23THRUST_200600_302600_NS4plusIdEEEE10hipError_tPvRmT2_T3_mT4_P12ihipStream_tbEUlT_E_NS1_11comp_targetILNS1_3genE4ELNS1_11target_archE910ELNS1_3gpuE8ELNS1_3repE0EEENS1_30default_config_static_selectorELNS0_4arch9wavefront6targetE0EEEvT1_
	.globl	_ZN7rocprim17ROCPRIM_400000_NS6detail17trampoline_kernelINS0_14default_configENS1_35adjacent_difference_config_selectorILb1EdEEZNS1_24adjacent_difference_implIS3_Lb1ELb0EPKdPdN6thrust23THRUST_200600_302600_NS4plusIdEEEE10hipError_tPvRmT2_T3_mT4_P12ihipStream_tbEUlT_E_NS1_11comp_targetILNS1_3genE4ELNS1_11target_archE910ELNS1_3gpuE8ELNS1_3repE0EEENS1_30default_config_static_selectorELNS0_4arch9wavefront6targetE0EEEvT1_
	.p2align	8
	.type	_ZN7rocprim17ROCPRIM_400000_NS6detail17trampoline_kernelINS0_14default_configENS1_35adjacent_difference_config_selectorILb1EdEEZNS1_24adjacent_difference_implIS3_Lb1ELb0EPKdPdN6thrust23THRUST_200600_302600_NS4plusIdEEEE10hipError_tPvRmT2_T3_mT4_P12ihipStream_tbEUlT_E_NS1_11comp_targetILNS1_3genE4ELNS1_11target_archE910ELNS1_3gpuE8ELNS1_3repE0EEENS1_30default_config_static_selectorELNS0_4arch9wavefront6targetE0EEEvT1_,@function
_ZN7rocprim17ROCPRIM_400000_NS6detail17trampoline_kernelINS0_14default_configENS1_35adjacent_difference_config_selectorILb1EdEEZNS1_24adjacent_difference_implIS3_Lb1ELb0EPKdPdN6thrust23THRUST_200600_302600_NS4plusIdEEEE10hipError_tPvRmT2_T3_mT4_P12ihipStream_tbEUlT_E_NS1_11comp_targetILNS1_3genE4ELNS1_11target_archE910ELNS1_3gpuE8ELNS1_3repE0EEENS1_30default_config_static_selectorELNS0_4arch9wavefront6targetE0EEEvT1_: ; @_ZN7rocprim17ROCPRIM_400000_NS6detail17trampoline_kernelINS0_14default_configENS1_35adjacent_difference_config_selectorILb1EdEEZNS1_24adjacent_difference_implIS3_Lb1ELb0EPKdPdN6thrust23THRUST_200600_302600_NS4plusIdEEEE10hipError_tPvRmT2_T3_mT4_P12ihipStream_tbEUlT_E_NS1_11comp_targetILNS1_3genE4ELNS1_11target_archE910ELNS1_3gpuE8ELNS1_3repE0EEENS1_30default_config_static_selectorELNS0_4arch9wavefront6targetE0EEEvT1_
; %bb.0:
	.section	.rodata,"a",@progbits
	.p2align	6, 0x0
	.amdhsa_kernel _ZN7rocprim17ROCPRIM_400000_NS6detail17trampoline_kernelINS0_14default_configENS1_35adjacent_difference_config_selectorILb1EdEEZNS1_24adjacent_difference_implIS3_Lb1ELb0EPKdPdN6thrust23THRUST_200600_302600_NS4plusIdEEEE10hipError_tPvRmT2_T3_mT4_P12ihipStream_tbEUlT_E_NS1_11comp_targetILNS1_3genE4ELNS1_11target_archE910ELNS1_3gpuE8ELNS1_3repE0EEENS1_30default_config_static_selectorELNS0_4arch9wavefront6targetE0EEEvT1_
		.amdhsa_group_segment_fixed_size 0
		.amdhsa_private_segment_fixed_size 0
		.amdhsa_kernarg_size 56
		.amdhsa_user_sgpr_count 15
		.amdhsa_user_sgpr_dispatch_ptr 0
		.amdhsa_user_sgpr_queue_ptr 0
		.amdhsa_user_sgpr_kernarg_segment_ptr 1
		.amdhsa_user_sgpr_dispatch_id 0
		.amdhsa_user_sgpr_private_segment_size 0
		.amdhsa_wavefront_size32 1
		.amdhsa_uses_dynamic_stack 0
		.amdhsa_enable_private_segment 0
		.amdhsa_system_sgpr_workgroup_id_x 1
		.amdhsa_system_sgpr_workgroup_id_y 0
		.amdhsa_system_sgpr_workgroup_id_z 0
		.amdhsa_system_sgpr_workgroup_info 0
		.amdhsa_system_vgpr_workitem_id 0
		.amdhsa_next_free_vgpr 1
		.amdhsa_next_free_sgpr 1
		.amdhsa_reserve_vcc 0
		.amdhsa_float_round_mode_32 0
		.amdhsa_float_round_mode_16_64 0
		.amdhsa_float_denorm_mode_32 3
		.amdhsa_float_denorm_mode_16_64 3
		.amdhsa_dx10_clamp 1
		.amdhsa_ieee_mode 1
		.amdhsa_fp16_overflow 0
		.amdhsa_workgroup_processor_mode 1
		.amdhsa_memory_ordered 1
		.amdhsa_forward_progress 0
		.amdhsa_shared_vgpr_count 0
		.amdhsa_exception_fp_ieee_invalid_op 0
		.amdhsa_exception_fp_denorm_src 0
		.amdhsa_exception_fp_ieee_div_zero 0
		.amdhsa_exception_fp_ieee_overflow 0
		.amdhsa_exception_fp_ieee_underflow 0
		.amdhsa_exception_fp_ieee_inexact 0
		.amdhsa_exception_int_div_zero 0
	.end_amdhsa_kernel
	.section	.text._ZN7rocprim17ROCPRIM_400000_NS6detail17trampoline_kernelINS0_14default_configENS1_35adjacent_difference_config_selectorILb1EdEEZNS1_24adjacent_difference_implIS3_Lb1ELb0EPKdPdN6thrust23THRUST_200600_302600_NS4plusIdEEEE10hipError_tPvRmT2_T3_mT4_P12ihipStream_tbEUlT_E_NS1_11comp_targetILNS1_3genE4ELNS1_11target_archE910ELNS1_3gpuE8ELNS1_3repE0EEENS1_30default_config_static_selectorELNS0_4arch9wavefront6targetE0EEEvT1_,"axG",@progbits,_ZN7rocprim17ROCPRIM_400000_NS6detail17trampoline_kernelINS0_14default_configENS1_35adjacent_difference_config_selectorILb1EdEEZNS1_24adjacent_difference_implIS3_Lb1ELb0EPKdPdN6thrust23THRUST_200600_302600_NS4plusIdEEEE10hipError_tPvRmT2_T3_mT4_P12ihipStream_tbEUlT_E_NS1_11comp_targetILNS1_3genE4ELNS1_11target_archE910ELNS1_3gpuE8ELNS1_3repE0EEENS1_30default_config_static_selectorELNS0_4arch9wavefront6targetE0EEEvT1_,comdat
.Lfunc_end593:
	.size	_ZN7rocprim17ROCPRIM_400000_NS6detail17trampoline_kernelINS0_14default_configENS1_35adjacent_difference_config_selectorILb1EdEEZNS1_24adjacent_difference_implIS3_Lb1ELb0EPKdPdN6thrust23THRUST_200600_302600_NS4plusIdEEEE10hipError_tPvRmT2_T3_mT4_P12ihipStream_tbEUlT_E_NS1_11comp_targetILNS1_3genE4ELNS1_11target_archE910ELNS1_3gpuE8ELNS1_3repE0EEENS1_30default_config_static_selectorELNS0_4arch9wavefront6targetE0EEEvT1_, .Lfunc_end593-_ZN7rocprim17ROCPRIM_400000_NS6detail17trampoline_kernelINS0_14default_configENS1_35adjacent_difference_config_selectorILb1EdEEZNS1_24adjacent_difference_implIS3_Lb1ELb0EPKdPdN6thrust23THRUST_200600_302600_NS4plusIdEEEE10hipError_tPvRmT2_T3_mT4_P12ihipStream_tbEUlT_E_NS1_11comp_targetILNS1_3genE4ELNS1_11target_archE910ELNS1_3gpuE8ELNS1_3repE0EEENS1_30default_config_static_selectorELNS0_4arch9wavefront6targetE0EEEvT1_
                                        ; -- End function
	.section	.AMDGPU.csdata,"",@progbits
; Kernel info:
; codeLenInByte = 0
; NumSgprs: 0
; NumVgprs: 0
; ScratchSize: 0
; MemoryBound: 0
; FloatMode: 240
; IeeeMode: 1
; LDSByteSize: 0 bytes/workgroup (compile time only)
; SGPRBlocks: 0
; VGPRBlocks: 0
; NumSGPRsForWavesPerEU: 1
; NumVGPRsForWavesPerEU: 1
; Occupancy: 16
; WaveLimiterHint : 0
; COMPUTE_PGM_RSRC2:SCRATCH_EN: 0
; COMPUTE_PGM_RSRC2:USER_SGPR: 15
; COMPUTE_PGM_RSRC2:TRAP_HANDLER: 0
; COMPUTE_PGM_RSRC2:TGID_X_EN: 1
; COMPUTE_PGM_RSRC2:TGID_Y_EN: 0
; COMPUTE_PGM_RSRC2:TGID_Z_EN: 0
; COMPUTE_PGM_RSRC2:TIDIG_COMP_CNT: 0
	.section	.text._ZN7rocprim17ROCPRIM_400000_NS6detail17trampoline_kernelINS0_14default_configENS1_35adjacent_difference_config_selectorILb1EdEEZNS1_24adjacent_difference_implIS3_Lb1ELb0EPKdPdN6thrust23THRUST_200600_302600_NS4plusIdEEEE10hipError_tPvRmT2_T3_mT4_P12ihipStream_tbEUlT_E_NS1_11comp_targetILNS1_3genE3ELNS1_11target_archE908ELNS1_3gpuE7ELNS1_3repE0EEENS1_30default_config_static_selectorELNS0_4arch9wavefront6targetE0EEEvT1_,"axG",@progbits,_ZN7rocprim17ROCPRIM_400000_NS6detail17trampoline_kernelINS0_14default_configENS1_35adjacent_difference_config_selectorILb1EdEEZNS1_24adjacent_difference_implIS3_Lb1ELb0EPKdPdN6thrust23THRUST_200600_302600_NS4plusIdEEEE10hipError_tPvRmT2_T3_mT4_P12ihipStream_tbEUlT_E_NS1_11comp_targetILNS1_3genE3ELNS1_11target_archE908ELNS1_3gpuE7ELNS1_3repE0EEENS1_30default_config_static_selectorELNS0_4arch9wavefront6targetE0EEEvT1_,comdat
	.protected	_ZN7rocprim17ROCPRIM_400000_NS6detail17trampoline_kernelINS0_14default_configENS1_35adjacent_difference_config_selectorILb1EdEEZNS1_24adjacent_difference_implIS3_Lb1ELb0EPKdPdN6thrust23THRUST_200600_302600_NS4plusIdEEEE10hipError_tPvRmT2_T3_mT4_P12ihipStream_tbEUlT_E_NS1_11comp_targetILNS1_3genE3ELNS1_11target_archE908ELNS1_3gpuE7ELNS1_3repE0EEENS1_30default_config_static_selectorELNS0_4arch9wavefront6targetE0EEEvT1_ ; -- Begin function _ZN7rocprim17ROCPRIM_400000_NS6detail17trampoline_kernelINS0_14default_configENS1_35adjacent_difference_config_selectorILb1EdEEZNS1_24adjacent_difference_implIS3_Lb1ELb0EPKdPdN6thrust23THRUST_200600_302600_NS4plusIdEEEE10hipError_tPvRmT2_T3_mT4_P12ihipStream_tbEUlT_E_NS1_11comp_targetILNS1_3genE3ELNS1_11target_archE908ELNS1_3gpuE7ELNS1_3repE0EEENS1_30default_config_static_selectorELNS0_4arch9wavefront6targetE0EEEvT1_
	.globl	_ZN7rocprim17ROCPRIM_400000_NS6detail17trampoline_kernelINS0_14default_configENS1_35adjacent_difference_config_selectorILb1EdEEZNS1_24adjacent_difference_implIS3_Lb1ELb0EPKdPdN6thrust23THRUST_200600_302600_NS4plusIdEEEE10hipError_tPvRmT2_T3_mT4_P12ihipStream_tbEUlT_E_NS1_11comp_targetILNS1_3genE3ELNS1_11target_archE908ELNS1_3gpuE7ELNS1_3repE0EEENS1_30default_config_static_selectorELNS0_4arch9wavefront6targetE0EEEvT1_
	.p2align	8
	.type	_ZN7rocprim17ROCPRIM_400000_NS6detail17trampoline_kernelINS0_14default_configENS1_35adjacent_difference_config_selectorILb1EdEEZNS1_24adjacent_difference_implIS3_Lb1ELb0EPKdPdN6thrust23THRUST_200600_302600_NS4plusIdEEEE10hipError_tPvRmT2_T3_mT4_P12ihipStream_tbEUlT_E_NS1_11comp_targetILNS1_3genE3ELNS1_11target_archE908ELNS1_3gpuE7ELNS1_3repE0EEENS1_30default_config_static_selectorELNS0_4arch9wavefront6targetE0EEEvT1_,@function
_ZN7rocprim17ROCPRIM_400000_NS6detail17trampoline_kernelINS0_14default_configENS1_35adjacent_difference_config_selectorILb1EdEEZNS1_24adjacent_difference_implIS3_Lb1ELb0EPKdPdN6thrust23THRUST_200600_302600_NS4plusIdEEEE10hipError_tPvRmT2_T3_mT4_P12ihipStream_tbEUlT_E_NS1_11comp_targetILNS1_3genE3ELNS1_11target_archE908ELNS1_3gpuE7ELNS1_3repE0EEENS1_30default_config_static_selectorELNS0_4arch9wavefront6targetE0EEEvT1_: ; @_ZN7rocprim17ROCPRIM_400000_NS6detail17trampoline_kernelINS0_14default_configENS1_35adjacent_difference_config_selectorILb1EdEEZNS1_24adjacent_difference_implIS3_Lb1ELb0EPKdPdN6thrust23THRUST_200600_302600_NS4plusIdEEEE10hipError_tPvRmT2_T3_mT4_P12ihipStream_tbEUlT_E_NS1_11comp_targetILNS1_3genE3ELNS1_11target_archE908ELNS1_3gpuE7ELNS1_3repE0EEENS1_30default_config_static_selectorELNS0_4arch9wavefront6targetE0EEEvT1_
; %bb.0:
	.section	.rodata,"a",@progbits
	.p2align	6, 0x0
	.amdhsa_kernel _ZN7rocprim17ROCPRIM_400000_NS6detail17trampoline_kernelINS0_14default_configENS1_35adjacent_difference_config_selectorILb1EdEEZNS1_24adjacent_difference_implIS3_Lb1ELb0EPKdPdN6thrust23THRUST_200600_302600_NS4plusIdEEEE10hipError_tPvRmT2_T3_mT4_P12ihipStream_tbEUlT_E_NS1_11comp_targetILNS1_3genE3ELNS1_11target_archE908ELNS1_3gpuE7ELNS1_3repE0EEENS1_30default_config_static_selectorELNS0_4arch9wavefront6targetE0EEEvT1_
		.amdhsa_group_segment_fixed_size 0
		.amdhsa_private_segment_fixed_size 0
		.amdhsa_kernarg_size 56
		.amdhsa_user_sgpr_count 15
		.amdhsa_user_sgpr_dispatch_ptr 0
		.amdhsa_user_sgpr_queue_ptr 0
		.amdhsa_user_sgpr_kernarg_segment_ptr 1
		.amdhsa_user_sgpr_dispatch_id 0
		.amdhsa_user_sgpr_private_segment_size 0
		.amdhsa_wavefront_size32 1
		.amdhsa_uses_dynamic_stack 0
		.amdhsa_enable_private_segment 0
		.amdhsa_system_sgpr_workgroup_id_x 1
		.amdhsa_system_sgpr_workgroup_id_y 0
		.amdhsa_system_sgpr_workgroup_id_z 0
		.amdhsa_system_sgpr_workgroup_info 0
		.amdhsa_system_vgpr_workitem_id 0
		.amdhsa_next_free_vgpr 1
		.amdhsa_next_free_sgpr 1
		.amdhsa_reserve_vcc 0
		.amdhsa_float_round_mode_32 0
		.amdhsa_float_round_mode_16_64 0
		.amdhsa_float_denorm_mode_32 3
		.amdhsa_float_denorm_mode_16_64 3
		.amdhsa_dx10_clamp 1
		.amdhsa_ieee_mode 1
		.amdhsa_fp16_overflow 0
		.amdhsa_workgroup_processor_mode 1
		.amdhsa_memory_ordered 1
		.amdhsa_forward_progress 0
		.amdhsa_shared_vgpr_count 0
		.amdhsa_exception_fp_ieee_invalid_op 0
		.amdhsa_exception_fp_denorm_src 0
		.amdhsa_exception_fp_ieee_div_zero 0
		.amdhsa_exception_fp_ieee_overflow 0
		.amdhsa_exception_fp_ieee_underflow 0
		.amdhsa_exception_fp_ieee_inexact 0
		.amdhsa_exception_int_div_zero 0
	.end_amdhsa_kernel
	.section	.text._ZN7rocprim17ROCPRIM_400000_NS6detail17trampoline_kernelINS0_14default_configENS1_35adjacent_difference_config_selectorILb1EdEEZNS1_24adjacent_difference_implIS3_Lb1ELb0EPKdPdN6thrust23THRUST_200600_302600_NS4plusIdEEEE10hipError_tPvRmT2_T3_mT4_P12ihipStream_tbEUlT_E_NS1_11comp_targetILNS1_3genE3ELNS1_11target_archE908ELNS1_3gpuE7ELNS1_3repE0EEENS1_30default_config_static_selectorELNS0_4arch9wavefront6targetE0EEEvT1_,"axG",@progbits,_ZN7rocprim17ROCPRIM_400000_NS6detail17trampoline_kernelINS0_14default_configENS1_35adjacent_difference_config_selectorILb1EdEEZNS1_24adjacent_difference_implIS3_Lb1ELb0EPKdPdN6thrust23THRUST_200600_302600_NS4plusIdEEEE10hipError_tPvRmT2_T3_mT4_P12ihipStream_tbEUlT_E_NS1_11comp_targetILNS1_3genE3ELNS1_11target_archE908ELNS1_3gpuE7ELNS1_3repE0EEENS1_30default_config_static_selectorELNS0_4arch9wavefront6targetE0EEEvT1_,comdat
.Lfunc_end594:
	.size	_ZN7rocprim17ROCPRIM_400000_NS6detail17trampoline_kernelINS0_14default_configENS1_35adjacent_difference_config_selectorILb1EdEEZNS1_24adjacent_difference_implIS3_Lb1ELb0EPKdPdN6thrust23THRUST_200600_302600_NS4plusIdEEEE10hipError_tPvRmT2_T3_mT4_P12ihipStream_tbEUlT_E_NS1_11comp_targetILNS1_3genE3ELNS1_11target_archE908ELNS1_3gpuE7ELNS1_3repE0EEENS1_30default_config_static_selectorELNS0_4arch9wavefront6targetE0EEEvT1_, .Lfunc_end594-_ZN7rocprim17ROCPRIM_400000_NS6detail17trampoline_kernelINS0_14default_configENS1_35adjacent_difference_config_selectorILb1EdEEZNS1_24adjacent_difference_implIS3_Lb1ELb0EPKdPdN6thrust23THRUST_200600_302600_NS4plusIdEEEE10hipError_tPvRmT2_T3_mT4_P12ihipStream_tbEUlT_E_NS1_11comp_targetILNS1_3genE3ELNS1_11target_archE908ELNS1_3gpuE7ELNS1_3repE0EEENS1_30default_config_static_selectorELNS0_4arch9wavefront6targetE0EEEvT1_
                                        ; -- End function
	.section	.AMDGPU.csdata,"",@progbits
; Kernel info:
; codeLenInByte = 0
; NumSgprs: 0
; NumVgprs: 0
; ScratchSize: 0
; MemoryBound: 0
; FloatMode: 240
; IeeeMode: 1
; LDSByteSize: 0 bytes/workgroup (compile time only)
; SGPRBlocks: 0
; VGPRBlocks: 0
; NumSGPRsForWavesPerEU: 1
; NumVGPRsForWavesPerEU: 1
; Occupancy: 16
; WaveLimiterHint : 0
; COMPUTE_PGM_RSRC2:SCRATCH_EN: 0
; COMPUTE_PGM_RSRC2:USER_SGPR: 15
; COMPUTE_PGM_RSRC2:TRAP_HANDLER: 0
; COMPUTE_PGM_RSRC2:TGID_X_EN: 1
; COMPUTE_PGM_RSRC2:TGID_Y_EN: 0
; COMPUTE_PGM_RSRC2:TGID_Z_EN: 0
; COMPUTE_PGM_RSRC2:TIDIG_COMP_CNT: 0
	.section	.text._ZN7rocprim17ROCPRIM_400000_NS6detail17trampoline_kernelINS0_14default_configENS1_35adjacent_difference_config_selectorILb1EdEEZNS1_24adjacent_difference_implIS3_Lb1ELb0EPKdPdN6thrust23THRUST_200600_302600_NS4plusIdEEEE10hipError_tPvRmT2_T3_mT4_P12ihipStream_tbEUlT_E_NS1_11comp_targetILNS1_3genE2ELNS1_11target_archE906ELNS1_3gpuE6ELNS1_3repE0EEENS1_30default_config_static_selectorELNS0_4arch9wavefront6targetE0EEEvT1_,"axG",@progbits,_ZN7rocprim17ROCPRIM_400000_NS6detail17trampoline_kernelINS0_14default_configENS1_35adjacent_difference_config_selectorILb1EdEEZNS1_24adjacent_difference_implIS3_Lb1ELb0EPKdPdN6thrust23THRUST_200600_302600_NS4plusIdEEEE10hipError_tPvRmT2_T3_mT4_P12ihipStream_tbEUlT_E_NS1_11comp_targetILNS1_3genE2ELNS1_11target_archE906ELNS1_3gpuE6ELNS1_3repE0EEENS1_30default_config_static_selectorELNS0_4arch9wavefront6targetE0EEEvT1_,comdat
	.protected	_ZN7rocprim17ROCPRIM_400000_NS6detail17trampoline_kernelINS0_14default_configENS1_35adjacent_difference_config_selectorILb1EdEEZNS1_24adjacent_difference_implIS3_Lb1ELb0EPKdPdN6thrust23THRUST_200600_302600_NS4plusIdEEEE10hipError_tPvRmT2_T3_mT4_P12ihipStream_tbEUlT_E_NS1_11comp_targetILNS1_3genE2ELNS1_11target_archE906ELNS1_3gpuE6ELNS1_3repE0EEENS1_30default_config_static_selectorELNS0_4arch9wavefront6targetE0EEEvT1_ ; -- Begin function _ZN7rocprim17ROCPRIM_400000_NS6detail17trampoline_kernelINS0_14default_configENS1_35adjacent_difference_config_selectorILb1EdEEZNS1_24adjacent_difference_implIS3_Lb1ELb0EPKdPdN6thrust23THRUST_200600_302600_NS4plusIdEEEE10hipError_tPvRmT2_T3_mT4_P12ihipStream_tbEUlT_E_NS1_11comp_targetILNS1_3genE2ELNS1_11target_archE906ELNS1_3gpuE6ELNS1_3repE0EEENS1_30default_config_static_selectorELNS0_4arch9wavefront6targetE0EEEvT1_
	.globl	_ZN7rocprim17ROCPRIM_400000_NS6detail17trampoline_kernelINS0_14default_configENS1_35adjacent_difference_config_selectorILb1EdEEZNS1_24adjacent_difference_implIS3_Lb1ELb0EPKdPdN6thrust23THRUST_200600_302600_NS4plusIdEEEE10hipError_tPvRmT2_T3_mT4_P12ihipStream_tbEUlT_E_NS1_11comp_targetILNS1_3genE2ELNS1_11target_archE906ELNS1_3gpuE6ELNS1_3repE0EEENS1_30default_config_static_selectorELNS0_4arch9wavefront6targetE0EEEvT1_
	.p2align	8
	.type	_ZN7rocprim17ROCPRIM_400000_NS6detail17trampoline_kernelINS0_14default_configENS1_35adjacent_difference_config_selectorILb1EdEEZNS1_24adjacent_difference_implIS3_Lb1ELb0EPKdPdN6thrust23THRUST_200600_302600_NS4plusIdEEEE10hipError_tPvRmT2_T3_mT4_P12ihipStream_tbEUlT_E_NS1_11comp_targetILNS1_3genE2ELNS1_11target_archE906ELNS1_3gpuE6ELNS1_3repE0EEENS1_30default_config_static_selectorELNS0_4arch9wavefront6targetE0EEEvT1_,@function
_ZN7rocprim17ROCPRIM_400000_NS6detail17trampoline_kernelINS0_14default_configENS1_35adjacent_difference_config_selectorILb1EdEEZNS1_24adjacent_difference_implIS3_Lb1ELb0EPKdPdN6thrust23THRUST_200600_302600_NS4plusIdEEEE10hipError_tPvRmT2_T3_mT4_P12ihipStream_tbEUlT_E_NS1_11comp_targetILNS1_3genE2ELNS1_11target_archE906ELNS1_3gpuE6ELNS1_3repE0EEENS1_30default_config_static_selectorELNS0_4arch9wavefront6targetE0EEEvT1_: ; @_ZN7rocprim17ROCPRIM_400000_NS6detail17trampoline_kernelINS0_14default_configENS1_35adjacent_difference_config_selectorILb1EdEEZNS1_24adjacent_difference_implIS3_Lb1ELb0EPKdPdN6thrust23THRUST_200600_302600_NS4plusIdEEEE10hipError_tPvRmT2_T3_mT4_P12ihipStream_tbEUlT_E_NS1_11comp_targetILNS1_3genE2ELNS1_11target_archE906ELNS1_3gpuE6ELNS1_3repE0EEENS1_30default_config_static_selectorELNS0_4arch9wavefront6targetE0EEEvT1_
; %bb.0:
	.section	.rodata,"a",@progbits
	.p2align	6, 0x0
	.amdhsa_kernel _ZN7rocprim17ROCPRIM_400000_NS6detail17trampoline_kernelINS0_14default_configENS1_35adjacent_difference_config_selectorILb1EdEEZNS1_24adjacent_difference_implIS3_Lb1ELb0EPKdPdN6thrust23THRUST_200600_302600_NS4plusIdEEEE10hipError_tPvRmT2_T3_mT4_P12ihipStream_tbEUlT_E_NS1_11comp_targetILNS1_3genE2ELNS1_11target_archE906ELNS1_3gpuE6ELNS1_3repE0EEENS1_30default_config_static_selectorELNS0_4arch9wavefront6targetE0EEEvT1_
		.amdhsa_group_segment_fixed_size 0
		.amdhsa_private_segment_fixed_size 0
		.amdhsa_kernarg_size 56
		.amdhsa_user_sgpr_count 15
		.amdhsa_user_sgpr_dispatch_ptr 0
		.amdhsa_user_sgpr_queue_ptr 0
		.amdhsa_user_sgpr_kernarg_segment_ptr 1
		.amdhsa_user_sgpr_dispatch_id 0
		.amdhsa_user_sgpr_private_segment_size 0
		.amdhsa_wavefront_size32 1
		.amdhsa_uses_dynamic_stack 0
		.amdhsa_enable_private_segment 0
		.amdhsa_system_sgpr_workgroup_id_x 1
		.amdhsa_system_sgpr_workgroup_id_y 0
		.amdhsa_system_sgpr_workgroup_id_z 0
		.amdhsa_system_sgpr_workgroup_info 0
		.amdhsa_system_vgpr_workitem_id 0
		.amdhsa_next_free_vgpr 1
		.amdhsa_next_free_sgpr 1
		.amdhsa_reserve_vcc 0
		.amdhsa_float_round_mode_32 0
		.amdhsa_float_round_mode_16_64 0
		.amdhsa_float_denorm_mode_32 3
		.amdhsa_float_denorm_mode_16_64 3
		.amdhsa_dx10_clamp 1
		.amdhsa_ieee_mode 1
		.amdhsa_fp16_overflow 0
		.amdhsa_workgroup_processor_mode 1
		.amdhsa_memory_ordered 1
		.amdhsa_forward_progress 0
		.amdhsa_shared_vgpr_count 0
		.amdhsa_exception_fp_ieee_invalid_op 0
		.amdhsa_exception_fp_denorm_src 0
		.amdhsa_exception_fp_ieee_div_zero 0
		.amdhsa_exception_fp_ieee_overflow 0
		.amdhsa_exception_fp_ieee_underflow 0
		.amdhsa_exception_fp_ieee_inexact 0
		.amdhsa_exception_int_div_zero 0
	.end_amdhsa_kernel
	.section	.text._ZN7rocprim17ROCPRIM_400000_NS6detail17trampoline_kernelINS0_14default_configENS1_35adjacent_difference_config_selectorILb1EdEEZNS1_24adjacent_difference_implIS3_Lb1ELb0EPKdPdN6thrust23THRUST_200600_302600_NS4plusIdEEEE10hipError_tPvRmT2_T3_mT4_P12ihipStream_tbEUlT_E_NS1_11comp_targetILNS1_3genE2ELNS1_11target_archE906ELNS1_3gpuE6ELNS1_3repE0EEENS1_30default_config_static_selectorELNS0_4arch9wavefront6targetE0EEEvT1_,"axG",@progbits,_ZN7rocprim17ROCPRIM_400000_NS6detail17trampoline_kernelINS0_14default_configENS1_35adjacent_difference_config_selectorILb1EdEEZNS1_24adjacent_difference_implIS3_Lb1ELb0EPKdPdN6thrust23THRUST_200600_302600_NS4plusIdEEEE10hipError_tPvRmT2_T3_mT4_P12ihipStream_tbEUlT_E_NS1_11comp_targetILNS1_3genE2ELNS1_11target_archE906ELNS1_3gpuE6ELNS1_3repE0EEENS1_30default_config_static_selectorELNS0_4arch9wavefront6targetE0EEEvT1_,comdat
.Lfunc_end595:
	.size	_ZN7rocprim17ROCPRIM_400000_NS6detail17trampoline_kernelINS0_14default_configENS1_35adjacent_difference_config_selectorILb1EdEEZNS1_24adjacent_difference_implIS3_Lb1ELb0EPKdPdN6thrust23THRUST_200600_302600_NS4plusIdEEEE10hipError_tPvRmT2_T3_mT4_P12ihipStream_tbEUlT_E_NS1_11comp_targetILNS1_3genE2ELNS1_11target_archE906ELNS1_3gpuE6ELNS1_3repE0EEENS1_30default_config_static_selectorELNS0_4arch9wavefront6targetE0EEEvT1_, .Lfunc_end595-_ZN7rocprim17ROCPRIM_400000_NS6detail17trampoline_kernelINS0_14default_configENS1_35adjacent_difference_config_selectorILb1EdEEZNS1_24adjacent_difference_implIS3_Lb1ELb0EPKdPdN6thrust23THRUST_200600_302600_NS4plusIdEEEE10hipError_tPvRmT2_T3_mT4_P12ihipStream_tbEUlT_E_NS1_11comp_targetILNS1_3genE2ELNS1_11target_archE906ELNS1_3gpuE6ELNS1_3repE0EEENS1_30default_config_static_selectorELNS0_4arch9wavefront6targetE0EEEvT1_
                                        ; -- End function
	.section	.AMDGPU.csdata,"",@progbits
; Kernel info:
; codeLenInByte = 0
; NumSgprs: 0
; NumVgprs: 0
; ScratchSize: 0
; MemoryBound: 0
; FloatMode: 240
; IeeeMode: 1
; LDSByteSize: 0 bytes/workgroup (compile time only)
; SGPRBlocks: 0
; VGPRBlocks: 0
; NumSGPRsForWavesPerEU: 1
; NumVGPRsForWavesPerEU: 1
; Occupancy: 16
; WaveLimiterHint : 0
; COMPUTE_PGM_RSRC2:SCRATCH_EN: 0
; COMPUTE_PGM_RSRC2:USER_SGPR: 15
; COMPUTE_PGM_RSRC2:TRAP_HANDLER: 0
; COMPUTE_PGM_RSRC2:TGID_X_EN: 1
; COMPUTE_PGM_RSRC2:TGID_Y_EN: 0
; COMPUTE_PGM_RSRC2:TGID_Z_EN: 0
; COMPUTE_PGM_RSRC2:TIDIG_COMP_CNT: 0
	.section	.text._ZN7rocprim17ROCPRIM_400000_NS6detail17trampoline_kernelINS0_14default_configENS1_35adjacent_difference_config_selectorILb1EdEEZNS1_24adjacent_difference_implIS3_Lb1ELb0EPKdPdN6thrust23THRUST_200600_302600_NS4plusIdEEEE10hipError_tPvRmT2_T3_mT4_P12ihipStream_tbEUlT_E_NS1_11comp_targetILNS1_3genE9ELNS1_11target_archE1100ELNS1_3gpuE3ELNS1_3repE0EEENS1_30default_config_static_selectorELNS0_4arch9wavefront6targetE0EEEvT1_,"axG",@progbits,_ZN7rocprim17ROCPRIM_400000_NS6detail17trampoline_kernelINS0_14default_configENS1_35adjacent_difference_config_selectorILb1EdEEZNS1_24adjacent_difference_implIS3_Lb1ELb0EPKdPdN6thrust23THRUST_200600_302600_NS4plusIdEEEE10hipError_tPvRmT2_T3_mT4_P12ihipStream_tbEUlT_E_NS1_11comp_targetILNS1_3genE9ELNS1_11target_archE1100ELNS1_3gpuE3ELNS1_3repE0EEENS1_30default_config_static_selectorELNS0_4arch9wavefront6targetE0EEEvT1_,comdat
	.protected	_ZN7rocprim17ROCPRIM_400000_NS6detail17trampoline_kernelINS0_14default_configENS1_35adjacent_difference_config_selectorILb1EdEEZNS1_24adjacent_difference_implIS3_Lb1ELb0EPKdPdN6thrust23THRUST_200600_302600_NS4plusIdEEEE10hipError_tPvRmT2_T3_mT4_P12ihipStream_tbEUlT_E_NS1_11comp_targetILNS1_3genE9ELNS1_11target_archE1100ELNS1_3gpuE3ELNS1_3repE0EEENS1_30default_config_static_selectorELNS0_4arch9wavefront6targetE0EEEvT1_ ; -- Begin function _ZN7rocprim17ROCPRIM_400000_NS6detail17trampoline_kernelINS0_14default_configENS1_35adjacent_difference_config_selectorILb1EdEEZNS1_24adjacent_difference_implIS3_Lb1ELb0EPKdPdN6thrust23THRUST_200600_302600_NS4plusIdEEEE10hipError_tPvRmT2_T3_mT4_P12ihipStream_tbEUlT_E_NS1_11comp_targetILNS1_3genE9ELNS1_11target_archE1100ELNS1_3gpuE3ELNS1_3repE0EEENS1_30default_config_static_selectorELNS0_4arch9wavefront6targetE0EEEvT1_
	.globl	_ZN7rocprim17ROCPRIM_400000_NS6detail17trampoline_kernelINS0_14default_configENS1_35adjacent_difference_config_selectorILb1EdEEZNS1_24adjacent_difference_implIS3_Lb1ELb0EPKdPdN6thrust23THRUST_200600_302600_NS4plusIdEEEE10hipError_tPvRmT2_T3_mT4_P12ihipStream_tbEUlT_E_NS1_11comp_targetILNS1_3genE9ELNS1_11target_archE1100ELNS1_3gpuE3ELNS1_3repE0EEENS1_30default_config_static_selectorELNS0_4arch9wavefront6targetE0EEEvT1_
	.p2align	8
	.type	_ZN7rocprim17ROCPRIM_400000_NS6detail17trampoline_kernelINS0_14default_configENS1_35adjacent_difference_config_selectorILb1EdEEZNS1_24adjacent_difference_implIS3_Lb1ELb0EPKdPdN6thrust23THRUST_200600_302600_NS4plusIdEEEE10hipError_tPvRmT2_T3_mT4_P12ihipStream_tbEUlT_E_NS1_11comp_targetILNS1_3genE9ELNS1_11target_archE1100ELNS1_3gpuE3ELNS1_3repE0EEENS1_30default_config_static_selectorELNS0_4arch9wavefront6targetE0EEEvT1_,@function
_ZN7rocprim17ROCPRIM_400000_NS6detail17trampoline_kernelINS0_14default_configENS1_35adjacent_difference_config_selectorILb1EdEEZNS1_24adjacent_difference_implIS3_Lb1ELb0EPKdPdN6thrust23THRUST_200600_302600_NS4plusIdEEEE10hipError_tPvRmT2_T3_mT4_P12ihipStream_tbEUlT_E_NS1_11comp_targetILNS1_3genE9ELNS1_11target_archE1100ELNS1_3gpuE3ELNS1_3repE0EEENS1_30default_config_static_selectorELNS0_4arch9wavefront6targetE0EEEvT1_: ; @_ZN7rocprim17ROCPRIM_400000_NS6detail17trampoline_kernelINS0_14default_configENS1_35adjacent_difference_config_selectorILb1EdEEZNS1_24adjacent_difference_implIS3_Lb1ELb0EPKdPdN6thrust23THRUST_200600_302600_NS4plusIdEEEE10hipError_tPvRmT2_T3_mT4_P12ihipStream_tbEUlT_E_NS1_11comp_targetILNS1_3genE9ELNS1_11target_archE1100ELNS1_3gpuE3ELNS1_3repE0EEENS1_30default_config_static_selectorELNS0_4arch9wavefront6targetE0EEEvT1_
; %bb.0:
	s_load_b256 s[4:11], s[0:1], 0x0
	s_mov_b32 s2, 0x411a7a30
	s_mov_b32 s16, s15
	s_waitcnt lgkmcnt(0)
	s_lshl_b64 s[12:13], s[6:7], 3
	s_delay_alu instid0(SALU_CYCLE_1) | instskip(SKIP_4) | instid1(VALU_DEP_1)
	s_add_u32 s23, s4, s12
	s_addc_u32 s24, s5, s13
	s_add_u32 s2, 0x76, s2
	s_addc_u32 s3, 0, 0
	v_add_co_u32 v1, s2, 0x20000000, s2
	s_cmp_lg_u32 s2, 0
	s_addc_u32 s3, s3, 0x11a7b9
	s_delay_alu instid0(VALU_DEP_1) | instskip(SKIP_1) | instid1(VALU_DEP_1)
	v_readfirstlane_b32 s2, v1
	s_mul_i32 s4, s3, 0xfffff180
	s_mul_hi_u32 s5, s2, 0xfffff180
	s_mul_i32 s6, s2, 0xfffff180
	s_sub_i32 s5, s5, s2
	s_mul_hi_u32 s7, s2, s6
	s_add_i32 s5, s5, s4
	s_mul_hi_u32 s14, s3, s6
	s_mul_i32 s4, s3, s6
	s_mul_hi_u32 s6, s2, s5
	s_mul_i32 s2, s2, s5
	s_mul_hi_u32 s15, s3, s5
	s_add_u32 s2, s7, s2
	s_addc_u32 s6, 0, s6
	s_add_u32 s2, s2, s4
	s_mul_i32 s5, s3, s5
	s_addc_u32 s2, s6, s14
	s_addc_u32 s4, s15, 0
	s_add_u32 s2, s2, s5
	s_addc_u32 s4, 0, s4
	v_add_co_u32 v1, s2, v1, s2
	s_delay_alu instid0(VALU_DEP_1) | instskip(SKIP_1) | instid1(VALU_DEP_1)
	s_cmp_lg_u32 s2, 0
	s_addc_u32 s2, s3, s4
	v_readfirstlane_b32 s3, v1
	s_mul_i32 s5, s10, s2
	s_mul_hi_u32 s4, s10, s2
	s_mul_hi_u32 s6, s11, s2
	s_mul_i32 s2, s11, s2
	s_mul_hi_u32 s7, s10, s3
	s_mul_hi_u32 s14, s11, s3
	s_mul_i32 s3, s11, s3
	s_add_u32 s5, s7, s5
	s_addc_u32 s4, 0, s4
	s_add_u32 s3, s5, s3
	s_addc_u32 s3, s4, s14
	s_addc_u32 s4, s6, 0
	s_add_u32 s5, s3, s2
	s_addc_u32 s4, 0, s4
	s_mul_i32 s3, s5, 0xe80
	s_add_u32 s2, s5, 1
	v_sub_co_u32 v1, s3, s10, s3
	s_mul_hi_u32 s6, s5, 0xe80
	s_addc_u32 s7, s4, 0
	s_mul_i32 s14, s4, 0xe80
	s_delay_alu instid0(VALU_DEP_1)
	v_subrev_co_u32 v2, s15, 0xe80, v1
	s_add_u32 s17, s5, 2
	s_addc_u32 s18, s4, 0
	s_add_i32 s6, s6, s14
	s_cmp_lg_u32 s3, 0
	v_readfirstlane_b32 s3, v2
	s_subb_u32 s6, s11, s6
	s_cmp_lg_u32 s15, 0
	s_subb_u32 s14, s6, 0
	s_delay_alu instid0(VALU_DEP_1) | instskip(SKIP_4) | instid1(SALU_CYCLE_1)
	s_cmpk_gt_u32 s3, 0xe7f
	s_cselect_b32 s3, -1, 0
	s_cmp_eq_u32 s14, 0
	v_readfirstlane_b32 s14, v1
	s_cselect_b32 s3, s3, -1
	s_cmp_lg_u32 s3, 0
	s_cselect_b32 s15, s17, s2
	s_cselect_b32 s7, s18, s7
	s_cmpk_gt_u32 s14, 0xe7f
	s_mov_b32 s17, 0
	s_cselect_b32 s2, -1, 0
	s_cmp_eq_u32 s6, 0
	s_cselect_b32 s2, s2, -1
	s_delay_alu instid0(SALU_CYCLE_1)
	s_cmp_lg_u32 s2, 0
	s_load_b128 s[0:3], s[0:1], 0x28
	s_cselect_b32 s6, s7, s4
	s_cselect_b32 s7, s15, s5
	s_mul_i32 s4, s6, 0xe80
	s_mul_hi_u32 s5, s7, 0xe80
	s_mul_i32 s14, s7, 0xe80
	s_add_i32 s5, s5, s4
	s_sub_u32 s4, s10, s14
	s_subb_u32 s5, s11, s5
	s_delay_alu instid0(SALU_CYCLE_1) | instskip(SKIP_1) | instid1(SALU_CYCLE_1)
	s_cmp_lg_u64 s[4:5], 0
	s_cselect_b32 s4, -1, 0
	v_cndmask_b32_e64 v1, 0, 1, s4
	s_delay_alu instid0(VALU_DEP_1) | instskip(NEXT) | instid1(VALU_DEP_1)
	v_readfirstlane_b32 s4, v1
	s_add_u32 s14, s7, s4
	s_addc_u32 s15, s6, 0
	s_waitcnt lgkmcnt(0)
	s_add_u32 s4, s2, s16
	s_addc_u32 s5, s3, 0
	s_add_u32 s18, s14, -1
	s_addc_u32 s19, s15, -1
	s_mul_i32 s6, s16, 0xe80
	v_cmp_ge_u64_e64 s22, s[4:5], s[18:19]
	s_mov_b32 s7, -1
	s_mul_i32 s11, s18, 0xfffff180
	s_delay_alu instid0(VALU_DEP_1)
	s_and_b32 vcc_lo, exec_lo, s22
	s_cbranch_vccz .LBB596_60
; %bb.1:
	s_mov_b32 s7, s17
	s_add_i32 s25, s11, s10
	s_lshl_b64 s[20:21], s[6:7], 3
	s_mov_b32 s7, exec_lo
	s_add_u32 s20, s23, s20
	s_addc_u32 s21, s24, s21
                                        ; implicit-def: $vgpr1_vgpr2
	v_cmpx_gt_u32_e64 s25, v0
	s_cbranch_execz .LBB596_3
; %bb.2:
	v_lshlrev_b32_e32 v1, 3, v0
	global_load_b64 v[1:2], v1, s[20:21]
.LBB596_3:
	s_or_b32 exec_lo, exec_lo, s7
	v_or_b32_e32 v3, 0x80, v0
	s_delay_alu instid0(VALU_DEP_1)
	v_cmp_gt_u32_e32 vcc_lo, s25, v3
                                        ; implicit-def: $vgpr3_vgpr4
	s_and_saveexec_b32 s7, vcc_lo
	s_cbranch_execz .LBB596_5
; %bb.4:
	v_lshlrev_b32_e32 v3, 3, v0
	global_load_b64 v[3:4], v3, s[20:21] offset:1024
.LBB596_5:
	s_or_b32 exec_lo, exec_lo, s7
	v_or_b32_e32 v5, 0x100, v0
	s_delay_alu instid0(VALU_DEP_1)
	v_cmp_gt_u32_e32 vcc_lo, s25, v5
                                        ; implicit-def: $vgpr5_vgpr6
	s_and_saveexec_b32 s7, vcc_lo
	s_cbranch_execz .LBB596_7
; %bb.6:
	v_lshlrev_b32_e32 v5, 3, v0
	global_load_b64 v[5:6], v5, s[20:21] offset:2048
.LBB596_7:
	s_or_b32 exec_lo, exec_lo, s7
	v_or_b32_e32 v7, 0x180, v0
	s_delay_alu instid0(VALU_DEP_1)
	v_cmp_gt_u32_e32 vcc_lo, s25, v7
                                        ; implicit-def: $vgpr7_vgpr8
	s_and_saveexec_b32 s7, vcc_lo
	s_cbranch_execz .LBB596_9
; %bb.8:
	v_lshlrev_b32_e32 v7, 3, v0
	global_load_b64 v[7:8], v7, s[20:21] offset:3072
.LBB596_9:
	s_or_b32 exec_lo, exec_lo, s7
	v_or_b32_e32 v11, 0x200, v0
	s_mov_b32 s7, exec_lo
                                        ; implicit-def: $vgpr9_vgpr10
	s_delay_alu instid0(VALU_DEP_1)
	v_cmpx_gt_u32_e64 s25, v11
	s_cbranch_execz .LBB596_11
; %bb.10:
	v_lshlrev_b32_e32 v9, 3, v11
	global_load_b64 v[9:10], v9, s[20:21]
.LBB596_11:
	s_or_b32 exec_lo, exec_lo, s7
	v_or_b32_e32 v13, 0x280, v0
	s_mov_b32 s7, exec_lo
                                        ; implicit-def: $vgpr11_vgpr12
	s_delay_alu instid0(VALU_DEP_1)
	v_cmpx_gt_u32_e64 s25, v13
	s_cbranch_execz .LBB596_13
; %bb.12:
	v_lshlrev_b32_e32 v11, 3, v13
	global_load_b64 v[11:12], v11, s[20:21]
.LBB596_13:
	s_or_b32 exec_lo, exec_lo, s7
	v_or_b32_e32 v15, 0x300, v0
	s_mov_b32 s7, exec_lo
                                        ; implicit-def: $vgpr13_vgpr14
	s_delay_alu instid0(VALU_DEP_1)
	v_cmpx_gt_u32_e64 s25, v15
	s_cbranch_execz .LBB596_15
; %bb.14:
	v_lshlrev_b32_e32 v13, 3, v15
	global_load_b64 v[13:14], v13, s[20:21]
.LBB596_15:
	s_or_b32 exec_lo, exec_lo, s7
	v_or_b32_e32 v17, 0x380, v0
	s_mov_b32 s7, exec_lo
                                        ; implicit-def: $vgpr15_vgpr16
	s_delay_alu instid0(VALU_DEP_1)
	v_cmpx_gt_u32_e64 s25, v17
	s_cbranch_execz .LBB596_17
; %bb.16:
	v_lshlrev_b32_e32 v15, 3, v17
	global_load_b64 v[15:16], v15, s[20:21]
.LBB596_17:
	s_or_b32 exec_lo, exec_lo, s7
	v_or_b32_e32 v19, 0x400, v0
	s_mov_b32 s7, exec_lo
                                        ; implicit-def: $vgpr17_vgpr18
	s_delay_alu instid0(VALU_DEP_1)
	v_cmpx_gt_u32_e64 s25, v19
	s_cbranch_execz .LBB596_19
; %bb.18:
	v_lshlrev_b32_e32 v17, 3, v19
	global_load_b64 v[17:18], v17, s[20:21]
.LBB596_19:
	s_or_b32 exec_lo, exec_lo, s7
	v_or_b32_e32 v21, 0x480, v0
	s_mov_b32 s7, exec_lo
                                        ; implicit-def: $vgpr19_vgpr20
	s_delay_alu instid0(VALU_DEP_1)
	v_cmpx_gt_u32_e64 s25, v21
	s_cbranch_execz .LBB596_21
; %bb.20:
	v_lshlrev_b32_e32 v19, 3, v21
	global_load_b64 v[19:20], v19, s[20:21]
.LBB596_21:
	s_or_b32 exec_lo, exec_lo, s7
	v_or_b32_e32 v23, 0x500, v0
	s_mov_b32 s7, exec_lo
                                        ; implicit-def: $vgpr21_vgpr22
	s_delay_alu instid0(VALU_DEP_1)
	v_cmpx_gt_u32_e64 s25, v23
	s_cbranch_execz .LBB596_23
; %bb.22:
	v_lshlrev_b32_e32 v21, 3, v23
	global_load_b64 v[21:22], v21, s[20:21]
.LBB596_23:
	s_or_b32 exec_lo, exec_lo, s7
	v_or_b32_e32 v25, 0x580, v0
	s_mov_b32 s7, exec_lo
                                        ; implicit-def: $vgpr23_vgpr24
	s_delay_alu instid0(VALU_DEP_1)
	v_cmpx_gt_u32_e64 s25, v25
	s_cbranch_execz .LBB596_25
; %bb.24:
	v_lshlrev_b32_e32 v23, 3, v25
	global_load_b64 v[23:24], v23, s[20:21]
.LBB596_25:
	s_or_b32 exec_lo, exec_lo, s7
	v_or_b32_e32 v27, 0x600, v0
	s_mov_b32 s7, exec_lo
                                        ; implicit-def: $vgpr25_vgpr26
	s_delay_alu instid0(VALU_DEP_1)
	v_cmpx_gt_u32_e64 s25, v27
	s_cbranch_execz .LBB596_27
; %bb.26:
	v_lshlrev_b32_e32 v25, 3, v27
	global_load_b64 v[25:26], v25, s[20:21]
.LBB596_27:
	s_or_b32 exec_lo, exec_lo, s7
	v_or_b32_e32 v29, 0x680, v0
	s_mov_b32 s7, exec_lo
                                        ; implicit-def: $vgpr27_vgpr28
	s_delay_alu instid0(VALU_DEP_1)
	v_cmpx_gt_u32_e64 s25, v29
	s_cbranch_execz .LBB596_29
; %bb.28:
	v_lshlrev_b32_e32 v27, 3, v29
	global_load_b64 v[27:28], v27, s[20:21]
.LBB596_29:
	s_or_b32 exec_lo, exec_lo, s7
	v_or_b32_e32 v31, 0x700, v0
	s_mov_b32 s7, exec_lo
                                        ; implicit-def: $vgpr29_vgpr30
	s_delay_alu instid0(VALU_DEP_1)
	v_cmpx_gt_u32_e64 s25, v31
	s_cbranch_execz .LBB596_31
; %bb.30:
	v_lshlrev_b32_e32 v29, 3, v31
	global_load_b64 v[29:30], v29, s[20:21]
.LBB596_31:
	s_or_b32 exec_lo, exec_lo, s7
	v_or_b32_e32 v33, 0x780, v0
	s_mov_b32 s7, exec_lo
                                        ; implicit-def: $vgpr31_vgpr32
	s_delay_alu instid0(VALU_DEP_1)
	v_cmpx_gt_u32_e64 s25, v33
	s_cbranch_execz .LBB596_33
; %bb.32:
	v_lshlrev_b32_e32 v31, 3, v33
	global_load_b64 v[31:32], v31, s[20:21]
.LBB596_33:
	s_or_b32 exec_lo, exec_lo, s7
	v_or_b32_e32 v35, 0x800, v0
	s_mov_b32 s7, exec_lo
                                        ; implicit-def: $vgpr33_vgpr34
	s_delay_alu instid0(VALU_DEP_1)
	v_cmpx_gt_u32_e64 s25, v35
	s_cbranch_execz .LBB596_35
; %bb.34:
	v_lshlrev_b32_e32 v33, 3, v35
	global_load_b64 v[33:34], v33, s[20:21]
.LBB596_35:
	s_or_b32 exec_lo, exec_lo, s7
	v_or_b32_e32 v37, 0x880, v0
	s_mov_b32 s7, exec_lo
                                        ; implicit-def: $vgpr35_vgpr36
	s_delay_alu instid0(VALU_DEP_1)
	v_cmpx_gt_u32_e64 s25, v37
	s_cbranch_execz .LBB596_37
; %bb.36:
	v_lshlrev_b32_e32 v35, 3, v37
	global_load_b64 v[35:36], v35, s[20:21]
.LBB596_37:
	s_or_b32 exec_lo, exec_lo, s7
	v_or_b32_e32 v39, 0x900, v0
	s_mov_b32 s7, exec_lo
                                        ; implicit-def: $vgpr37_vgpr38
	s_delay_alu instid0(VALU_DEP_1)
	v_cmpx_gt_u32_e64 s25, v39
	s_cbranch_execz .LBB596_39
; %bb.38:
	v_lshlrev_b32_e32 v37, 3, v39
	global_load_b64 v[37:38], v37, s[20:21]
.LBB596_39:
	s_or_b32 exec_lo, exec_lo, s7
	v_or_b32_e32 v41, 0x980, v0
	s_mov_b32 s7, exec_lo
                                        ; implicit-def: $vgpr39_vgpr40
	s_delay_alu instid0(VALU_DEP_1)
	v_cmpx_gt_u32_e64 s25, v41
	s_cbranch_execz .LBB596_41
; %bb.40:
	v_lshlrev_b32_e32 v39, 3, v41
	global_load_b64 v[39:40], v39, s[20:21]
.LBB596_41:
	s_or_b32 exec_lo, exec_lo, s7
	v_or_b32_e32 v43, 0xa00, v0
	s_mov_b32 s7, exec_lo
                                        ; implicit-def: $vgpr41_vgpr42
	s_delay_alu instid0(VALU_DEP_1)
	v_cmpx_gt_u32_e64 s25, v43
	s_cbranch_execz .LBB596_43
; %bb.42:
	v_lshlrev_b32_e32 v41, 3, v43
	global_load_b64 v[41:42], v41, s[20:21]
.LBB596_43:
	s_or_b32 exec_lo, exec_lo, s7
	v_or_b32_e32 v45, 0xa80, v0
	s_mov_b32 s7, exec_lo
                                        ; implicit-def: $vgpr43_vgpr44
	s_delay_alu instid0(VALU_DEP_1)
	v_cmpx_gt_u32_e64 s25, v45
	s_cbranch_execz .LBB596_45
; %bb.44:
	v_lshlrev_b32_e32 v43, 3, v45
	global_load_b64 v[43:44], v43, s[20:21]
.LBB596_45:
	s_or_b32 exec_lo, exec_lo, s7
	v_or_b32_e32 v47, 0xb00, v0
	s_mov_b32 s7, exec_lo
                                        ; implicit-def: $vgpr45_vgpr46
	s_delay_alu instid0(VALU_DEP_1)
	v_cmpx_gt_u32_e64 s25, v47
	s_cbranch_execz .LBB596_47
; %bb.46:
	v_lshlrev_b32_e32 v45, 3, v47
	global_load_b64 v[45:46], v45, s[20:21]
.LBB596_47:
	s_or_b32 exec_lo, exec_lo, s7
	v_or_b32_e32 v49, 0xb80, v0
	s_mov_b32 s7, exec_lo
                                        ; implicit-def: $vgpr47_vgpr48
	s_delay_alu instid0(VALU_DEP_1)
	v_cmpx_gt_u32_e64 s25, v49
	s_cbranch_execz .LBB596_49
; %bb.48:
	v_lshlrev_b32_e32 v47, 3, v49
	global_load_b64 v[47:48], v47, s[20:21]
.LBB596_49:
	s_or_b32 exec_lo, exec_lo, s7
	v_or_b32_e32 v51, 0xc00, v0
	s_mov_b32 s7, exec_lo
                                        ; implicit-def: $vgpr49_vgpr50
	s_delay_alu instid0(VALU_DEP_1)
	v_cmpx_gt_u32_e64 s25, v51
	s_cbranch_execz .LBB596_51
; %bb.50:
	v_lshlrev_b32_e32 v49, 3, v51
	global_load_b64 v[49:50], v49, s[20:21]
.LBB596_51:
	s_or_b32 exec_lo, exec_lo, s7
	v_or_b32_e32 v53, 0xc80, v0
	s_mov_b32 s7, exec_lo
                                        ; implicit-def: $vgpr51_vgpr52
	s_delay_alu instid0(VALU_DEP_1)
	v_cmpx_gt_u32_e64 s25, v53
	s_cbranch_execz .LBB596_53
; %bb.52:
	v_lshlrev_b32_e32 v51, 3, v53
	global_load_b64 v[51:52], v51, s[20:21]
.LBB596_53:
	s_or_b32 exec_lo, exec_lo, s7
	v_or_b32_e32 v55, 0xd00, v0
	s_mov_b32 s7, exec_lo
                                        ; implicit-def: $vgpr53_vgpr54
	s_delay_alu instid0(VALU_DEP_1)
	v_cmpx_gt_u32_e64 s25, v55
	s_cbranch_execz .LBB596_55
; %bb.54:
	v_lshlrev_b32_e32 v53, 3, v55
	global_load_b64 v[53:54], v53, s[20:21]
.LBB596_55:
	s_or_b32 exec_lo, exec_lo, s7
	v_or_b32_e32 v57, 0xd80, v0
	s_mov_b32 s7, exec_lo
                                        ; implicit-def: $vgpr55_vgpr56
	s_delay_alu instid0(VALU_DEP_1)
	v_cmpx_gt_u32_e64 s25, v57
	s_cbranch_execz .LBB596_57
; %bb.56:
	v_lshlrev_b32_e32 v55, 3, v57
	global_load_b64 v[55:56], v55, s[20:21]
.LBB596_57:
	s_or_b32 exec_lo, exec_lo, s7
	v_or_b32_e32 v59, 0xe00, v0
	s_mov_b32 s7, exec_lo
                                        ; implicit-def: $vgpr57_vgpr58
	s_delay_alu instid0(VALU_DEP_1)
	v_cmpx_gt_u32_e64 s25, v59
	s_cbranch_execz .LBB596_59
; %bb.58:
	v_lshlrev_b32_e32 v57, 3, v59
	global_load_b64 v[57:58], v57, s[20:21]
.LBB596_59:
	s_or_b32 exec_lo, exec_lo, s7
	v_lshlrev_b32_e32 v59, 3, v0
	s_mov_b32 s7, 0
	s_waitcnt vmcnt(0)
	ds_store_2addr_stride64_b64 v59, v[1:2], v[3:4] offset1:2
	ds_store_2addr_stride64_b64 v59, v[5:6], v[7:8] offset0:4 offset1:6
	ds_store_2addr_stride64_b64 v59, v[9:10], v[11:12] offset0:8 offset1:10
	;; [unrolled: 1-line block ×13, first 2 shown]
	ds_store_b64 v59, v[57:58] offset:28672
	s_waitcnt lgkmcnt(0)
	s_barrier
.LBB596_60:
	v_lshlrev_b32_e32 v147, 3, v0
	s_and_b32 vcc_lo, exec_lo, s7
	s_cbranch_vccz .LBB596_62
; %bb.61:
	s_mov_b32 s7, 0
	s_delay_alu instid0(SALU_CYCLE_1) | instskip(NEXT) | instid1(SALU_CYCLE_1)
	s_lshl_b64 s[20:21], s[6:7], 3
	s_add_u32 s20, s23, s20
	s_addc_u32 s21, s24, s21
	v_add_co_u32 v49, s7, s20, v147
	s_delay_alu instid0(VALU_DEP_1)
	v_add_co_ci_u32_e64 v50, null, s21, 0, s7
	s_clause 0x3
	global_load_b64 v[1:2], v147, s[20:21]
	global_load_b64 v[3:4], v147, s[20:21] offset:1024
	global_load_b64 v[5:6], v147, s[20:21] offset:2048
	;; [unrolled: 1-line block ×3, first 2 shown]
	v_add_co_u32 v9, vcc_lo, 0x1000, v49
	v_add_co_ci_u32_e32 v10, vcc_lo, 0, v50, vcc_lo
	v_add_co_u32 v11, vcc_lo, v49, 0x2000
	v_add_co_ci_u32_e32 v12, vcc_lo, 0, v50, vcc_lo
	v_add_co_u32 v13, vcc_lo, 0x2000, v49
	v_add_co_ci_u32_e32 v14, vcc_lo, 0, v50, vcc_lo
	v_add_co_u32 v23, vcc_lo, 0x3000, v49
	v_add_co_ci_u32_e32 v24, vcc_lo, 0, v50, vcc_lo
	v_add_co_u32 v25, vcc_lo, v49, 0x4000
	v_add_co_ci_u32_e32 v26, vcc_lo, 0, v50, vcc_lo
	v_add_co_u32 v27, vcc_lo, 0x4000, v49
	v_add_co_ci_u32_e32 v28, vcc_lo, 0, v50, vcc_lo
	v_add_co_u32 v39, vcc_lo, v49, 0x6000
	v_add_co_ci_u32_e32 v40, vcc_lo, 0, v50, vcc_lo
	v_add_co_u32 v41, vcc_lo, 0x5000, v49
	v_add_co_ci_u32_e32 v42, vcc_lo, 0, v50, vcc_lo
	v_add_co_u32 v47, vcc_lo, 0x6000, v49
	v_add_co_ci_u32_e32 v48, vcc_lo, 0, v50, vcc_lo
	v_add_co_u32 v49, vcc_lo, 0x7000, v49
	v_add_co_ci_u32_e32 v50, vcc_lo, 0, v50, vcc_lo
	s_clause 0x18
	global_load_b64 v[15:16], v[11:12], off offset:-4096
	global_load_b64 v[17:18], v[9:10], off offset:1024
	global_load_b64 v[19:20], v[9:10], off offset:2048
	;; [unrolled: 1-line block ×12, first 2 shown]
	global_load_b64 v[11:12], v[11:12], off
	global_load_b64 v[43:44], v[25:26], off offset:-4096
	global_load_b64 v[25:26], v[25:26], off
	global_load_b64 v[45:46], v[39:40], off offset:-4096
	global_load_b64 v[39:40], v[39:40], off
	global_load_b64 v[51:52], v[41:42], off offset:1024
	global_load_b64 v[53:54], v[41:42], off offset:2048
	;; [unrolled: 1-line block ×6, first 2 shown]
	global_load_b64 v[49:50], v[49:50], off
	s_waitcnt vmcnt(27)
	ds_store_2addr_stride64_b64 v147, v[1:2], v[3:4] offset1:2
	s_waitcnt vmcnt(25)
	ds_store_2addr_stride64_b64 v147, v[5:6], v[7:8] offset0:4 offset1:6
	s_waitcnt vmcnt(23)
	ds_store_2addr_stride64_b64 v147, v[15:16], v[17:18] offset0:8 offset1:10
	;; [unrolled: 2-line block ×4, first 2 shown]
	ds_store_2addr_stride64_b64 v147, v[29:30], v[13:14] offset0:20 offset1:22
	s_waitcnt vmcnt(10)
	ds_store_2addr_stride64_b64 v147, v[43:44], v[31:32] offset0:24 offset1:26
	ds_store_2addr_stride64_b64 v147, v[33:34], v[23:24] offset0:28 offset1:30
	s_waitcnt vmcnt(9)
	ds_store_2addr_stride64_b64 v147, v[25:26], v[35:36] offset0:32 offset1:34
	;; [unrolled: 3-line block ×3, first 2 shown]
	s_waitcnt vmcnt(4)
	ds_store_2addr_stride64_b64 v147, v[53:54], v[41:42] offset0:44 offset1:46
	s_waitcnt vmcnt(3)
	ds_store_2addr_stride64_b64 v147, v[39:40], v[55:56] offset0:48 offset1:50
	s_waitcnt vmcnt(1)
	ds_store_2addr_stride64_b64 v147, v[57:58], v[47:48] offset0:52 offset1:54
	s_waitcnt vmcnt(0)
	ds_store_b64 v147, v[49:50] offset:28672
	s_waitcnt lgkmcnt(0)
	s_barrier
.LBB596_62:
	v_mul_u32_u24_e32 v1, 29, v0
	buffer_gl0_inv
	s_cmp_eq_u64 s[4:5], 0
	v_lshlrev_b32_e32 v1, 3, v1
	ds_load_b64 v[145:146], v1 offset:224
	ds_load_2addr_b64 v[97:100], v1 offset0:26 offset1:27
	ds_load_2addr_b64 v[89:92], v1 offset0:24 offset1:25
	ds_load_2addr_b64 v[57:60], v1 offset1:1
	ds_load_2addr_b64 v[61:64], v1 offset0:2 offset1:3
	ds_load_2addr_b64 v[65:68], v1 offset0:4 offset1:5
	;; [unrolled: 1-line block ×11, first 2 shown]
	s_waitcnt lgkmcnt(0)
	s_barrier
	buffer_gl0_inv
	s_cbranch_scc1 .LBB596_67
; %bb.63:
	s_lshl_b64 s[2:3], s[2:3], 3
	s_delay_alu instid0(SALU_CYCLE_1) | instskip(SKIP_2) | instid1(SALU_CYCLE_1)
	s_add_u32 s2, s0, s2
	s_addc_u32 s3, s1, s3
	s_lshl_b64 s[0:1], s[16:17], 3
	s_add_u32 s0, s2, s0
	s_addc_u32 s1, s3, s1
	s_add_u32 s0, s0, -8
	s_addc_u32 s1, s1, -1
	s_cmp_eq_u64 s[4:5], s[18:19]
	s_load_b64 s[0:1], s[0:1], 0x0
	s_cbranch_scc1 .LBB596_68
; %bb.64:
	s_waitcnt lgkmcnt(0)
	v_dual_mov_b32 v2, s1 :: v_dual_mov_b32 v1, s0
	s_mov_b32 s2, 0
	s_mov_b32 s3, exec_lo
	ds_store_b64 v147, v[145:146]
	s_waitcnt lgkmcnt(0)
	s_barrier
	buffer_gl0_inv
	v_cmpx_ne_u32_e32 0, v0
	s_cbranch_execz .LBB596_66
; %bb.65:
	v_add_nc_u32_e32 v1, -8, v147
	ds_load_b64 v[1:2], v1
.LBB596_66:
	s_or_b32 exec_lo, exec_lo, s3
	v_add_f64 v[117:118], v[145:146], v[99:100]
	v_add_f64 v[3:4], v[99:100], v[97:98]
	;; [unrolled: 1-line block ×28, first 2 shown]
	s_waitcnt lgkmcnt(0)
	v_add_f64 v[73:74], v[57:58], v[1:2]
	s_and_b32 vcc_lo, exec_lo, s2
	s_cbranch_vccnz .LBB596_69
	s_branch .LBB596_72
.LBB596_67:
                                        ; implicit-def: $vgpr73_vgpr74
                                        ; implicit-def: $vgpr143_vgpr144
                                        ; implicit-def: $vgpr141_vgpr142
                                        ; implicit-def: $vgpr139_vgpr140
                                        ; implicit-def: $vgpr137_vgpr138
                                        ; implicit-def: $vgpr135_vgpr136
                                        ; implicit-def: $vgpr133_vgpr134
                                        ; implicit-def: $vgpr131_vgpr132
                                        ; implicit-def: $vgpr129_vgpr130
                                        ; implicit-def: $vgpr127_vgpr128
                                        ; implicit-def: $vgpr125_vgpr126
                                        ; implicit-def: $vgpr123_vgpr124
                                        ; implicit-def: $vgpr121_vgpr122
                                        ; implicit-def: $vgpr119_vgpr120
                                        ; implicit-def: $vgpr117_vgpr118
                                        ; implicit-def: $vgpr1_vgpr2_vgpr3_vgpr4
                                        ; implicit-def: $vgpr5_vgpr6_vgpr7_vgpr8
                                        ; implicit-def: $vgpr9_vgpr10_vgpr11_vgpr12
                                        ; implicit-def: $vgpr13_vgpr14_vgpr15_vgpr16
                                        ; implicit-def: $vgpr17_vgpr18_vgpr19_vgpr20
                                        ; implicit-def: $vgpr21_vgpr22_vgpr23_vgpr24
                                        ; implicit-def: $vgpr25_vgpr26_vgpr27_vgpr28
                                        ; implicit-def: $vgpr29_vgpr30_vgpr31_vgpr32
                                        ; implicit-def: $vgpr33_vgpr34_vgpr35_vgpr36
                                        ; implicit-def: $vgpr37_vgpr38_vgpr39_vgpr40
                                        ; implicit-def: $vgpr41_vgpr42_vgpr43_vgpr44
                                        ; implicit-def: $vgpr45_vgpr46_vgpr47_vgpr48
                                        ; implicit-def: $vgpr49_vgpr50_vgpr51_vgpr52
                                        ; implicit-def: $vgpr53_vgpr54_vgpr55_vgpr56
	s_branch .LBB596_73
.LBB596_68:
                                        ; implicit-def: $vgpr73_vgpr74
                                        ; implicit-def: $vgpr143_vgpr144
                                        ; implicit-def: $vgpr141_vgpr142
                                        ; implicit-def: $vgpr139_vgpr140
                                        ; implicit-def: $vgpr137_vgpr138
                                        ; implicit-def: $vgpr135_vgpr136
                                        ; implicit-def: $vgpr133_vgpr134
                                        ; implicit-def: $vgpr131_vgpr132
                                        ; implicit-def: $vgpr129_vgpr130
                                        ; implicit-def: $vgpr127_vgpr128
                                        ; implicit-def: $vgpr125_vgpr126
                                        ; implicit-def: $vgpr123_vgpr124
                                        ; implicit-def: $vgpr121_vgpr122
                                        ; implicit-def: $vgpr119_vgpr120
                                        ; implicit-def: $vgpr117_vgpr118
                                        ; implicit-def: $vgpr1_vgpr2_vgpr3_vgpr4
                                        ; implicit-def: $vgpr5_vgpr6_vgpr7_vgpr8
                                        ; implicit-def: $vgpr9_vgpr10_vgpr11_vgpr12
                                        ; implicit-def: $vgpr13_vgpr14_vgpr15_vgpr16
                                        ; implicit-def: $vgpr17_vgpr18_vgpr19_vgpr20
                                        ; implicit-def: $vgpr21_vgpr22_vgpr23_vgpr24
                                        ; implicit-def: $vgpr25_vgpr26_vgpr27_vgpr28
                                        ; implicit-def: $vgpr29_vgpr30_vgpr31_vgpr32
                                        ; implicit-def: $vgpr33_vgpr34_vgpr35_vgpr36
                                        ; implicit-def: $vgpr37_vgpr38_vgpr39_vgpr40
                                        ; implicit-def: $vgpr41_vgpr42_vgpr43_vgpr44
                                        ; implicit-def: $vgpr45_vgpr46_vgpr47_vgpr48
                                        ; implicit-def: $vgpr49_vgpr50_vgpr51_vgpr52
                                        ; implicit-def: $vgpr53_vgpr54_vgpr55_vgpr56
	s_cbranch_execz .LBB596_72
.LBB596_69:
	v_mul_u32_u24_e32 v5, 29, v0
	s_waitcnt lgkmcnt(0)
	v_dual_mov_b32 v2, s1 :: v_dual_mov_b32 v1, s0
	s_mov_b32 s0, exec_lo
	ds_store_b64 v147, v[145:146]
	s_waitcnt lgkmcnt(0)
	s_barrier
	buffer_gl0_inv
	v_cmpx_ne_u32_e32 0, v0
	s_cbranch_execz .LBB596_71
; %bb.70:
	v_add_nc_u32_e32 v1, -8, v147
	ds_load_b64 v[1:2], v1
.LBB596_71:
	s_or_b32 exec_lo, exec_lo, s0
	v_add_f64 v[3:4], v[145:146], v[99:100]
	v_add_f64 v[6:7], v[99:100], v[97:98]
	;; [unrolled: 1-line block ×9, first 2 shown]
	v_add_nc_u32_e32 v31, 27, v5
	s_mul_i32 s5, s4, 0xfffff180
	v_add_f64 v[18:19], v[109:110], v[111:112]
	s_add_i32 s5, s5, s10
	v_add_nc_u32_e32 v36, 22, v5
	v_cmp_gt_u32_e32 vcc_lo, s5, v31
	v_add_nc_u32_e32 v30, 28, v5
	v_add_f64 v[26:27], v[101:102], v[103:104]
	v_add_nc_u32_e32 v35, 23, v5
	v_add_f64 v[24:25], v[103:104], v[105:106]
	v_add_f64 v[28:29], v[95:96], v[101:102]
	v_cmp_gt_u32_e64 s1, s5, v30
	v_add_f64 v[41:42], v[63:64], v[65:66]
	v_cmp_gt_u32_e64 s4, s5, v35
	v_add_f64 v[45:46], v[57:58], v[59:60]
	s_waitcnt lgkmcnt(0)
	v_add_f64 v[1:2], v[57:58], v[1:2]
	v_cndmask_b32_e64 v118, v146, v4, s1
	v_cndmask_b32_e64 v117, v145, v3, s1
	v_dual_cndmask_b32 v4, v100, v7 :: v_dual_cndmask_b32 v3, v99, v6
	v_cmp_gt_u32_e32 vcc_lo, s5, v36
	v_add_nc_u32_e32 v6, 20, v5
	v_add_nc_u32_e32 v32, 26, v5
	v_add_f64 v[35:36], v[81:82], v[83:84]
	v_cmp_gt_u32_e64 s1, s5, v5
	v_dual_cndmask_b32 v123, v113, v16 :: v_dual_cndmask_b32 v124, v114, v17
	v_cmp_gt_u32_e32 vcc_lo, s5, v6
	v_add_nc_u32_e32 v6, 19, v5
	v_add_nc_u32_e32 v34, 24, v5
	v_cmp_gt_u32_e64 s0, s5, v32
	v_dual_cndmask_b32 v125, v109, v20 :: v_dual_cndmask_b32 v126, v110, v21
	s_delay_alu instid0(VALU_DEP_4)
	v_cmp_gt_u32_e32 vcc_lo, s5, v6
	v_add_nc_u32_e32 v33, 25, v5
	v_cmp_gt_u32_e64 s3, s5, v34
	v_cndmask_b32_e64 v119, v97, v8, s0
	v_cndmask_b32_e64 v120, v98, v9, s0
	v_cndmask_b32_e32 v20, v108, v23, vcc_lo
	v_cmp_gt_u32_e64 s2, s5, v33
	v_cndmask_b32_e64 v122, v90, v13, s3
	v_cndmask_b32_e64 v121, v89, v12, s3
	;; [unrolled: 1-line block ×3, first 2 shown]
	v_add_nc_u32_e32 v6, 17, v5
	v_cndmask_b32_e64 v8, v92, v11, s2
	v_cndmask_b32_e64 v11, v115, v14, s4
	v_add_f64 v[13:14], v[87:88], v[93:94]
	v_add_nc_u32_e32 v37, 21, v5
	v_cndmask_b32_e64 v7, v91, v10, s2
	v_add_f64 v[9:10], v[93:94], v[95:96]
	v_add_f64 v[33:34], v[83:84], v[85:86]
	v_cndmask_b32_e64 v74, v58, v2, s1
	v_cmp_gt_u32_e64 s0, s5, v37
	v_add_f64 v[37:38], v[67:68], v[69:70]
	v_cndmask_b32_e64 v73, v57, v1, s1
	s_delay_alu instid0(VALU_DEP_3) | instskip(SKIP_3) | instid1(VALU_DEP_1)
	v_cndmask_b32_e64 v16, v112, v19, s0
	v_cndmask_b32_e64 v15, v111, v18, s0
	v_add_f64 v[17:18], v[85:86], v[87:88]
	v_add_nc_u32_e32 v19, 18, v5
	v_cmp_gt_u32_e64 s0, s5, v19
	v_cndmask_b32_e32 v19, v107, v22, vcc_lo
	v_cmp_gt_u32_e32 vcc_lo, s5, v6
	v_add_nc_u32_e32 v6, 16, v5
	v_add_f64 v[21:22], v[79:80], v[81:82]
	v_cndmask_b32_e64 v127, v105, v24, s0
	v_cndmask_b32_e64 v128, v106, v25, s0
	v_dual_cndmask_b32 v24, v104, v27 :: v_dual_cndmask_b32 v23, v103, v26
	v_cmp_gt_u32_e32 vcc_lo, s5, v6
	v_add_nc_u32_e32 v6, 14, v5
	v_add_nc_u32_e32 v27, 15, v5
	v_add_f64 v[25:26], v[77:78], v[79:80]
	v_cndmask_b32_e32 v130, v102, v29, vcc_lo
	v_add_f64 v[29:30], v[71:72], v[77:78]
	v_cndmask_b32_e32 v129, v101, v28, vcc_lo
	v_cmp_gt_u32_e32 vcc_lo, s5, v6
	v_add_nc_u32_e32 v6, 13, v5
	v_cmp_gt_u32_e64 s0, s5, v27
	v_dual_cndmask_b32 v132, v94, v14 :: v_dual_add_nc_u32 v31, 12, v5
	v_cndmask_b32_e32 v131, v93, v13, vcc_lo
	s_delay_alu instid0(VALU_DEP_4)
	v_cmp_gt_u32_e32 vcc_lo, s5, v6
	v_add_nc_u32_e32 v6, 11, v5
	v_cndmask_b32_e64 v28, v96, v10, s0
	v_cndmask_b32_e64 v27, v95, v9, s0
	v_add_f64 v[9:10], v[69:70], v[71:72]
	v_cmp_gt_u32_e64 s0, s5, v31
	v_add_f64 v[13:14], v[65:66], v[67:68]
	v_dual_cndmask_b32 v32, v88, v18 :: v_dual_cndmask_b32 v31, v87, v17
	v_cmp_gt_u32_e32 vcc_lo, s5, v6
	v_add_nc_u32_e32 v6, 10, v5
	v_add_f64 v[17:18], v[61:62], v[63:64]
	v_cndmask_b32_e64 v134, v86, v34, s0
	v_cndmask_b32_e64 v133, v85, v33, s0
	v_dual_cndmask_b32 v36, v84, v36 :: v_dual_cndmask_b32 v35, v83, v35
	v_cmp_gt_u32_e32 vcc_lo, s5, v6
	v_add_nc_u32_e32 v6, 8, v5
	v_add_f64 v[33:34], v[59:60], v[61:62]
	v_dual_cndmask_b32 v136, v82, v22 :: v_dual_cndmask_b32 v135, v81, v21
	s_delay_alu instid0(VALU_DEP_3) | instskip(SKIP_3) | instid1(VALU_DEP_3)
	v_cmp_gt_u32_e32 vcc_lo, s5, v6
	v_add_nc_u32_e32 v6, 6, v5
	v_dual_cndmask_b32 v138, v78, v30 :: v_dual_add_nc_u32 v21, 7, v5
	v_cndmask_b32_e32 v137, v77, v29, vcc_lo
	v_cmp_gt_u32_e32 vcc_lo, s5, v6
	v_add_nc_u32_e32 v6, 4, v5
	v_dual_cndmask_b32 v140, v70, v38 :: v_dual_cndmask_b32 v139, v69, v37
	s_delay_alu instid0(VALU_DEP_2) | instskip(SKIP_3) | instid1(VALU_DEP_3)
	v_cmp_gt_u32_e32 vcc_lo, s5, v6
	v_add_nc_u32_e32 v39, 9, v5
	v_add_nc_u32_e32 v6, 2, v5
	v_cndmask_b32_e32 v142, v66, v42, vcc_lo
	v_cmp_gt_u32_e64 s0, s5, v39
	v_cndmask_b32_e32 v141, v65, v41, vcc_lo
	s_delay_alu instid0(VALU_DEP_4) | instskip(NEXT) | instid1(VALU_DEP_3)
	v_cmp_gt_u32_e32 vcc_lo, s5, v6
	v_cndmask_b32_e64 v40, v80, v26, s0
	v_cndmask_b32_e64 v39, v79, v25, s0
	v_cmp_gt_u32_e64 s0, s5, v21
	v_add_nc_u32_e32 v21, 5, v5
	s_delay_alu instid0(VALU_DEP_2) | instskip(SKIP_1) | instid1(VALU_DEP_3)
	v_cndmask_b32_e64 v44, v72, v10, s0
	v_cndmask_b32_e64 v43, v71, v9, s0
	v_cmp_gt_u32_e64 s0, s5, v21
	v_dual_cndmask_b32 v144, v62, v34 :: v_dual_add_nc_u32 v9, 3, v5
	v_cndmask_b32_e32 v143, v61, v33, vcc_lo
	s_delay_alu instid0(VALU_DEP_3) | instskip(SKIP_1) | instid1(VALU_DEP_4)
	v_cndmask_b32_e64 v48, v68, v14, s0
	v_cndmask_b32_e64 v47, v67, v13, s0
	v_cmp_gt_u32_e64 s0, s5, v9
	v_add_nc_u32_e32 v9, 1, v5
	s_delay_alu instid0(VALU_DEP_2) | instskip(SKIP_1) | instid1(VALU_DEP_3)
	v_cndmask_b32_e64 v52, v64, v18, s0
	v_cndmask_b32_e64 v51, v63, v17, s0
	v_cmp_gt_u32_e64 s0, s5, v9
	s_delay_alu instid0(VALU_DEP_1)
	v_cndmask_b32_e64 v56, v60, v46, s0
	v_cndmask_b32_e64 v55, v59, v45, s0
.LBB596_72:
	s_waitcnt lgkmcnt(0)
	s_cbranch_execnz .LBB596_81
.LBB596_73:
	v_add_f64 v[117:118], v[145:146], v[99:100]
	v_add_f64 v[3:4], v[99:100], v[97:98]
	;; [unrolled: 1-line block ×28, first 2 shown]
	v_cmp_ne_u32_e32 vcc_lo, 0, v0
	s_cmp_eq_u64 s[14:15], 1
	s_cbranch_scc1 .LBB596_77
; %bb.74:
	v_dual_mov_b32 v74, v58 :: v_dual_mov_b32 v73, v57
	s_mov_b32 s0, 0
	ds_store_b64 v147, v[145:146]
	s_waitcnt lgkmcnt(0)
	s_barrier
	buffer_gl0_inv
	s_and_saveexec_b32 s1, vcc_lo
	s_cbranch_execz .LBB596_76
; %bb.75:
	v_add_nc_u32_e32 v1, -8, v147
	ds_load_b64 v[1:2], v1
	s_waitcnt lgkmcnt(0)
	v_add_f64 v[73:74], v[57:58], v[1:2]
.LBB596_76:
	s_or_b32 exec_lo, exec_lo, s1
	s_delay_alu instid0(SALU_CYCLE_1)
	s_and_not1_b32 vcc_lo, exec_lo, s0
	s_cbranch_vccz .LBB596_78
	s_branch .LBB596_81
.LBB596_77:
                                        ; implicit-def: $vgpr73_vgpr74_vgpr75_vgpr76
.LBB596_78:
	v_mad_u32_u24 v1, v0, 29, 28
	v_mad_u32_u24 v2, v0, 29, 27
	;; [unrolled: 1-line block ×3, first 2 shown]
	v_mul_u32_u24_e32 v5, 29, v0
	ds_store_b64 v147, v[145:146]
	v_cmp_gt_u32_e32 vcc_lo, s10, v1
	v_mad_u32_u24 v1, v0, 29, 25
	v_cmp_gt_u32_e64 s0, s10, v2
	v_mad_u32_u24 v2, v0, 29, 24
	v_cmp_gt_u32_e64 s1, s10, v5
	v_dual_cndmask_b32 v118, v146, v118 :: v_dual_cndmask_b32 v117, v145, v117
	v_cmp_gt_u32_e32 vcc_lo, s10, v6
	v_cndmask_b32_e64 v4, v100, v4, s0
	v_cndmask_b32_e64 v3, v99, v3, s0
	v_cmp_gt_u32_e64 s0, s10, v1
	v_mad_u32_u24 v1, v0, 29, 23
	v_dual_cndmask_b32 v120, v98, v120 :: v_dual_cndmask_b32 v119, v97, v119
	v_cmp_gt_u32_e32 vcc_lo, s10, v2
	v_mad_u32_u24 v2, v0, 29, 22
	v_cndmask_b32_e64 v8, v92, v8, s0
	v_cndmask_b32_e64 v7, v91, v7, s0
	v_cmp_gt_u32_e64 s0, s10, v1
	v_mad_u32_u24 v1, v0, 29, 21
	v_dual_cndmask_b32 v122, v90, v122 :: v_dual_cndmask_b32 v121, v89, v121
	v_cmp_gt_u32_e32 vcc_lo, s10, v2
	v_mad_u32_u24 v2, v0, 29, 20
	;; [unrolled: 7-line block ×11, first 2 shown]
	v_cndmask_b32_e64 v48, v68, v48, s0
	v_cndmask_b32_e64 v47, v67, v47, s0
	v_cmp_gt_u32_e64 s0, s10, v1
	v_mad_u32_u24 v1, v0, 29, 1
	v_dual_cndmask_b32 v142, v66, v142 :: v_dual_cndmask_b32 v141, v65, v141
	v_cmp_gt_u32_e32 vcc_lo, s10, v2
	s_delay_alu instid0(VALU_DEP_4)
	v_cndmask_b32_e64 v52, v64, v52, s0
	v_cndmask_b32_e64 v51, v63, v51, s0
	v_cmp_gt_u32_e64 s0, s10, v1
	s_waitcnt lgkmcnt(0)
	v_dual_cndmask_b32 v144, v62, v144 :: v_dual_cndmask_b32 v143, v61, v143
	v_cmp_ne_u32_e32 vcc_lo, 0, v0
	s_delay_alu instid0(VALU_DEP_3) | instskip(SKIP_4) | instid1(SALU_CYCLE_1)
	v_cndmask_b32_e64 v56, v60, v56, s0
	v_cndmask_b32_e64 v55, v59, v55, s0
	s_barrier
	buffer_gl0_inv
	s_and_b32 s1, vcc_lo, s1
	s_and_saveexec_b32 s0, s1
	s_cbranch_execz .LBB596_80
; %bb.79:
	v_add_nc_u32_e32 v1, -8, v147
	ds_load_b64 v[1:2], v1
	s_waitcnt lgkmcnt(0)
	v_add_f64 v[57:58], v[57:58], v[1:2]
.LBB596_80:
	s_or_b32 exec_lo, exec_lo, s0
	s_delay_alu instid0(VALU_DEP_1)
	v_dual_mov_b32 v74, v58 :: v_dual_mov_b32 v73, v57
.LBB596_81:
	v_mul_u32_u24_e32 v5, 0xe8, v0
	v_mul_i32_i24_e32 v6, 0xffffff20, v0
	s_add_u32 s3, s8, s12
	s_addc_u32 s2, s9, s13
	s_and_b32 vcc_lo, exec_lo, s22
	s_barrier
	buffer_gl0_inv
	s_cbranch_vccz .LBB596_139
; %bb.82:
	v_mad_u32_u24 v1, 0xe8, v0, v6
	ds_store_2addr_b64 v5, v[73:74], v[55:56] offset1:1
	ds_store_2addr_b64 v5, v[143:144], v[51:52] offset0:2 offset1:3
	ds_store_2addr_b64 v5, v[141:142], v[47:48] offset0:4 offset1:5
	ds_store_2addr_b64 v5, v[139:140], v[43:44] offset0:6 offset1:7
	ds_store_2addr_b64 v5, v[137:138], v[39:40] offset0:8 offset1:9
	ds_store_2addr_b64 v5, v[135:136], v[35:36] offset0:10 offset1:11
	ds_store_2addr_b64 v5, v[133:134], v[31:32] offset0:12 offset1:13
	ds_store_2addr_b64 v5, v[131:132], v[27:28] offset0:14 offset1:15
	ds_store_2addr_b64 v5, v[129:130], v[23:24] offset0:16 offset1:17
	ds_store_2addr_b64 v5, v[127:128], v[19:20] offset0:18 offset1:19
	ds_store_2addr_b64 v5, v[125:126], v[15:16] offset0:20 offset1:21
	ds_store_2addr_b64 v5, v[123:124], v[11:12] offset0:22 offset1:23
	ds_store_2addr_b64 v5, v[121:122], v[7:8] offset0:24 offset1:25
	ds_store_2addr_b64 v5, v[119:120], v[3:4] offset0:26 offset1:27
	ds_store_b64 v5, v[117:118] offset:224
	s_waitcnt lgkmcnt(0)
	s_barrier
	buffer_gl0_inv
	ds_load_2addr_stride64_b64 v[111:114], v1 offset0:2 offset1:4
	ds_load_2addr_stride64_b64 v[107:110], v1 offset0:6 offset1:8
	ds_load_2addr_stride64_b64 v[103:106], v1 offset0:10 offset1:12
	ds_load_2addr_stride64_b64 v[99:102], v1 offset0:14 offset1:16
	ds_load_2addr_stride64_b64 v[95:98], v1 offset0:18 offset1:20
	ds_load_2addr_stride64_b64 v[91:94], v1 offset0:22 offset1:24
	ds_load_2addr_stride64_b64 v[87:90], v1 offset0:26 offset1:28
	ds_load_2addr_stride64_b64 v[83:86], v1 offset0:30 offset1:32
	ds_load_2addr_stride64_b64 v[79:82], v1 offset0:34 offset1:36
	ds_load_2addr_stride64_b64 v[75:78], v1 offset0:38 offset1:40
	ds_load_2addr_stride64_b64 v[69:72], v1 offset0:42 offset1:44
	ds_load_2addr_stride64_b64 v[65:68], v1 offset0:46 offset1:48
	ds_load_2addr_stride64_b64 v[61:64], v1 offset0:50 offset1:52
	ds_load_2addr_stride64_b64 v[57:60], v1 offset0:54 offset1:56
	s_mov_b32 s7, 0
	s_add_i32 s11, s11, s10
	s_lshl_b64 s[0:1], s[6:7], 3
	s_delay_alu instid0(SALU_CYCLE_1) | instskip(SKIP_2) | instid1(VALU_DEP_1)
	s_add_u32 s0, s3, s0
	s_addc_u32 s1, s2, s1
	v_add_co_u32 v1, s0, s0, v147
	v_add_co_ci_u32_e64 v2, null, s1, 0, s0
	s_mov_b32 s0, exec_lo
	v_cmpx_gt_u32_e64 s11, v0
	s_cbranch_execz .LBB596_84
; %bb.83:
	v_add_nc_u32_e32 v9, v5, v6
	ds_load_b64 v[9:10], v9
	s_waitcnt lgkmcnt(0)
	global_store_b64 v[1:2], v[9:10], off
.LBB596_84:
	s_or_b32 exec_lo, exec_lo, s0
	v_or_b32_e32 v9, 0x80, v0
	s_mov_b32 s0, exec_lo
	s_delay_alu instid0(VALU_DEP_1)
	v_cmpx_gt_u32_e64 s11, v9
	s_cbranch_execz .LBB596_86
; %bb.85:
	s_waitcnt lgkmcnt(13)
	global_store_b64 v[1:2], v[111:112], off offset:1024
.LBB596_86:
	s_or_b32 exec_lo, exec_lo, s0
	v_or_b32_e32 v9, 0x100, v0
	s_mov_b32 s0, exec_lo
	s_delay_alu instid0(VALU_DEP_1)
	v_cmpx_gt_u32_e64 s11, v9
	s_cbranch_execz .LBB596_88
; %bb.87:
	s_waitcnt lgkmcnt(13)
	global_store_b64 v[1:2], v[113:114], off offset:2048
.LBB596_88:
	;; [unrolled: 10-line block ×3, first 2 shown]
	s_or_b32 exec_lo, exec_lo, s0
	v_or_b32_e32 v9, 0x200, v0
	s_mov_b32 s0, exec_lo
	s_delay_alu instid0(VALU_DEP_1)
	v_cmpx_gt_u32_e64 s11, v9
	s_cbranch_execz .LBB596_92
; %bb.91:
	v_add_co_u32 v9, vcc_lo, 0x1000, v1
	v_add_co_ci_u32_e32 v10, vcc_lo, 0, v2, vcc_lo
	s_waitcnt lgkmcnt(12)
	global_store_b64 v[9:10], v[109:110], off
.LBB596_92:
	s_or_b32 exec_lo, exec_lo, s0
	v_or_b32_e32 v9, 0x280, v0
	s_mov_b32 s0, exec_lo
	s_delay_alu instid0(VALU_DEP_1)
	v_cmpx_gt_u32_e64 s11, v9
	s_cbranch_execz .LBB596_94
; %bb.93:
	v_add_co_u32 v9, vcc_lo, 0x1000, v1
	v_add_co_ci_u32_e32 v10, vcc_lo, 0, v2, vcc_lo
	s_waitcnt lgkmcnt(11)
	global_store_b64 v[9:10], v[103:104], off offset:1024
.LBB596_94:
	s_or_b32 exec_lo, exec_lo, s0
	v_or_b32_e32 v9, 0x300, v0
	s_mov_b32 s0, exec_lo
	s_delay_alu instid0(VALU_DEP_1)
	v_cmpx_gt_u32_e64 s11, v9
	s_cbranch_execz .LBB596_96
; %bb.95:
	v_add_co_u32 v9, vcc_lo, 0x1000, v1
	v_add_co_ci_u32_e32 v10, vcc_lo, 0, v2, vcc_lo
	s_waitcnt lgkmcnt(11)
	global_store_b64 v[9:10], v[105:106], off offset:2048
.LBB596_96:
	s_or_b32 exec_lo, exec_lo, s0
	v_or_b32_e32 v9, 0x380, v0
	s_mov_b32 s0, exec_lo
	s_delay_alu instid0(VALU_DEP_1)
	v_cmpx_gt_u32_e64 s11, v9
	s_cbranch_execz .LBB596_98
; %bb.97:
	v_add_co_u32 v9, vcc_lo, 0x1000, v1
	v_add_co_ci_u32_e32 v10, vcc_lo, 0, v2, vcc_lo
	s_waitcnt lgkmcnt(10)
	global_store_b64 v[9:10], v[99:100], off offset:3072
.LBB596_98:
	s_or_b32 exec_lo, exec_lo, s0
	v_or_b32_e32 v9, 0x400, v0
	s_mov_b32 s0, exec_lo
	s_delay_alu instid0(VALU_DEP_1)
	v_cmpx_gt_u32_e64 s11, v9
	s_cbranch_execz .LBB596_100
; %bb.99:
	v_add_co_u32 v9, vcc_lo, 0x2000, v1
	v_add_co_ci_u32_e32 v10, vcc_lo, 0, v2, vcc_lo
	s_waitcnt lgkmcnt(10)
	global_store_b64 v[9:10], v[101:102], off
.LBB596_100:
	s_or_b32 exec_lo, exec_lo, s0
	v_or_b32_e32 v9, 0x480, v0
	s_mov_b32 s0, exec_lo
	s_delay_alu instid0(VALU_DEP_1)
	v_cmpx_gt_u32_e64 s11, v9
	s_cbranch_execz .LBB596_102
; %bb.101:
	v_add_co_u32 v9, vcc_lo, 0x2000, v1
	v_add_co_ci_u32_e32 v10, vcc_lo, 0, v2, vcc_lo
	s_waitcnt lgkmcnt(9)
	global_store_b64 v[9:10], v[95:96], off offset:1024
.LBB596_102:
	s_or_b32 exec_lo, exec_lo, s0
	v_or_b32_e32 v9, 0x500, v0
	s_mov_b32 s0, exec_lo
	s_delay_alu instid0(VALU_DEP_1)
	v_cmpx_gt_u32_e64 s11, v9
	s_cbranch_execz .LBB596_104
; %bb.103:
	v_add_co_u32 v9, vcc_lo, 0x2000, v1
	v_add_co_ci_u32_e32 v10, vcc_lo, 0, v2, vcc_lo
	s_waitcnt lgkmcnt(9)
	global_store_b64 v[9:10], v[97:98], off offset:2048
.LBB596_104:
	s_or_b32 exec_lo, exec_lo, s0
	v_or_b32_e32 v9, 0x580, v0
	s_mov_b32 s0, exec_lo
	s_delay_alu instid0(VALU_DEP_1)
	v_cmpx_gt_u32_e64 s11, v9
	s_cbranch_execz .LBB596_106
; %bb.105:
	v_add_co_u32 v9, vcc_lo, 0x2000, v1
	v_add_co_ci_u32_e32 v10, vcc_lo, 0, v2, vcc_lo
	s_waitcnt lgkmcnt(8)
	global_store_b64 v[9:10], v[91:92], off offset:3072
.LBB596_106:
	;; [unrolled: 48-line block ×6, first 2 shown]
	s_or_b32 exec_lo, exec_lo, s0
	v_or_b32_e32 v9, 0xe00, v0
	s_delay_alu instid0(VALU_DEP_1)
	v_cmp_gt_u32_e64 s4, s11, v9
	s_branch .LBB596_141
.LBB596_139:
	s_mov_b32 s4, 0
                                        ; implicit-def: $vgpr59_vgpr60
                                        ; implicit-def: $vgpr1_vgpr2
	s_cbranch_execz .LBB596_141
; %bb.140:
	v_mad_u32_u24 v0, 0xe8, v0, v6
	ds_store_2addr_b64 v5, v[73:74], v[55:56] offset1:1
	ds_store_2addr_b64 v5, v[143:144], v[51:52] offset0:2 offset1:3
	ds_store_2addr_b64 v5, v[141:142], v[47:48] offset0:4 offset1:5
	ds_store_2addr_b64 v5, v[139:140], v[43:44] offset0:6 offset1:7
	ds_store_2addr_b64 v5, v[137:138], v[39:40] offset0:8 offset1:9
	ds_store_2addr_b64 v5, v[135:136], v[35:36] offset0:10 offset1:11
	ds_store_2addr_b64 v5, v[133:134], v[31:32] offset0:12 offset1:13
	ds_store_2addr_b64 v5, v[131:132], v[27:28] offset0:14 offset1:15
	ds_store_2addr_b64 v5, v[129:130], v[23:24] offset0:16 offset1:17
	ds_store_2addr_b64 v5, v[127:128], v[19:20] offset0:18 offset1:19
	ds_store_2addr_b64 v5, v[125:126], v[15:16] offset0:20 offset1:21
	ds_store_2addr_b64 v5, v[123:124], v[11:12] offset0:22 offset1:23
	ds_store_2addr_b64 v5, v[121:122], v[7:8] offset0:24 offset1:25
	ds_store_2addr_b64 v5, v[119:120], v[3:4] offset0:26 offset1:27
	ds_store_b64 v5, v[117:118] offset:224
	s_waitcnt lgkmcnt(0)
	s_waitcnt_vscnt null, 0x0
	s_barrier
	buffer_gl0_inv
	ds_load_2addr_stride64_b64 v[3:6], v0 offset1:2
	s_mov_b32 s7, 0
	ds_load_2addr_stride64_b64 v[7:10], v0 offset0:4 offset1:6
	ds_load_2addr_stride64_b64 v[11:14], v0 offset0:8 offset1:10
	;; [unrolled: 1-line block ×13, first 2 shown]
	ds_load_b64 v[59:60], v0 offset:28672
	s_lshl_b64 s[0:1], s[6:7], 3
	s_delay_alu instid0(SALU_CYCLE_1) | instskip(SKIP_2) | instid1(VALU_DEP_1)
	s_add_u32 s0, s3, s0
	s_addc_u32 s1, s2, s1
	v_add_co_u32 v1, s2, s0, v147
	v_add_co_ci_u32_e64 v2, null, s1, 0, s2
	s_or_b32 s4, s4, exec_lo
	s_waitcnt lgkmcnt(14)
	s_clause 0x1
	global_store_b64 v147, v[3:4], s[0:1]
	global_store_b64 v147, v[5:6], s[0:1] offset:1024
	s_waitcnt lgkmcnt(13)
	s_clause 0x1
	global_store_b64 v147, v[7:8], s[0:1] offset:2048
	global_store_b64 v147, v[9:10], s[0:1] offset:3072
	v_add_co_u32 v3, vcc_lo, 0x1000, v1
	v_add_co_ci_u32_e32 v4, vcc_lo, 0, v2, vcc_lo
	v_add_co_u32 v5, vcc_lo, v1, 0x2000
	v_add_co_ci_u32_e32 v6, vcc_lo, 0, v2, vcc_lo
	;; [unrolled: 2-line block ×3, first 2 shown]
	s_waitcnt lgkmcnt(10)
	s_clause 0x4
	global_store_b64 v[5:6], v[19:20], off
	global_store_b64 v[3:4], v[13:14], off offset:1024
	global_store_b64 v[3:4], v[15:16], off offset:2048
	;; [unrolled: 1-line block ×4, first 2 shown]
	v_add_co_u32 v3, vcc_lo, 0x3000, v1
	v_add_co_ci_u32_e32 v4, vcc_lo, 0, v2, vcc_lo
	v_add_co_u32 v9, vcc_lo, v1, 0x4000
	v_add_co_ci_u32_e32 v10, vcc_lo, 0, v2, vcc_lo
	;; [unrolled: 2-line block ×3, first 2 shown]
	s_waitcnt lgkmcnt(9)
	s_clause 0x1
	global_store_b64 v[7:8], v[23:24], off offset:2048
	global_store_b64 v[7:8], v[25:26], off offset:3072
	s_waitcnt lgkmcnt(8)
	global_store_b64 v[3:4], v[29:30], off offset:1024
	s_waitcnt lgkmcnt(7)
	s_clause 0x1
	global_store_b64 v[3:4], v[31:32], off offset:2048
	global_store_b64 v[3:4], v[33:34], off offset:3072
	s_waitcnt lgkmcnt(6)
	global_store_b64 v[13:14], v[37:38], off offset:1024
	s_waitcnt lgkmcnt(5)
	s_clause 0x1
	global_store_b64 v[13:14], v[39:40], off offset:2048
	global_store_b64 v[13:14], v[41:42], off offset:3072
	v_add_co_u32 v3, vcc_lo, 0x5000, v1
	v_add_co_ci_u32_e32 v4, vcc_lo, 0, v2, vcc_lo
	v_add_co_u32 v7, vcc_lo, v1, 0x6000
	v_add_co_ci_u32_e32 v8, vcc_lo, 0, v2, vcc_lo
	;; [unrolled: 2-line block ×3, first 2 shown]
	s_clause 0x1
	global_store_b64 v[9:10], v[27:28], off offset:-4096
	global_store_b64 v[9:10], v[35:36], off
	s_waitcnt lgkmcnt(4)
	global_store_b64 v[7:8], v[43:44], off offset:-4096
	s_waitcnt lgkmcnt(2)
	s_clause 0x4
	global_store_b64 v[7:8], v[51:52], off
	global_store_b64 v[3:4], v[45:46], off offset:1024
	global_store_b64 v[3:4], v[47:48], off offset:2048
	;; [unrolled: 1-line block ×4, first 2 shown]
	s_waitcnt lgkmcnt(1)
	s_clause 0x2
	global_store_b64 v[13:14], v[55:56], off offset:2048
	global_store_b64 v[5:6], v[11:12], off offset:-4096
	global_store_b64 v[13:14], v[57:58], off offset:3072
.LBB596_141:
	s_delay_alu instid0(VALU_DEP_1)
	s_and_saveexec_b32 s0, s4
	s_cbranch_execnz .LBB596_143
; %bb.142:
	s_nop 0
	s_sendmsg sendmsg(MSG_DEALLOC_VGPRS)
	s_endpgm
.LBB596_143:
	v_add_co_u32 v0, vcc_lo, 0x7000, v1
	v_add_co_ci_u32_e32 v1, vcc_lo, 0, v2, vcc_lo
	s_waitcnt lgkmcnt(0)
	global_store_b64 v[0:1], v[59:60], off
	s_nop 0
	s_sendmsg sendmsg(MSG_DEALLOC_VGPRS)
	s_endpgm
	.section	.rodata,"a",@progbits
	.p2align	6, 0x0
	.amdhsa_kernel _ZN7rocprim17ROCPRIM_400000_NS6detail17trampoline_kernelINS0_14default_configENS1_35adjacent_difference_config_selectorILb1EdEEZNS1_24adjacent_difference_implIS3_Lb1ELb0EPKdPdN6thrust23THRUST_200600_302600_NS4plusIdEEEE10hipError_tPvRmT2_T3_mT4_P12ihipStream_tbEUlT_E_NS1_11comp_targetILNS1_3genE9ELNS1_11target_archE1100ELNS1_3gpuE3ELNS1_3repE0EEENS1_30default_config_static_selectorELNS0_4arch9wavefront6targetE0EEEvT1_
		.amdhsa_group_segment_fixed_size 29696
		.amdhsa_private_segment_fixed_size 0
		.amdhsa_kernarg_size 56
		.amdhsa_user_sgpr_count 15
		.amdhsa_user_sgpr_dispatch_ptr 0
		.amdhsa_user_sgpr_queue_ptr 0
		.amdhsa_user_sgpr_kernarg_segment_ptr 1
		.amdhsa_user_sgpr_dispatch_id 0
		.amdhsa_user_sgpr_private_segment_size 0
		.amdhsa_wavefront_size32 1
		.amdhsa_uses_dynamic_stack 0
		.amdhsa_enable_private_segment 0
		.amdhsa_system_sgpr_workgroup_id_x 1
		.amdhsa_system_sgpr_workgroup_id_y 0
		.amdhsa_system_sgpr_workgroup_id_z 0
		.amdhsa_system_sgpr_workgroup_info 0
		.amdhsa_system_vgpr_workitem_id 0
		.amdhsa_next_free_vgpr 148
		.amdhsa_next_free_sgpr 26
		.amdhsa_reserve_vcc 1
		.amdhsa_float_round_mode_32 0
		.amdhsa_float_round_mode_16_64 0
		.amdhsa_float_denorm_mode_32 3
		.amdhsa_float_denorm_mode_16_64 3
		.amdhsa_dx10_clamp 1
		.amdhsa_ieee_mode 1
		.amdhsa_fp16_overflow 0
		.amdhsa_workgroup_processor_mode 1
		.amdhsa_memory_ordered 1
		.amdhsa_forward_progress 0
		.amdhsa_shared_vgpr_count 0
		.amdhsa_exception_fp_ieee_invalid_op 0
		.amdhsa_exception_fp_denorm_src 0
		.amdhsa_exception_fp_ieee_div_zero 0
		.amdhsa_exception_fp_ieee_overflow 0
		.amdhsa_exception_fp_ieee_underflow 0
		.amdhsa_exception_fp_ieee_inexact 0
		.amdhsa_exception_int_div_zero 0
	.end_amdhsa_kernel
	.section	.text._ZN7rocprim17ROCPRIM_400000_NS6detail17trampoline_kernelINS0_14default_configENS1_35adjacent_difference_config_selectorILb1EdEEZNS1_24adjacent_difference_implIS3_Lb1ELb0EPKdPdN6thrust23THRUST_200600_302600_NS4plusIdEEEE10hipError_tPvRmT2_T3_mT4_P12ihipStream_tbEUlT_E_NS1_11comp_targetILNS1_3genE9ELNS1_11target_archE1100ELNS1_3gpuE3ELNS1_3repE0EEENS1_30default_config_static_selectorELNS0_4arch9wavefront6targetE0EEEvT1_,"axG",@progbits,_ZN7rocprim17ROCPRIM_400000_NS6detail17trampoline_kernelINS0_14default_configENS1_35adjacent_difference_config_selectorILb1EdEEZNS1_24adjacent_difference_implIS3_Lb1ELb0EPKdPdN6thrust23THRUST_200600_302600_NS4plusIdEEEE10hipError_tPvRmT2_T3_mT4_P12ihipStream_tbEUlT_E_NS1_11comp_targetILNS1_3genE9ELNS1_11target_archE1100ELNS1_3gpuE3ELNS1_3repE0EEENS1_30default_config_static_selectorELNS0_4arch9wavefront6targetE0EEEvT1_,comdat
.Lfunc_end596:
	.size	_ZN7rocprim17ROCPRIM_400000_NS6detail17trampoline_kernelINS0_14default_configENS1_35adjacent_difference_config_selectorILb1EdEEZNS1_24adjacent_difference_implIS3_Lb1ELb0EPKdPdN6thrust23THRUST_200600_302600_NS4plusIdEEEE10hipError_tPvRmT2_T3_mT4_P12ihipStream_tbEUlT_E_NS1_11comp_targetILNS1_3genE9ELNS1_11target_archE1100ELNS1_3gpuE3ELNS1_3repE0EEENS1_30default_config_static_selectorELNS0_4arch9wavefront6targetE0EEEvT1_, .Lfunc_end596-_ZN7rocprim17ROCPRIM_400000_NS6detail17trampoline_kernelINS0_14default_configENS1_35adjacent_difference_config_selectorILb1EdEEZNS1_24adjacent_difference_implIS3_Lb1ELb0EPKdPdN6thrust23THRUST_200600_302600_NS4plusIdEEEE10hipError_tPvRmT2_T3_mT4_P12ihipStream_tbEUlT_E_NS1_11comp_targetILNS1_3genE9ELNS1_11target_archE1100ELNS1_3gpuE3ELNS1_3repE0EEENS1_30default_config_static_selectorELNS0_4arch9wavefront6targetE0EEEvT1_
                                        ; -- End function
	.section	.AMDGPU.csdata,"",@progbits
; Kernel info:
; codeLenInByte = 8100
; NumSgprs: 28
; NumVgprs: 148
; ScratchSize: 0
; MemoryBound: 0
; FloatMode: 240
; IeeeMode: 1
; LDSByteSize: 29696 bytes/workgroup (compile time only)
; SGPRBlocks: 3
; VGPRBlocks: 18
; NumSGPRsForWavesPerEU: 28
; NumVGPRsForWavesPerEU: 148
; Occupancy: 4
; WaveLimiterHint : 1
; COMPUTE_PGM_RSRC2:SCRATCH_EN: 0
; COMPUTE_PGM_RSRC2:USER_SGPR: 15
; COMPUTE_PGM_RSRC2:TRAP_HANDLER: 0
; COMPUTE_PGM_RSRC2:TGID_X_EN: 1
; COMPUTE_PGM_RSRC2:TGID_Y_EN: 0
; COMPUTE_PGM_RSRC2:TGID_Z_EN: 0
; COMPUTE_PGM_RSRC2:TIDIG_COMP_CNT: 0
	.section	.text._ZN7rocprim17ROCPRIM_400000_NS6detail17trampoline_kernelINS0_14default_configENS1_35adjacent_difference_config_selectorILb1EdEEZNS1_24adjacent_difference_implIS3_Lb1ELb0EPKdPdN6thrust23THRUST_200600_302600_NS4plusIdEEEE10hipError_tPvRmT2_T3_mT4_P12ihipStream_tbEUlT_E_NS1_11comp_targetILNS1_3genE8ELNS1_11target_archE1030ELNS1_3gpuE2ELNS1_3repE0EEENS1_30default_config_static_selectorELNS0_4arch9wavefront6targetE0EEEvT1_,"axG",@progbits,_ZN7rocprim17ROCPRIM_400000_NS6detail17trampoline_kernelINS0_14default_configENS1_35adjacent_difference_config_selectorILb1EdEEZNS1_24adjacent_difference_implIS3_Lb1ELb0EPKdPdN6thrust23THRUST_200600_302600_NS4plusIdEEEE10hipError_tPvRmT2_T3_mT4_P12ihipStream_tbEUlT_E_NS1_11comp_targetILNS1_3genE8ELNS1_11target_archE1030ELNS1_3gpuE2ELNS1_3repE0EEENS1_30default_config_static_selectorELNS0_4arch9wavefront6targetE0EEEvT1_,comdat
	.protected	_ZN7rocprim17ROCPRIM_400000_NS6detail17trampoline_kernelINS0_14default_configENS1_35adjacent_difference_config_selectorILb1EdEEZNS1_24adjacent_difference_implIS3_Lb1ELb0EPKdPdN6thrust23THRUST_200600_302600_NS4plusIdEEEE10hipError_tPvRmT2_T3_mT4_P12ihipStream_tbEUlT_E_NS1_11comp_targetILNS1_3genE8ELNS1_11target_archE1030ELNS1_3gpuE2ELNS1_3repE0EEENS1_30default_config_static_selectorELNS0_4arch9wavefront6targetE0EEEvT1_ ; -- Begin function _ZN7rocprim17ROCPRIM_400000_NS6detail17trampoline_kernelINS0_14default_configENS1_35adjacent_difference_config_selectorILb1EdEEZNS1_24adjacent_difference_implIS3_Lb1ELb0EPKdPdN6thrust23THRUST_200600_302600_NS4plusIdEEEE10hipError_tPvRmT2_T3_mT4_P12ihipStream_tbEUlT_E_NS1_11comp_targetILNS1_3genE8ELNS1_11target_archE1030ELNS1_3gpuE2ELNS1_3repE0EEENS1_30default_config_static_selectorELNS0_4arch9wavefront6targetE0EEEvT1_
	.globl	_ZN7rocprim17ROCPRIM_400000_NS6detail17trampoline_kernelINS0_14default_configENS1_35adjacent_difference_config_selectorILb1EdEEZNS1_24adjacent_difference_implIS3_Lb1ELb0EPKdPdN6thrust23THRUST_200600_302600_NS4plusIdEEEE10hipError_tPvRmT2_T3_mT4_P12ihipStream_tbEUlT_E_NS1_11comp_targetILNS1_3genE8ELNS1_11target_archE1030ELNS1_3gpuE2ELNS1_3repE0EEENS1_30default_config_static_selectorELNS0_4arch9wavefront6targetE0EEEvT1_
	.p2align	8
	.type	_ZN7rocprim17ROCPRIM_400000_NS6detail17trampoline_kernelINS0_14default_configENS1_35adjacent_difference_config_selectorILb1EdEEZNS1_24adjacent_difference_implIS3_Lb1ELb0EPKdPdN6thrust23THRUST_200600_302600_NS4plusIdEEEE10hipError_tPvRmT2_T3_mT4_P12ihipStream_tbEUlT_E_NS1_11comp_targetILNS1_3genE8ELNS1_11target_archE1030ELNS1_3gpuE2ELNS1_3repE0EEENS1_30default_config_static_selectorELNS0_4arch9wavefront6targetE0EEEvT1_,@function
_ZN7rocprim17ROCPRIM_400000_NS6detail17trampoline_kernelINS0_14default_configENS1_35adjacent_difference_config_selectorILb1EdEEZNS1_24adjacent_difference_implIS3_Lb1ELb0EPKdPdN6thrust23THRUST_200600_302600_NS4plusIdEEEE10hipError_tPvRmT2_T3_mT4_P12ihipStream_tbEUlT_E_NS1_11comp_targetILNS1_3genE8ELNS1_11target_archE1030ELNS1_3gpuE2ELNS1_3repE0EEENS1_30default_config_static_selectorELNS0_4arch9wavefront6targetE0EEEvT1_: ; @_ZN7rocprim17ROCPRIM_400000_NS6detail17trampoline_kernelINS0_14default_configENS1_35adjacent_difference_config_selectorILb1EdEEZNS1_24adjacent_difference_implIS3_Lb1ELb0EPKdPdN6thrust23THRUST_200600_302600_NS4plusIdEEEE10hipError_tPvRmT2_T3_mT4_P12ihipStream_tbEUlT_E_NS1_11comp_targetILNS1_3genE8ELNS1_11target_archE1030ELNS1_3gpuE2ELNS1_3repE0EEENS1_30default_config_static_selectorELNS0_4arch9wavefront6targetE0EEEvT1_
; %bb.0:
	.section	.rodata,"a",@progbits
	.p2align	6, 0x0
	.amdhsa_kernel _ZN7rocprim17ROCPRIM_400000_NS6detail17trampoline_kernelINS0_14default_configENS1_35adjacent_difference_config_selectorILb1EdEEZNS1_24adjacent_difference_implIS3_Lb1ELb0EPKdPdN6thrust23THRUST_200600_302600_NS4plusIdEEEE10hipError_tPvRmT2_T3_mT4_P12ihipStream_tbEUlT_E_NS1_11comp_targetILNS1_3genE8ELNS1_11target_archE1030ELNS1_3gpuE2ELNS1_3repE0EEENS1_30default_config_static_selectorELNS0_4arch9wavefront6targetE0EEEvT1_
		.amdhsa_group_segment_fixed_size 0
		.amdhsa_private_segment_fixed_size 0
		.amdhsa_kernarg_size 56
		.amdhsa_user_sgpr_count 15
		.amdhsa_user_sgpr_dispatch_ptr 0
		.amdhsa_user_sgpr_queue_ptr 0
		.amdhsa_user_sgpr_kernarg_segment_ptr 1
		.amdhsa_user_sgpr_dispatch_id 0
		.amdhsa_user_sgpr_private_segment_size 0
		.amdhsa_wavefront_size32 1
		.amdhsa_uses_dynamic_stack 0
		.amdhsa_enable_private_segment 0
		.amdhsa_system_sgpr_workgroup_id_x 1
		.amdhsa_system_sgpr_workgroup_id_y 0
		.amdhsa_system_sgpr_workgroup_id_z 0
		.amdhsa_system_sgpr_workgroup_info 0
		.amdhsa_system_vgpr_workitem_id 0
		.amdhsa_next_free_vgpr 1
		.amdhsa_next_free_sgpr 1
		.amdhsa_reserve_vcc 0
		.amdhsa_float_round_mode_32 0
		.amdhsa_float_round_mode_16_64 0
		.amdhsa_float_denorm_mode_32 3
		.amdhsa_float_denorm_mode_16_64 3
		.amdhsa_dx10_clamp 1
		.amdhsa_ieee_mode 1
		.amdhsa_fp16_overflow 0
		.amdhsa_workgroup_processor_mode 1
		.amdhsa_memory_ordered 1
		.amdhsa_forward_progress 0
		.amdhsa_shared_vgpr_count 0
		.amdhsa_exception_fp_ieee_invalid_op 0
		.amdhsa_exception_fp_denorm_src 0
		.amdhsa_exception_fp_ieee_div_zero 0
		.amdhsa_exception_fp_ieee_overflow 0
		.amdhsa_exception_fp_ieee_underflow 0
		.amdhsa_exception_fp_ieee_inexact 0
		.amdhsa_exception_int_div_zero 0
	.end_amdhsa_kernel
	.section	.text._ZN7rocprim17ROCPRIM_400000_NS6detail17trampoline_kernelINS0_14default_configENS1_35adjacent_difference_config_selectorILb1EdEEZNS1_24adjacent_difference_implIS3_Lb1ELb0EPKdPdN6thrust23THRUST_200600_302600_NS4plusIdEEEE10hipError_tPvRmT2_T3_mT4_P12ihipStream_tbEUlT_E_NS1_11comp_targetILNS1_3genE8ELNS1_11target_archE1030ELNS1_3gpuE2ELNS1_3repE0EEENS1_30default_config_static_selectorELNS0_4arch9wavefront6targetE0EEEvT1_,"axG",@progbits,_ZN7rocprim17ROCPRIM_400000_NS6detail17trampoline_kernelINS0_14default_configENS1_35adjacent_difference_config_selectorILb1EdEEZNS1_24adjacent_difference_implIS3_Lb1ELb0EPKdPdN6thrust23THRUST_200600_302600_NS4plusIdEEEE10hipError_tPvRmT2_T3_mT4_P12ihipStream_tbEUlT_E_NS1_11comp_targetILNS1_3genE8ELNS1_11target_archE1030ELNS1_3gpuE2ELNS1_3repE0EEENS1_30default_config_static_selectorELNS0_4arch9wavefront6targetE0EEEvT1_,comdat
.Lfunc_end597:
	.size	_ZN7rocprim17ROCPRIM_400000_NS6detail17trampoline_kernelINS0_14default_configENS1_35adjacent_difference_config_selectorILb1EdEEZNS1_24adjacent_difference_implIS3_Lb1ELb0EPKdPdN6thrust23THRUST_200600_302600_NS4plusIdEEEE10hipError_tPvRmT2_T3_mT4_P12ihipStream_tbEUlT_E_NS1_11comp_targetILNS1_3genE8ELNS1_11target_archE1030ELNS1_3gpuE2ELNS1_3repE0EEENS1_30default_config_static_selectorELNS0_4arch9wavefront6targetE0EEEvT1_, .Lfunc_end597-_ZN7rocprim17ROCPRIM_400000_NS6detail17trampoline_kernelINS0_14default_configENS1_35adjacent_difference_config_selectorILb1EdEEZNS1_24adjacent_difference_implIS3_Lb1ELb0EPKdPdN6thrust23THRUST_200600_302600_NS4plusIdEEEE10hipError_tPvRmT2_T3_mT4_P12ihipStream_tbEUlT_E_NS1_11comp_targetILNS1_3genE8ELNS1_11target_archE1030ELNS1_3gpuE2ELNS1_3repE0EEENS1_30default_config_static_selectorELNS0_4arch9wavefront6targetE0EEEvT1_
                                        ; -- End function
	.section	.AMDGPU.csdata,"",@progbits
; Kernel info:
; codeLenInByte = 0
; NumSgprs: 0
; NumVgprs: 0
; ScratchSize: 0
; MemoryBound: 0
; FloatMode: 240
; IeeeMode: 1
; LDSByteSize: 0 bytes/workgroup (compile time only)
; SGPRBlocks: 0
; VGPRBlocks: 0
; NumSGPRsForWavesPerEU: 1
; NumVGPRsForWavesPerEU: 1
; Occupancy: 16
; WaveLimiterHint : 0
; COMPUTE_PGM_RSRC2:SCRATCH_EN: 0
; COMPUTE_PGM_RSRC2:USER_SGPR: 15
; COMPUTE_PGM_RSRC2:TRAP_HANDLER: 0
; COMPUTE_PGM_RSRC2:TGID_X_EN: 1
; COMPUTE_PGM_RSRC2:TGID_Y_EN: 0
; COMPUTE_PGM_RSRC2:TGID_Z_EN: 0
; COMPUTE_PGM_RSRC2:TIDIG_COMP_CNT: 0
	.section	.text._ZN7rocprim17ROCPRIM_400000_NS6detail17trampoline_kernelINS0_14default_configENS1_35adjacent_difference_config_selectorILb0EfEEZNS1_24adjacent_difference_implIS3_Lb0ELb0EPKfPfN6thrust23THRUST_200600_302600_NS4plusIfEEEE10hipError_tPvRmT2_T3_mT4_P12ihipStream_tbEUlT_E_NS1_11comp_targetILNS1_3genE0ELNS1_11target_archE4294967295ELNS1_3gpuE0ELNS1_3repE0EEENS1_30default_config_static_selectorELNS0_4arch9wavefront6targetE0EEEvT1_,"axG",@progbits,_ZN7rocprim17ROCPRIM_400000_NS6detail17trampoline_kernelINS0_14default_configENS1_35adjacent_difference_config_selectorILb0EfEEZNS1_24adjacent_difference_implIS3_Lb0ELb0EPKfPfN6thrust23THRUST_200600_302600_NS4plusIfEEEE10hipError_tPvRmT2_T3_mT4_P12ihipStream_tbEUlT_E_NS1_11comp_targetILNS1_3genE0ELNS1_11target_archE4294967295ELNS1_3gpuE0ELNS1_3repE0EEENS1_30default_config_static_selectorELNS0_4arch9wavefront6targetE0EEEvT1_,comdat
	.protected	_ZN7rocprim17ROCPRIM_400000_NS6detail17trampoline_kernelINS0_14default_configENS1_35adjacent_difference_config_selectorILb0EfEEZNS1_24adjacent_difference_implIS3_Lb0ELb0EPKfPfN6thrust23THRUST_200600_302600_NS4plusIfEEEE10hipError_tPvRmT2_T3_mT4_P12ihipStream_tbEUlT_E_NS1_11comp_targetILNS1_3genE0ELNS1_11target_archE4294967295ELNS1_3gpuE0ELNS1_3repE0EEENS1_30default_config_static_selectorELNS0_4arch9wavefront6targetE0EEEvT1_ ; -- Begin function _ZN7rocprim17ROCPRIM_400000_NS6detail17trampoline_kernelINS0_14default_configENS1_35adjacent_difference_config_selectorILb0EfEEZNS1_24adjacent_difference_implIS3_Lb0ELb0EPKfPfN6thrust23THRUST_200600_302600_NS4plusIfEEEE10hipError_tPvRmT2_T3_mT4_P12ihipStream_tbEUlT_E_NS1_11comp_targetILNS1_3genE0ELNS1_11target_archE4294967295ELNS1_3gpuE0ELNS1_3repE0EEENS1_30default_config_static_selectorELNS0_4arch9wavefront6targetE0EEEvT1_
	.globl	_ZN7rocprim17ROCPRIM_400000_NS6detail17trampoline_kernelINS0_14default_configENS1_35adjacent_difference_config_selectorILb0EfEEZNS1_24adjacent_difference_implIS3_Lb0ELb0EPKfPfN6thrust23THRUST_200600_302600_NS4plusIfEEEE10hipError_tPvRmT2_T3_mT4_P12ihipStream_tbEUlT_E_NS1_11comp_targetILNS1_3genE0ELNS1_11target_archE4294967295ELNS1_3gpuE0ELNS1_3repE0EEENS1_30default_config_static_selectorELNS0_4arch9wavefront6targetE0EEEvT1_
	.p2align	8
	.type	_ZN7rocprim17ROCPRIM_400000_NS6detail17trampoline_kernelINS0_14default_configENS1_35adjacent_difference_config_selectorILb0EfEEZNS1_24adjacent_difference_implIS3_Lb0ELb0EPKfPfN6thrust23THRUST_200600_302600_NS4plusIfEEEE10hipError_tPvRmT2_T3_mT4_P12ihipStream_tbEUlT_E_NS1_11comp_targetILNS1_3genE0ELNS1_11target_archE4294967295ELNS1_3gpuE0ELNS1_3repE0EEENS1_30default_config_static_selectorELNS0_4arch9wavefront6targetE0EEEvT1_,@function
_ZN7rocprim17ROCPRIM_400000_NS6detail17trampoline_kernelINS0_14default_configENS1_35adjacent_difference_config_selectorILb0EfEEZNS1_24adjacent_difference_implIS3_Lb0ELb0EPKfPfN6thrust23THRUST_200600_302600_NS4plusIfEEEE10hipError_tPvRmT2_T3_mT4_P12ihipStream_tbEUlT_E_NS1_11comp_targetILNS1_3genE0ELNS1_11target_archE4294967295ELNS1_3gpuE0ELNS1_3repE0EEENS1_30default_config_static_selectorELNS0_4arch9wavefront6targetE0EEEvT1_: ; @_ZN7rocprim17ROCPRIM_400000_NS6detail17trampoline_kernelINS0_14default_configENS1_35adjacent_difference_config_selectorILb0EfEEZNS1_24adjacent_difference_implIS3_Lb0ELb0EPKfPfN6thrust23THRUST_200600_302600_NS4plusIfEEEE10hipError_tPvRmT2_T3_mT4_P12ihipStream_tbEUlT_E_NS1_11comp_targetILNS1_3genE0ELNS1_11target_archE4294967295ELNS1_3gpuE0ELNS1_3repE0EEENS1_30default_config_static_selectorELNS0_4arch9wavefront6targetE0EEEvT1_
; %bb.0:
	.section	.rodata,"a",@progbits
	.p2align	6, 0x0
	.amdhsa_kernel _ZN7rocprim17ROCPRIM_400000_NS6detail17trampoline_kernelINS0_14default_configENS1_35adjacent_difference_config_selectorILb0EfEEZNS1_24adjacent_difference_implIS3_Lb0ELb0EPKfPfN6thrust23THRUST_200600_302600_NS4plusIfEEEE10hipError_tPvRmT2_T3_mT4_P12ihipStream_tbEUlT_E_NS1_11comp_targetILNS1_3genE0ELNS1_11target_archE4294967295ELNS1_3gpuE0ELNS1_3repE0EEENS1_30default_config_static_selectorELNS0_4arch9wavefront6targetE0EEEvT1_
		.amdhsa_group_segment_fixed_size 0
		.amdhsa_private_segment_fixed_size 0
		.amdhsa_kernarg_size 56
		.amdhsa_user_sgpr_count 15
		.amdhsa_user_sgpr_dispatch_ptr 0
		.amdhsa_user_sgpr_queue_ptr 0
		.amdhsa_user_sgpr_kernarg_segment_ptr 1
		.amdhsa_user_sgpr_dispatch_id 0
		.amdhsa_user_sgpr_private_segment_size 0
		.amdhsa_wavefront_size32 1
		.amdhsa_uses_dynamic_stack 0
		.amdhsa_enable_private_segment 0
		.amdhsa_system_sgpr_workgroup_id_x 1
		.amdhsa_system_sgpr_workgroup_id_y 0
		.amdhsa_system_sgpr_workgroup_id_z 0
		.amdhsa_system_sgpr_workgroup_info 0
		.amdhsa_system_vgpr_workitem_id 0
		.amdhsa_next_free_vgpr 1
		.amdhsa_next_free_sgpr 1
		.amdhsa_reserve_vcc 0
		.amdhsa_float_round_mode_32 0
		.amdhsa_float_round_mode_16_64 0
		.amdhsa_float_denorm_mode_32 3
		.amdhsa_float_denorm_mode_16_64 3
		.amdhsa_dx10_clamp 1
		.amdhsa_ieee_mode 1
		.amdhsa_fp16_overflow 0
		.amdhsa_workgroup_processor_mode 1
		.amdhsa_memory_ordered 1
		.amdhsa_forward_progress 0
		.amdhsa_shared_vgpr_count 0
		.amdhsa_exception_fp_ieee_invalid_op 0
		.amdhsa_exception_fp_denorm_src 0
		.amdhsa_exception_fp_ieee_div_zero 0
		.amdhsa_exception_fp_ieee_overflow 0
		.amdhsa_exception_fp_ieee_underflow 0
		.amdhsa_exception_fp_ieee_inexact 0
		.amdhsa_exception_int_div_zero 0
	.end_amdhsa_kernel
	.section	.text._ZN7rocprim17ROCPRIM_400000_NS6detail17trampoline_kernelINS0_14default_configENS1_35adjacent_difference_config_selectorILb0EfEEZNS1_24adjacent_difference_implIS3_Lb0ELb0EPKfPfN6thrust23THRUST_200600_302600_NS4plusIfEEEE10hipError_tPvRmT2_T3_mT4_P12ihipStream_tbEUlT_E_NS1_11comp_targetILNS1_3genE0ELNS1_11target_archE4294967295ELNS1_3gpuE0ELNS1_3repE0EEENS1_30default_config_static_selectorELNS0_4arch9wavefront6targetE0EEEvT1_,"axG",@progbits,_ZN7rocprim17ROCPRIM_400000_NS6detail17trampoline_kernelINS0_14default_configENS1_35adjacent_difference_config_selectorILb0EfEEZNS1_24adjacent_difference_implIS3_Lb0ELb0EPKfPfN6thrust23THRUST_200600_302600_NS4plusIfEEEE10hipError_tPvRmT2_T3_mT4_P12ihipStream_tbEUlT_E_NS1_11comp_targetILNS1_3genE0ELNS1_11target_archE4294967295ELNS1_3gpuE0ELNS1_3repE0EEENS1_30default_config_static_selectorELNS0_4arch9wavefront6targetE0EEEvT1_,comdat
.Lfunc_end598:
	.size	_ZN7rocprim17ROCPRIM_400000_NS6detail17trampoline_kernelINS0_14default_configENS1_35adjacent_difference_config_selectorILb0EfEEZNS1_24adjacent_difference_implIS3_Lb0ELb0EPKfPfN6thrust23THRUST_200600_302600_NS4plusIfEEEE10hipError_tPvRmT2_T3_mT4_P12ihipStream_tbEUlT_E_NS1_11comp_targetILNS1_3genE0ELNS1_11target_archE4294967295ELNS1_3gpuE0ELNS1_3repE0EEENS1_30default_config_static_selectorELNS0_4arch9wavefront6targetE0EEEvT1_, .Lfunc_end598-_ZN7rocprim17ROCPRIM_400000_NS6detail17trampoline_kernelINS0_14default_configENS1_35adjacent_difference_config_selectorILb0EfEEZNS1_24adjacent_difference_implIS3_Lb0ELb0EPKfPfN6thrust23THRUST_200600_302600_NS4plusIfEEEE10hipError_tPvRmT2_T3_mT4_P12ihipStream_tbEUlT_E_NS1_11comp_targetILNS1_3genE0ELNS1_11target_archE4294967295ELNS1_3gpuE0ELNS1_3repE0EEENS1_30default_config_static_selectorELNS0_4arch9wavefront6targetE0EEEvT1_
                                        ; -- End function
	.section	.AMDGPU.csdata,"",@progbits
; Kernel info:
; codeLenInByte = 0
; NumSgprs: 0
; NumVgprs: 0
; ScratchSize: 0
; MemoryBound: 0
; FloatMode: 240
; IeeeMode: 1
; LDSByteSize: 0 bytes/workgroup (compile time only)
; SGPRBlocks: 0
; VGPRBlocks: 0
; NumSGPRsForWavesPerEU: 1
; NumVGPRsForWavesPerEU: 1
; Occupancy: 16
; WaveLimiterHint : 0
; COMPUTE_PGM_RSRC2:SCRATCH_EN: 0
; COMPUTE_PGM_RSRC2:USER_SGPR: 15
; COMPUTE_PGM_RSRC2:TRAP_HANDLER: 0
; COMPUTE_PGM_RSRC2:TGID_X_EN: 1
; COMPUTE_PGM_RSRC2:TGID_Y_EN: 0
; COMPUTE_PGM_RSRC2:TGID_Z_EN: 0
; COMPUTE_PGM_RSRC2:TIDIG_COMP_CNT: 0
	.section	.text._ZN7rocprim17ROCPRIM_400000_NS6detail17trampoline_kernelINS0_14default_configENS1_35adjacent_difference_config_selectorILb0EfEEZNS1_24adjacent_difference_implIS3_Lb0ELb0EPKfPfN6thrust23THRUST_200600_302600_NS4plusIfEEEE10hipError_tPvRmT2_T3_mT4_P12ihipStream_tbEUlT_E_NS1_11comp_targetILNS1_3genE10ELNS1_11target_archE1201ELNS1_3gpuE5ELNS1_3repE0EEENS1_30default_config_static_selectorELNS0_4arch9wavefront6targetE0EEEvT1_,"axG",@progbits,_ZN7rocprim17ROCPRIM_400000_NS6detail17trampoline_kernelINS0_14default_configENS1_35adjacent_difference_config_selectorILb0EfEEZNS1_24adjacent_difference_implIS3_Lb0ELb0EPKfPfN6thrust23THRUST_200600_302600_NS4plusIfEEEE10hipError_tPvRmT2_T3_mT4_P12ihipStream_tbEUlT_E_NS1_11comp_targetILNS1_3genE10ELNS1_11target_archE1201ELNS1_3gpuE5ELNS1_3repE0EEENS1_30default_config_static_selectorELNS0_4arch9wavefront6targetE0EEEvT1_,comdat
	.protected	_ZN7rocprim17ROCPRIM_400000_NS6detail17trampoline_kernelINS0_14default_configENS1_35adjacent_difference_config_selectorILb0EfEEZNS1_24adjacent_difference_implIS3_Lb0ELb0EPKfPfN6thrust23THRUST_200600_302600_NS4plusIfEEEE10hipError_tPvRmT2_T3_mT4_P12ihipStream_tbEUlT_E_NS1_11comp_targetILNS1_3genE10ELNS1_11target_archE1201ELNS1_3gpuE5ELNS1_3repE0EEENS1_30default_config_static_selectorELNS0_4arch9wavefront6targetE0EEEvT1_ ; -- Begin function _ZN7rocprim17ROCPRIM_400000_NS6detail17trampoline_kernelINS0_14default_configENS1_35adjacent_difference_config_selectorILb0EfEEZNS1_24adjacent_difference_implIS3_Lb0ELb0EPKfPfN6thrust23THRUST_200600_302600_NS4plusIfEEEE10hipError_tPvRmT2_T3_mT4_P12ihipStream_tbEUlT_E_NS1_11comp_targetILNS1_3genE10ELNS1_11target_archE1201ELNS1_3gpuE5ELNS1_3repE0EEENS1_30default_config_static_selectorELNS0_4arch9wavefront6targetE0EEEvT1_
	.globl	_ZN7rocprim17ROCPRIM_400000_NS6detail17trampoline_kernelINS0_14default_configENS1_35adjacent_difference_config_selectorILb0EfEEZNS1_24adjacent_difference_implIS3_Lb0ELb0EPKfPfN6thrust23THRUST_200600_302600_NS4plusIfEEEE10hipError_tPvRmT2_T3_mT4_P12ihipStream_tbEUlT_E_NS1_11comp_targetILNS1_3genE10ELNS1_11target_archE1201ELNS1_3gpuE5ELNS1_3repE0EEENS1_30default_config_static_selectorELNS0_4arch9wavefront6targetE0EEEvT1_
	.p2align	8
	.type	_ZN7rocprim17ROCPRIM_400000_NS6detail17trampoline_kernelINS0_14default_configENS1_35adjacent_difference_config_selectorILb0EfEEZNS1_24adjacent_difference_implIS3_Lb0ELb0EPKfPfN6thrust23THRUST_200600_302600_NS4plusIfEEEE10hipError_tPvRmT2_T3_mT4_P12ihipStream_tbEUlT_E_NS1_11comp_targetILNS1_3genE10ELNS1_11target_archE1201ELNS1_3gpuE5ELNS1_3repE0EEENS1_30default_config_static_selectorELNS0_4arch9wavefront6targetE0EEEvT1_,@function
_ZN7rocprim17ROCPRIM_400000_NS6detail17trampoline_kernelINS0_14default_configENS1_35adjacent_difference_config_selectorILb0EfEEZNS1_24adjacent_difference_implIS3_Lb0ELb0EPKfPfN6thrust23THRUST_200600_302600_NS4plusIfEEEE10hipError_tPvRmT2_T3_mT4_P12ihipStream_tbEUlT_E_NS1_11comp_targetILNS1_3genE10ELNS1_11target_archE1201ELNS1_3gpuE5ELNS1_3repE0EEENS1_30default_config_static_selectorELNS0_4arch9wavefront6targetE0EEEvT1_: ; @_ZN7rocprim17ROCPRIM_400000_NS6detail17trampoline_kernelINS0_14default_configENS1_35adjacent_difference_config_selectorILb0EfEEZNS1_24adjacent_difference_implIS3_Lb0ELb0EPKfPfN6thrust23THRUST_200600_302600_NS4plusIfEEEE10hipError_tPvRmT2_T3_mT4_P12ihipStream_tbEUlT_E_NS1_11comp_targetILNS1_3genE10ELNS1_11target_archE1201ELNS1_3gpuE5ELNS1_3repE0EEENS1_30default_config_static_selectorELNS0_4arch9wavefront6targetE0EEEvT1_
; %bb.0:
	.section	.rodata,"a",@progbits
	.p2align	6, 0x0
	.amdhsa_kernel _ZN7rocprim17ROCPRIM_400000_NS6detail17trampoline_kernelINS0_14default_configENS1_35adjacent_difference_config_selectorILb0EfEEZNS1_24adjacent_difference_implIS3_Lb0ELb0EPKfPfN6thrust23THRUST_200600_302600_NS4plusIfEEEE10hipError_tPvRmT2_T3_mT4_P12ihipStream_tbEUlT_E_NS1_11comp_targetILNS1_3genE10ELNS1_11target_archE1201ELNS1_3gpuE5ELNS1_3repE0EEENS1_30default_config_static_selectorELNS0_4arch9wavefront6targetE0EEEvT1_
		.amdhsa_group_segment_fixed_size 0
		.amdhsa_private_segment_fixed_size 0
		.amdhsa_kernarg_size 56
		.amdhsa_user_sgpr_count 15
		.amdhsa_user_sgpr_dispatch_ptr 0
		.amdhsa_user_sgpr_queue_ptr 0
		.amdhsa_user_sgpr_kernarg_segment_ptr 1
		.amdhsa_user_sgpr_dispatch_id 0
		.amdhsa_user_sgpr_private_segment_size 0
		.amdhsa_wavefront_size32 1
		.amdhsa_uses_dynamic_stack 0
		.amdhsa_enable_private_segment 0
		.amdhsa_system_sgpr_workgroup_id_x 1
		.amdhsa_system_sgpr_workgroup_id_y 0
		.amdhsa_system_sgpr_workgroup_id_z 0
		.amdhsa_system_sgpr_workgroup_info 0
		.amdhsa_system_vgpr_workitem_id 0
		.amdhsa_next_free_vgpr 1
		.amdhsa_next_free_sgpr 1
		.amdhsa_reserve_vcc 0
		.amdhsa_float_round_mode_32 0
		.amdhsa_float_round_mode_16_64 0
		.amdhsa_float_denorm_mode_32 3
		.amdhsa_float_denorm_mode_16_64 3
		.amdhsa_dx10_clamp 1
		.amdhsa_ieee_mode 1
		.amdhsa_fp16_overflow 0
		.amdhsa_workgroup_processor_mode 1
		.amdhsa_memory_ordered 1
		.amdhsa_forward_progress 0
		.amdhsa_shared_vgpr_count 0
		.amdhsa_exception_fp_ieee_invalid_op 0
		.amdhsa_exception_fp_denorm_src 0
		.amdhsa_exception_fp_ieee_div_zero 0
		.amdhsa_exception_fp_ieee_overflow 0
		.amdhsa_exception_fp_ieee_underflow 0
		.amdhsa_exception_fp_ieee_inexact 0
		.amdhsa_exception_int_div_zero 0
	.end_amdhsa_kernel
	.section	.text._ZN7rocprim17ROCPRIM_400000_NS6detail17trampoline_kernelINS0_14default_configENS1_35adjacent_difference_config_selectorILb0EfEEZNS1_24adjacent_difference_implIS3_Lb0ELb0EPKfPfN6thrust23THRUST_200600_302600_NS4plusIfEEEE10hipError_tPvRmT2_T3_mT4_P12ihipStream_tbEUlT_E_NS1_11comp_targetILNS1_3genE10ELNS1_11target_archE1201ELNS1_3gpuE5ELNS1_3repE0EEENS1_30default_config_static_selectorELNS0_4arch9wavefront6targetE0EEEvT1_,"axG",@progbits,_ZN7rocprim17ROCPRIM_400000_NS6detail17trampoline_kernelINS0_14default_configENS1_35adjacent_difference_config_selectorILb0EfEEZNS1_24adjacent_difference_implIS3_Lb0ELb0EPKfPfN6thrust23THRUST_200600_302600_NS4plusIfEEEE10hipError_tPvRmT2_T3_mT4_P12ihipStream_tbEUlT_E_NS1_11comp_targetILNS1_3genE10ELNS1_11target_archE1201ELNS1_3gpuE5ELNS1_3repE0EEENS1_30default_config_static_selectorELNS0_4arch9wavefront6targetE0EEEvT1_,comdat
.Lfunc_end599:
	.size	_ZN7rocprim17ROCPRIM_400000_NS6detail17trampoline_kernelINS0_14default_configENS1_35adjacent_difference_config_selectorILb0EfEEZNS1_24adjacent_difference_implIS3_Lb0ELb0EPKfPfN6thrust23THRUST_200600_302600_NS4plusIfEEEE10hipError_tPvRmT2_T3_mT4_P12ihipStream_tbEUlT_E_NS1_11comp_targetILNS1_3genE10ELNS1_11target_archE1201ELNS1_3gpuE5ELNS1_3repE0EEENS1_30default_config_static_selectorELNS0_4arch9wavefront6targetE0EEEvT1_, .Lfunc_end599-_ZN7rocprim17ROCPRIM_400000_NS6detail17trampoline_kernelINS0_14default_configENS1_35adjacent_difference_config_selectorILb0EfEEZNS1_24adjacent_difference_implIS3_Lb0ELb0EPKfPfN6thrust23THRUST_200600_302600_NS4plusIfEEEE10hipError_tPvRmT2_T3_mT4_P12ihipStream_tbEUlT_E_NS1_11comp_targetILNS1_3genE10ELNS1_11target_archE1201ELNS1_3gpuE5ELNS1_3repE0EEENS1_30default_config_static_selectorELNS0_4arch9wavefront6targetE0EEEvT1_
                                        ; -- End function
	.section	.AMDGPU.csdata,"",@progbits
; Kernel info:
; codeLenInByte = 0
; NumSgprs: 0
; NumVgprs: 0
; ScratchSize: 0
; MemoryBound: 0
; FloatMode: 240
; IeeeMode: 1
; LDSByteSize: 0 bytes/workgroup (compile time only)
; SGPRBlocks: 0
; VGPRBlocks: 0
; NumSGPRsForWavesPerEU: 1
; NumVGPRsForWavesPerEU: 1
; Occupancy: 16
; WaveLimiterHint : 0
; COMPUTE_PGM_RSRC2:SCRATCH_EN: 0
; COMPUTE_PGM_RSRC2:USER_SGPR: 15
; COMPUTE_PGM_RSRC2:TRAP_HANDLER: 0
; COMPUTE_PGM_RSRC2:TGID_X_EN: 1
; COMPUTE_PGM_RSRC2:TGID_Y_EN: 0
; COMPUTE_PGM_RSRC2:TGID_Z_EN: 0
; COMPUTE_PGM_RSRC2:TIDIG_COMP_CNT: 0
	.section	.text._ZN7rocprim17ROCPRIM_400000_NS6detail17trampoline_kernelINS0_14default_configENS1_35adjacent_difference_config_selectorILb0EfEEZNS1_24adjacent_difference_implIS3_Lb0ELb0EPKfPfN6thrust23THRUST_200600_302600_NS4plusIfEEEE10hipError_tPvRmT2_T3_mT4_P12ihipStream_tbEUlT_E_NS1_11comp_targetILNS1_3genE5ELNS1_11target_archE942ELNS1_3gpuE9ELNS1_3repE0EEENS1_30default_config_static_selectorELNS0_4arch9wavefront6targetE0EEEvT1_,"axG",@progbits,_ZN7rocprim17ROCPRIM_400000_NS6detail17trampoline_kernelINS0_14default_configENS1_35adjacent_difference_config_selectorILb0EfEEZNS1_24adjacent_difference_implIS3_Lb0ELb0EPKfPfN6thrust23THRUST_200600_302600_NS4plusIfEEEE10hipError_tPvRmT2_T3_mT4_P12ihipStream_tbEUlT_E_NS1_11comp_targetILNS1_3genE5ELNS1_11target_archE942ELNS1_3gpuE9ELNS1_3repE0EEENS1_30default_config_static_selectorELNS0_4arch9wavefront6targetE0EEEvT1_,comdat
	.protected	_ZN7rocprim17ROCPRIM_400000_NS6detail17trampoline_kernelINS0_14default_configENS1_35adjacent_difference_config_selectorILb0EfEEZNS1_24adjacent_difference_implIS3_Lb0ELb0EPKfPfN6thrust23THRUST_200600_302600_NS4plusIfEEEE10hipError_tPvRmT2_T3_mT4_P12ihipStream_tbEUlT_E_NS1_11comp_targetILNS1_3genE5ELNS1_11target_archE942ELNS1_3gpuE9ELNS1_3repE0EEENS1_30default_config_static_selectorELNS0_4arch9wavefront6targetE0EEEvT1_ ; -- Begin function _ZN7rocprim17ROCPRIM_400000_NS6detail17trampoline_kernelINS0_14default_configENS1_35adjacent_difference_config_selectorILb0EfEEZNS1_24adjacent_difference_implIS3_Lb0ELb0EPKfPfN6thrust23THRUST_200600_302600_NS4plusIfEEEE10hipError_tPvRmT2_T3_mT4_P12ihipStream_tbEUlT_E_NS1_11comp_targetILNS1_3genE5ELNS1_11target_archE942ELNS1_3gpuE9ELNS1_3repE0EEENS1_30default_config_static_selectorELNS0_4arch9wavefront6targetE0EEEvT1_
	.globl	_ZN7rocprim17ROCPRIM_400000_NS6detail17trampoline_kernelINS0_14default_configENS1_35adjacent_difference_config_selectorILb0EfEEZNS1_24adjacent_difference_implIS3_Lb0ELb0EPKfPfN6thrust23THRUST_200600_302600_NS4plusIfEEEE10hipError_tPvRmT2_T3_mT4_P12ihipStream_tbEUlT_E_NS1_11comp_targetILNS1_3genE5ELNS1_11target_archE942ELNS1_3gpuE9ELNS1_3repE0EEENS1_30default_config_static_selectorELNS0_4arch9wavefront6targetE0EEEvT1_
	.p2align	8
	.type	_ZN7rocprim17ROCPRIM_400000_NS6detail17trampoline_kernelINS0_14default_configENS1_35adjacent_difference_config_selectorILb0EfEEZNS1_24adjacent_difference_implIS3_Lb0ELb0EPKfPfN6thrust23THRUST_200600_302600_NS4plusIfEEEE10hipError_tPvRmT2_T3_mT4_P12ihipStream_tbEUlT_E_NS1_11comp_targetILNS1_3genE5ELNS1_11target_archE942ELNS1_3gpuE9ELNS1_3repE0EEENS1_30default_config_static_selectorELNS0_4arch9wavefront6targetE0EEEvT1_,@function
_ZN7rocprim17ROCPRIM_400000_NS6detail17trampoline_kernelINS0_14default_configENS1_35adjacent_difference_config_selectorILb0EfEEZNS1_24adjacent_difference_implIS3_Lb0ELb0EPKfPfN6thrust23THRUST_200600_302600_NS4plusIfEEEE10hipError_tPvRmT2_T3_mT4_P12ihipStream_tbEUlT_E_NS1_11comp_targetILNS1_3genE5ELNS1_11target_archE942ELNS1_3gpuE9ELNS1_3repE0EEENS1_30default_config_static_selectorELNS0_4arch9wavefront6targetE0EEEvT1_: ; @_ZN7rocprim17ROCPRIM_400000_NS6detail17trampoline_kernelINS0_14default_configENS1_35adjacent_difference_config_selectorILb0EfEEZNS1_24adjacent_difference_implIS3_Lb0ELb0EPKfPfN6thrust23THRUST_200600_302600_NS4plusIfEEEE10hipError_tPvRmT2_T3_mT4_P12ihipStream_tbEUlT_E_NS1_11comp_targetILNS1_3genE5ELNS1_11target_archE942ELNS1_3gpuE9ELNS1_3repE0EEENS1_30default_config_static_selectorELNS0_4arch9wavefront6targetE0EEEvT1_
; %bb.0:
	.section	.rodata,"a",@progbits
	.p2align	6, 0x0
	.amdhsa_kernel _ZN7rocprim17ROCPRIM_400000_NS6detail17trampoline_kernelINS0_14default_configENS1_35adjacent_difference_config_selectorILb0EfEEZNS1_24adjacent_difference_implIS3_Lb0ELb0EPKfPfN6thrust23THRUST_200600_302600_NS4plusIfEEEE10hipError_tPvRmT2_T3_mT4_P12ihipStream_tbEUlT_E_NS1_11comp_targetILNS1_3genE5ELNS1_11target_archE942ELNS1_3gpuE9ELNS1_3repE0EEENS1_30default_config_static_selectorELNS0_4arch9wavefront6targetE0EEEvT1_
		.amdhsa_group_segment_fixed_size 0
		.amdhsa_private_segment_fixed_size 0
		.amdhsa_kernarg_size 56
		.amdhsa_user_sgpr_count 15
		.amdhsa_user_sgpr_dispatch_ptr 0
		.amdhsa_user_sgpr_queue_ptr 0
		.amdhsa_user_sgpr_kernarg_segment_ptr 1
		.amdhsa_user_sgpr_dispatch_id 0
		.amdhsa_user_sgpr_private_segment_size 0
		.amdhsa_wavefront_size32 1
		.amdhsa_uses_dynamic_stack 0
		.amdhsa_enable_private_segment 0
		.amdhsa_system_sgpr_workgroup_id_x 1
		.amdhsa_system_sgpr_workgroup_id_y 0
		.amdhsa_system_sgpr_workgroup_id_z 0
		.amdhsa_system_sgpr_workgroup_info 0
		.amdhsa_system_vgpr_workitem_id 0
		.amdhsa_next_free_vgpr 1
		.amdhsa_next_free_sgpr 1
		.amdhsa_reserve_vcc 0
		.amdhsa_float_round_mode_32 0
		.amdhsa_float_round_mode_16_64 0
		.amdhsa_float_denorm_mode_32 3
		.amdhsa_float_denorm_mode_16_64 3
		.amdhsa_dx10_clamp 1
		.amdhsa_ieee_mode 1
		.amdhsa_fp16_overflow 0
		.amdhsa_workgroup_processor_mode 1
		.amdhsa_memory_ordered 1
		.amdhsa_forward_progress 0
		.amdhsa_shared_vgpr_count 0
		.amdhsa_exception_fp_ieee_invalid_op 0
		.amdhsa_exception_fp_denorm_src 0
		.amdhsa_exception_fp_ieee_div_zero 0
		.amdhsa_exception_fp_ieee_overflow 0
		.amdhsa_exception_fp_ieee_underflow 0
		.amdhsa_exception_fp_ieee_inexact 0
		.amdhsa_exception_int_div_zero 0
	.end_amdhsa_kernel
	.section	.text._ZN7rocprim17ROCPRIM_400000_NS6detail17trampoline_kernelINS0_14default_configENS1_35adjacent_difference_config_selectorILb0EfEEZNS1_24adjacent_difference_implIS3_Lb0ELb0EPKfPfN6thrust23THRUST_200600_302600_NS4plusIfEEEE10hipError_tPvRmT2_T3_mT4_P12ihipStream_tbEUlT_E_NS1_11comp_targetILNS1_3genE5ELNS1_11target_archE942ELNS1_3gpuE9ELNS1_3repE0EEENS1_30default_config_static_selectorELNS0_4arch9wavefront6targetE0EEEvT1_,"axG",@progbits,_ZN7rocprim17ROCPRIM_400000_NS6detail17trampoline_kernelINS0_14default_configENS1_35adjacent_difference_config_selectorILb0EfEEZNS1_24adjacent_difference_implIS3_Lb0ELb0EPKfPfN6thrust23THRUST_200600_302600_NS4plusIfEEEE10hipError_tPvRmT2_T3_mT4_P12ihipStream_tbEUlT_E_NS1_11comp_targetILNS1_3genE5ELNS1_11target_archE942ELNS1_3gpuE9ELNS1_3repE0EEENS1_30default_config_static_selectorELNS0_4arch9wavefront6targetE0EEEvT1_,comdat
.Lfunc_end600:
	.size	_ZN7rocprim17ROCPRIM_400000_NS6detail17trampoline_kernelINS0_14default_configENS1_35adjacent_difference_config_selectorILb0EfEEZNS1_24adjacent_difference_implIS3_Lb0ELb0EPKfPfN6thrust23THRUST_200600_302600_NS4plusIfEEEE10hipError_tPvRmT2_T3_mT4_P12ihipStream_tbEUlT_E_NS1_11comp_targetILNS1_3genE5ELNS1_11target_archE942ELNS1_3gpuE9ELNS1_3repE0EEENS1_30default_config_static_selectorELNS0_4arch9wavefront6targetE0EEEvT1_, .Lfunc_end600-_ZN7rocprim17ROCPRIM_400000_NS6detail17trampoline_kernelINS0_14default_configENS1_35adjacent_difference_config_selectorILb0EfEEZNS1_24adjacent_difference_implIS3_Lb0ELb0EPKfPfN6thrust23THRUST_200600_302600_NS4plusIfEEEE10hipError_tPvRmT2_T3_mT4_P12ihipStream_tbEUlT_E_NS1_11comp_targetILNS1_3genE5ELNS1_11target_archE942ELNS1_3gpuE9ELNS1_3repE0EEENS1_30default_config_static_selectorELNS0_4arch9wavefront6targetE0EEEvT1_
                                        ; -- End function
	.section	.AMDGPU.csdata,"",@progbits
; Kernel info:
; codeLenInByte = 0
; NumSgprs: 0
; NumVgprs: 0
; ScratchSize: 0
; MemoryBound: 0
; FloatMode: 240
; IeeeMode: 1
; LDSByteSize: 0 bytes/workgroup (compile time only)
; SGPRBlocks: 0
; VGPRBlocks: 0
; NumSGPRsForWavesPerEU: 1
; NumVGPRsForWavesPerEU: 1
; Occupancy: 16
; WaveLimiterHint : 0
; COMPUTE_PGM_RSRC2:SCRATCH_EN: 0
; COMPUTE_PGM_RSRC2:USER_SGPR: 15
; COMPUTE_PGM_RSRC2:TRAP_HANDLER: 0
; COMPUTE_PGM_RSRC2:TGID_X_EN: 1
; COMPUTE_PGM_RSRC2:TGID_Y_EN: 0
; COMPUTE_PGM_RSRC2:TGID_Z_EN: 0
; COMPUTE_PGM_RSRC2:TIDIG_COMP_CNT: 0
	.section	.text._ZN7rocprim17ROCPRIM_400000_NS6detail17trampoline_kernelINS0_14default_configENS1_35adjacent_difference_config_selectorILb0EfEEZNS1_24adjacent_difference_implIS3_Lb0ELb0EPKfPfN6thrust23THRUST_200600_302600_NS4plusIfEEEE10hipError_tPvRmT2_T3_mT4_P12ihipStream_tbEUlT_E_NS1_11comp_targetILNS1_3genE4ELNS1_11target_archE910ELNS1_3gpuE8ELNS1_3repE0EEENS1_30default_config_static_selectorELNS0_4arch9wavefront6targetE0EEEvT1_,"axG",@progbits,_ZN7rocprim17ROCPRIM_400000_NS6detail17trampoline_kernelINS0_14default_configENS1_35adjacent_difference_config_selectorILb0EfEEZNS1_24adjacent_difference_implIS3_Lb0ELb0EPKfPfN6thrust23THRUST_200600_302600_NS4plusIfEEEE10hipError_tPvRmT2_T3_mT4_P12ihipStream_tbEUlT_E_NS1_11comp_targetILNS1_3genE4ELNS1_11target_archE910ELNS1_3gpuE8ELNS1_3repE0EEENS1_30default_config_static_selectorELNS0_4arch9wavefront6targetE0EEEvT1_,comdat
	.protected	_ZN7rocprim17ROCPRIM_400000_NS6detail17trampoline_kernelINS0_14default_configENS1_35adjacent_difference_config_selectorILb0EfEEZNS1_24adjacent_difference_implIS3_Lb0ELb0EPKfPfN6thrust23THRUST_200600_302600_NS4plusIfEEEE10hipError_tPvRmT2_T3_mT4_P12ihipStream_tbEUlT_E_NS1_11comp_targetILNS1_3genE4ELNS1_11target_archE910ELNS1_3gpuE8ELNS1_3repE0EEENS1_30default_config_static_selectorELNS0_4arch9wavefront6targetE0EEEvT1_ ; -- Begin function _ZN7rocprim17ROCPRIM_400000_NS6detail17trampoline_kernelINS0_14default_configENS1_35adjacent_difference_config_selectorILb0EfEEZNS1_24adjacent_difference_implIS3_Lb0ELb0EPKfPfN6thrust23THRUST_200600_302600_NS4plusIfEEEE10hipError_tPvRmT2_T3_mT4_P12ihipStream_tbEUlT_E_NS1_11comp_targetILNS1_3genE4ELNS1_11target_archE910ELNS1_3gpuE8ELNS1_3repE0EEENS1_30default_config_static_selectorELNS0_4arch9wavefront6targetE0EEEvT1_
	.globl	_ZN7rocprim17ROCPRIM_400000_NS6detail17trampoline_kernelINS0_14default_configENS1_35adjacent_difference_config_selectorILb0EfEEZNS1_24adjacent_difference_implIS3_Lb0ELb0EPKfPfN6thrust23THRUST_200600_302600_NS4plusIfEEEE10hipError_tPvRmT2_T3_mT4_P12ihipStream_tbEUlT_E_NS1_11comp_targetILNS1_3genE4ELNS1_11target_archE910ELNS1_3gpuE8ELNS1_3repE0EEENS1_30default_config_static_selectorELNS0_4arch9wavefront6targetE0EEEvT1_
	.p2align	8
	.type	_ZN7rocprim17ROCPRIM_400000_NS6detail17trampoline_kernelINS0_14default_configENS1_35adjacent_difference_config_selectorILb0EfEEZNS1_24adjacent_difference_implIS3_Lb0ELb0EPKfPfN6thrust23THRUST_200600_302600_NS4plusIfEEEE10hipError_tPvRmT2_T3_mT4_P12ihipStream_tbEUlT_E_NS1_11comp_targetILNS1_3genE4ELNS1_11target_archE910ELNS1_3gpuE8ELNS1_3repE0EEENS1_30default_config_static_selectorELNS0_4arch9wavefront6targetE0EEEvT1_,@function
_ZN7rocprim17ROCPRIM_400000_NS6detail17trampoline_kernelINS0_14default_configENS1_35adjacent_difference_config_selectorILb0EfEEZNS1_24adjacent_difference_implIS3_Lb0ELb0EPKfPfN6thrust23THRUST_200600_302600_NS4plusIfEEEE10hipError_tPvRmT2_T3_mT4_P12ihipStream_tbEUlT_E_NS1_11comp_targetILNS1_3genE4ELNS1_11target_archE910ELNS1_3gpuE8ELNS1_3repE0EEENS1_30default_config_static_selectorELNS0_4arch9wavefront6targetE0EEEvT1_: ; @_ZN7rocprim17ROCPRIM_400000_NS6detail17trampoline_kernelINS0_14default_configENS1_35adjacent_difference_config_selectorILb0EfEEZNS1_24adjacent_difference_implIS3_Lb0ELb0EPKfPfN6thrust23THRUST_200600_302600_NS4plusIfEEEE10hipError_tPvRmT2_T3_mT4_P12ihipStream_tbEUlT_E_NS1_11comp_targetILNS1_3genE4ELNS1_11target_archE910ELNS1_3gpuE8ELNS1_3repE0EEENS1_30default_config_static_selectorELNS0_4arch9wavefront6targetE0EEEvT1_
; %bb.0:
	.section	.rodata,"a",@progbits
	.p2align	6, 0x0
	.amdhsa_kernel _ZN7rocprim17ROCPRIM_400000_NS6detail17trampoline_kernelINS0_14default_configENS1_35adjacent_difference_config_selectorILb0EfEEZNS1_24adjacent_difference_implIS3_Lb0ELb0EPKfPfN6thrust23THRUST_200600_302600_NS4plusIfEEEE10hipError_tPvRmT2_T3_mT4_P12ihipStream_tbEUlT_E_NS1_11comp_targetILNS1_3genE4ELNS1_11target_archE910ELNS1_3gpuE8ELNS1_3repE0EEENS1_30default_config_static_selectorELNS0_4arch9wavefront6targetE0EEEvT1_
		.amdhsa_group_segment_fixed_size 0
		.amdhsa_private_segment_fixed_size 0
		.amdhsa_kernarg_size 56
		.amdhsa_user_sgpr_count 15
		.amdhsa_user_sgpr_dispatch_ptr 0
		.amdhsa_user_sgpr_queue_ptr 0
		.amdhsa_user_sgpr_kernarg_segment_ptr 1
		.amdhsa_user_sgpr_dispatch_id 0
		.amdhsa_user_sgpr_private_segment_size 0
		.amdhsa_wavefront_size32 1
		.amdhsa_uses_dynamic_stack 0
		.amdhsa_enable_private_segment 0
		.amdhsa_system_sgpr_workgroup_id_x 1
		.amdhsa_system_sgpr_workgroup_id_y 0
		.amdhsa_system_sgpr_workgroup_id_z 0
		.amdhsa_system_sgpr_workgroup_info 0
		.amdhsa_system_vgpr_workitem_id 0
		.amdhsa_next_free_vgpr 1
		.amdhsa_next_free_sgpr 1
		.amdhsa_reserve_vcc 0
		.amdhsa_float_round_mode_32 0
		.amdhsa_float_round_mode_16_64 0
		.amdhsa_float_denorm_mode_32 3
		.amdhsa_float_denorm_mode_16_64 3
		.amdhsa_dx10_clamp 1
		.amdhsa_ieee_mode 1
		.amdhsa_fp16_overflow 0
		.amdhsa_workgroup_processor_mode 1
		.amdhsa_memory_ordered 1
		.amdhsa_forward_progress 0
		.amdhsa_shared_vgpr_count 0
		.amdhsa_exception_fp_ieee_invalid_op 0
		.amdhsa_exception_fp_denorm_src 0
		.amdhsa_exception_fp_ieee_div_zero 0
		.amdhsa_exception_fp_ieee_overflow 0
		.amdhsa_exception_fp_ieee_underflow 0
		.amdhsa_exception_fp_ieee_inexact 0
		.amdhsa_exception_int_div_zero 0
	.end_amdhsa_kernel
	.section	.text._ZN7rocprim17ROCPRIM_400000_NS6detail17trampoline_kernelINS0_14default_configENS1_35adjacent_difference_config_selectorILb0EfEEZNS1_24adjacent_difference_implIS3_Lb0ELb0EPKfPfN6thrust23THRUST_200600_302600_NS4plusIfEEEE10hipError_tPvRmT2_T3_mT4_P12ihipStream_tbEUlT_E_NS1_11comp_targetILNS1_3genE4ELNS1_11target_archE910ELNS1_3gpuE8ELNS1_3repE0EEENS1_30default_config_static_selectorELNS0_4arch9wavefront6targetE0EEEvT1_,"axG",@progbits,_ZN7rocprim17ROCPRIM_400000_NS6detail17trampoline_kernelINS0_14default_configENS1_35adjacent_difference_config_selectorILb0EfEEZNS1_24adjacent_difference_implIS3_Lb0ELb0EPKfPfN6thrust23THRUST_200600_302600_NS4plusIfEEEE10hipError_tPvRmT2_T3_mT4_P12ihipStream_tbEUlT_E_NS1_11comp_targetILNS1_3genE4ELNS1_11target_archE910ELNS1_3gpuE8ELNS1_3repE0EEENS1_30default_config_static_selectorELNS0_4arch9wavefront6targetE0EEEvT1_,comdat
.Lfunc_end601:
	.size	_ZN7rocprim17ROCPRIM_400000_NS6detail17trampoline_kernelINS0_14default_configENS1_35adjacent_difference_config_selectorILb0EfEEZNS1_24adjacent_difference_implIS3_Lb0ELb0EPKfPfN6thrust23THRUST_200600_302600_NS4plusIfEEEE10hipError_tPvRmT2_T3_mT4_P12ihipStream_tbEUlT_E_NS1_11comp_targetILNS1_3genE4ELNS1_11target_archE910ELNS1_3gpuE8ELNS1_3repE0EEENS1_30default_config_static_selectorELNS0_4arch9wavefront6targetE0EEEvT1_, .Lfunc_end601-_ZN7rocprim17ROCPRIM_400000_NS6detail17trampoline_kernelINS0_14default_configENS1_35adjacent_difference_config_selectorILb0EfEEZNS1_24adjacent_difference_implIS3_Lb0ELb0EPKfPfN6thrust23THRUST_200600_302600_NS4plusIfEEEE10hipError_tPvRmT2_T3_mT4_P12ihipStream_tbEUlT_E_NS1_11comp_targetILNS1_3genE4ELNS1_11target_archE910ELNS1_3gpuE8ELNS1_3repE0EEENS1_30default_config_static_selectorELNS0_4arch9wavefront6targetE0EEEvT1_
                                        ; -- End function
	.section	.AMDGPU.csdata,"",@progbits
; Kernel info:
; codeLenInByte = 0
; NumSgprs: 0
; NumVgprs: 0
; ScratchSize: 0
; MemoryBound: 0
; FloatMode: 240
; IeeeMode: 1
; LDSByteSize: 0 bytes/workgroup (compile time only)
; SGPRBlocks: 0
; VGPRBlocks: 0
; NumSGPRsForWavesPerEU: 1
; NumVGPRsForWavesPerEU: 1
; Occupancy: 16
; WaveLimiterHint : 0
; COMPUTE_PGM_RSRC2:SCRATCH_EN: 0
; COMPUTE_PGM_RSRC2:USER_SGPR: 15
; COMPUTE_PGM_RSRC2:TRAP_HANDLER: 0
; COMPUTE_PGM_RSRC2:TGID_X_EN: 1
; COMPUTE_PGM_RSRC2:TGID_Y_EN: 0
; COMPUTE_PGM_RSRC2:TGID_Z_EN: 0
; COMPUTE_PGM_RSRC2:TIDIG_COMP_CNT: 0
	.section	.text._ZN7rocprim17ROCPRIM_400000_NS6detail17trampoline_kernelINS0_14default_configENS1_35adjacent_difference_config_selectorILb0EfEEZNS1_24adjacent_difference_implIS3_Lb0ELb0EPKfPfN6thrust23THRUST_200600_302600_NS4plusIfEEEE10hipError_tPvRmT2_T3_mT4_P12ihipStream_tbEUlT_E_NS1_11comp_targetILNS1_3genE3ELNS1_11target_archE908ELNS1_3gpuE7ELNS1_3repE0EEENS1_30default_config_static_selectorELNS0_4arch9wavefront6targetE0EEEvT1_,"axG",@progbits,_ZN7rocprim17ROCPRIM_400000_NS6detail17trampoline_kernelINS0_14default_configENS1_35adjacent_difference_config_selectorILb0EfEEZNS1_24adjacent_difference_implIS3_Lb0ELb0EPKfPfN6thrust23THRUST_200600_302600_NS4plusIfEEEE10hipError_tPvRmT2_T3_mT4_P12ihipStream_tbEUlT_E_NS1_11comp_targetILNS1_3genE3ELNS1_11target_archE908ELNS1_3gpuE7ELNS1_3repE0EEENS1_30default_config_static_selectorELNS0_4arch9wavefront6targetE0EEEvT1_,comdat
	.protected	_ZN7rocprim17ROCPRIM_400000_NS6detail17trampoline_kernelINS0_14default_configENS1_35adjacent_difference_config_selectorILb0EfEEZNS1_24adjacent_difference_implIS3_Lb0ELb0EPKfPfN6thrust23THRUST_200600_302600_NS4plusIfEEEE10hipError_tPvRmT2_T3_mT4_P12ihipStream_tbEUlT_E_NS1_11comp_targetILNS1_3genE3ELNS1_11target_archE908ELNS1_3gpuE7ELNS1_3repE0EEENS1_30default_config_static_selectorELNS0_4arch9wavefront6targetE0EEEvT1_ ; -- Begin function _ZN7rocprim17ROCPRIM_400000_NS6detail17trampoline_kernelINS0_14default_configENS1_35adjacent_difference_config_selectorILb0EfEEZNS1_24adjacent_difference_implIS3_Lb0ELb0EPKfPfN6thrust23THRUST_200600_302600_NS4plusIfEEEE10hipError_tPvRmT2_T3_mT4_P12ihipStream_tbEUlT_E_NS1_11comp_targetILNS1_3genE3ELNS1_11target_archE908ELNS1_3gpuE7ELNS1_3repE0EEENS1_30default_config_static_selectorELNS0_4arch9wavefront6targetE0EEEvT1_
	.globl	_ZN7rocprim17ROCPRIM_400000_NS6detail17trampoline_kernelINS0_14default_configENS1_35adjacent_difference_config_selectorILb0EfEEZNS1_24adjacent_difference_implIS3_Lb0ELb0EPKfPfN6thrust23THRUST_200600_302600_NS4plusIfEEEE10hipError_tPvRmT2_T3_mT4_P12ihipStream_tbEUlT_E_NS1_11comp_targetILNS1_3genE3ELNS1_11target_archE908ELNS1_3gpuE7ELNS1_3repE0EEENS1_30default_config_static_selectorELNS0_4arch9wavefront6targetE0EEEvT1_
	.p2align	8
	.type	_ZN7rocprim17ROCPRIM_400000_NS6detail17trampoline_kernelINS0_14default_configENS1_35adjacent_difference_config_selectorILb0EfEEZNS1_24adjacent_difference_implIS3_Lb0ELb0EPKfPfN6thrust23THRUST_200600_302600_NS4plusIfEEEE10hipError_tPvRmT2_T3_mT4_P12ihipStream_tbEUlT_E_NS1_11comp_targetILNS1_3genE3ELNS1_11target_archE908ELNS1_3gpuE7ELNS1_3repE0EEENS1_30default_config_static_selectorELNS0_4arch9wavefront6targetE0EEEvT1_,@function
_ZN7rocprim17ROCPRIM_400000_NS6detail17trampoline_kernelINS0_14default_configENS1_35adjacent_difference_config_selectorILb0EfEEZNS1_24adjacent_difference_implIS3_Lb0ELb0EPKfPfN6thrust23THRUST_200600_302600_NS4plusIfEEEE10hipError_tPvRmT2_T3_mT4_P12ihipStream_tbEUlT_E_NS1_11comp_targetILNS1_3genE3ELNS1_11target_archE908ELNS1_3gpuE7ELNS1_3repE0EEENS1_30default_config_static_selectorELNS0_4arch9wavefront6targetE0EEEvT1_: ; @_ZN7rocprim17ROCPRIM_400000_NS6detail17trampoline_kernelINS0_14default_configENS1_35adjacent_difference_config_selectorILb0EfEEZNS1_24adjacent_difference_implIS3_Lb0ELb0EPKfPfN6thrust23THRUST_200600_302600_NS4plusIfEEEE10hipError_tPvRmT2_T3_mT4_P12ihipStream_tbEUlT_E_NS1_11comp_targetILNS1_3genE3ELNS1_11target_archE908ELNS1_3gpuE7ELNS1_3repE0EEENS1_30default_config_static_selectorELNS0_4arch9wavefront6targetE0EEEvT1_
; %bb.0:
	.section	.rodata,"a",@progbits
	.p2align	6, 0x0
	.amdhsa_kernel _ZN7rocprim17ROCPRIM_400000_NS6detail17trampoline_kernelINS0_14default_configENS1_35adjacent_difference_config_selectorILb0EfEEZNS1_24adjacent_difference_implIS3_Lb0ELb0EPKfPfN6thrust23THRUST_200600_302600_NS4plusIfEEEE10hipError_tPvRmT2_T3_mT4_P12ihipStream_tbEUlT_E_NS1_11comp_targetILNS1_3genE3ELNS1_11target_archE908ELNS1_3gpuE7ELNS1_3repE0EEENS1_30default_config_static_selectorELNS0_4arch9wavefront6targetE0EEEvT1_
		.amdhsa_group_segment_fixed_size 0
		.amdhsa_private_segment_fixed_size 0
		.amdhsa_kernarg_size 56
		.amdhsa_user_sgpr_count 15
		.amdhsa_user_sgpr_dispatch_ptr 0
		.amdhsa_user_sgpr_queue_ptr 0
		.amdhsa_user_sgpr_kernarg_segment_ptr 1
		.amdhsa_user_sgpr_dispatch_id 0
		.amdhsa_user_sgpr_private_segment_size 0
		.amdhsa_wavefront_size32 1
		.amdhsa_uses_dynamic_stack 0
		.amdhsa_enable_private_segment 0
		.amdhsa_system_sgpr_workgroup_id_x 1
		.amdhsa_system_sgpr_workgroup_id_y 0
		.amdhsa_system_sgpr_workgroup_id_z 0
		.amdhsa_system_sgpr_workgroup_info 0
		.amdhsa_system_vgpr_workitem_id 0
		.amdhsa_next_free_vgpr 1
		.amdhsa_next_free_sgpr 1
		.amdhsa_reserve_vcc 0
		.amdhsa_float_round_mode_32 0
		.amdhsa_float_round_mode_16_64 0
		.amdhsa_float_denorm_mode_32 3
		.amdhsa_float_denorm_mode_16_64 3
		.amdhsa_dx10_clamp 1
		.amdhsa_ieee_mode 1
		.amdhsa_fp16_overflow 0
		.amdhsa_workgroup_processor_mode 1
		.amdhsa_memory_ordered 1
		.amdhsa_forward_progress 0
		.amdhsa_shared_vgpr_count 0
		.amdhsa_exception_fp_ieee_invalid_op 0
		.amdhsa_exception_fp_denorm_src 0
		.amdhsa_exception_fp_ieee_div_zero 0
		.amdhsa_exception_fp_ieee_overflow 0
		.amdhsa_exception_fp_ieee_underflow 0
		.amdhsa_exception_fp_ieee_inexact 0
		.amdhsa_exception_int_div_zero 0
	.end_amdhsa_kernel
	.section	.text._ZN7rocprim17ROCPRIM_400000_NS6detail17trampoline_kernelINS0_14default_configENS1_35adjacent_difference_config_selectorILb0EfEEZNS1_24adjacent_difference_implIS3_Lb0ELb0EPKfPfN6thrust23THRUST_200600_302600_NS4plusIfEEEE10hipError_tPvRmT2_T3_mT4_P12ihipStream_tbEUlT_E_NS1_11comp_targetILNS1_3genE3ELNS1_11target_archE908ELNS1_3gpuE7ELNS1_3repE0EEENS1_30default_config_static_selectorELNS0_4arch9wavefront6targetE0EEEvT1_,"axG",@progbits,_ZN7rocprim17ROCPRIM_400000_NS6detail17trampoline_kernelINS0_14default_configENS1_35adjacent_difference_config_selectorILb0EfEEZNS1_24adjacent_difference_implIS3_Lb0ELb0EPKfPfN6thrust23THRUST_200600_302600_NS4plusIfEEEE10hipError_tPvRmT2_T3_mT4_P12ihipStream_tbEUlT_E_NS1_11comp_targetILNS1_3genE3ELNS1_11target_archE908ELNS1_3gpuE7ELNS1_3repE0EEENS1_30default_config_static_selectorELNS0_4arch9wavefront6targetE0EEEvT1_,comdat
.Lfunc_end602:
	.size	_ZN7rocprim17ROCPRIM_400000_NS6detail17trampoline_kernelINS0_14default_configENS1_35adjacent_difference_config_selectorILb0EfEEZNS1_24adjacent_difference_implIS3_Lb0ELb0EPKfPfN6thrust23THRUST_200600_302600_NS4plusIfEEEE10hipError_tPvRmT2_T3_mT4_P12ihipStream_tbEUlT_E_NS1_11comp_targetILNS1_3genE3ELNS1_11target_archE908ELNS1_3gpuE7ELNS1_3repE0EEENS1_30default_config_static_selectorELNS0_4arch9wavefront6targetE0EEEvT1_, .Lfunc_end602-_ZN7rocprim17ROCPRIM_400000_NS6detail17trampoline_kernelINS0_14default_configENS1_35adjacent_difference_config_selectorILb0EfEEZNS1_24adjacent_difference_implIS3_Lb0ELb0EPKfPfN6thrust23THRUST_200600_302600_NS4plusIfEEEE10hipError_tPvRmT2_T3_mT4_P12ihipStream_tbEUlT_E_NS1_11comp_targetILNS1_3genE3ELNS1_11target_archE908ELNS1_3gpuE7ELNS1_3repE0EEENS1_30default_config_static_selectorELNS0_4arch9wavefront6targetE0EEEvT1_
                                        ; -- End function
	.section	.AMDGPU.csdata,"",@progbits
; Kernel info:
; codeLenInByte = 0
; NumSgprs: 0
; NumVgprs: 0
; ScratchSize: 0
; MemoryBound: 0
; FloatMode: 240
; IeeeMode: 1
; LDSByteSize: 0 bytes/workgroup (compile time only)
; SGPRBlocks: 0
; VGPRBlocks: 0
; NumSGPRsForWavesPerEU: 1
; NumVGPRsForWavesPerEU: 1
; Occupancy: 16
; WaveLimiterHint : 0
; COMPUTE_PGM_RSRC2:SCRATCH_EN: 0
; COMPUTE_PGM_RSRC2:USER_SGPR: 15
; COMPUTE_PGM_RSRC2:TRAP_HANDLER: 0
; COMPUTE_PGM_RSRC2:TGID_X_EN: 1
; COMPUTE_PGM_RSRC2:TGID_Y_EN: 0
; COMPUTE_PGM_RSRC2:TGID_Z_EN: 0
; COMPUTE_PGM_RSRC2:TIDIG_COMP_CNT: 0
	.section	.text._ZN7rocprim17ROCPRIM_400000_NS6detail17trampoline_kernelINS0_14default_configENS1_35adjacent_difference_config_selectorILb0EfEEZNS1_24adjacent_difference_implIS3_Lb0ELb0EPKfPfN6thrust23THRUST_200600_302600_NS4plusIfEEEE10hipError_tPvRmT2_T3_mT4_P12ihipStream_tbEUlT_E_NS1_11comp_targetILNS1_3genE2ELNS1_11target_archE906ELNS1_3gpuE6ELNS1_3repE0EEENS1_30default_config_static_selectorELNS0_4arch9wavefront6targetE0EEEvT1_,"axG",@progbits,_ZN7rocprim17ROCPRIM_400000_NS6detail17trampoline_kernelINS0_14default_configENS1_35adjacent_difference_config_selectorILb0EfEEZNS1_24adjacent_difference_implIS3_Lb0ELb0EPKfPfN6thrust23THRUST_200600_302600_NS4plusIfEEEE10hipError_tPvRmT2_T3_mT4_P12ihipStream_tbEUlT_E_NS1_11comp_targetILNS1_3genE2ELNS1_11target_archE906ELNS1_3gpuE6ELNS1_3repE0EEENS1_30default_config_static_selectorELNS0_4arch9wavefront6targetE0EEEvT1_,comdat
	.protected	_ZN7rocprim17ROCPRIM_400000_NS6detail17trampoline_kernelINS0_14default_configENS1_35adjacent_difference_config_selectorILb0EfEEZNS1_24adjacent_difference_implIS3_Lb0ELb0EPKfPfN6thrust23THRUST_200600_302600_NS4plusIfEEEE10hipError_tPvRmT2_T3_mT4_P12ihipStream_tbEUlT_E_NS1_11comp_targetILNS1_3genE2ELNS1_11target_archE906ELNS1_3gpuE6ELNS1_3repE0EEENS1_30default_config_static_selectorELNS0_4arch9wavefront6targetE0EEEvT1_ ; -- Begin function _ZN7rocprim17ROCPRIM_400000_NS6detail17trampoline_kernelINS0_14default_configENS1_35adjacent_difference_config_selectorILb0EfEEZNS1_24adjacent_difference_implIS3_Lb0ELb0EPKfPfN6thrust23THRUST_200600_302600_NS4plusIfEEEE10hipError_tPvRmT2_T3_mT4_P12ihipStream_tbEUlT_E_NS1_11comp_targetILNS1_3genE2ELNS1_11target_archE906ELNS1_3gpuE6ELNS1_3repE0EEENS1_30default_config_static_selectorELNS0_4arch9wavefront6targetE0EEEvT1_
	.globl	_ZN7rocprim17ROCPRIM_400000_NS6detail17trampoline_kernelINS0_14default_configENS1_35adjacent_difference_config_selectorILb0EfEEZNS1_24adjacent_difference_implIS3_Lb0ELb0EPKfPfN6thrust23THRUST_200600_302600_NS4plusIfEEEE10hipError_tPvRmT2_T3_mT4_P12ihipStream_tbEUlT_E_NS1_11comp_targetILNS1_3genE2ELNS1_11target_archE906ELNS1_3gpuE6ELNS1_3repE0EEENS1_30default_config_static_selectorELNS0_4arch9wavefront6targetE0EEEvT1_
	.p2align	8
	.type	_ZN7rocprim17ROCPRIM_400000_NS6detail17trampoline_kernelINS0_14default_configENS1_35adjacent_difference_config_selectorILb0EfEEZNS1_24adjacent_difference_implIS3_Lb0ELb0EPKfPfN6thrust23THRUST_200600_302600_NS4plusIfEEEE10hipError_tPvRmT2_T3_mT4_P12ihipStream_tbEUlT_E_NS1_11comp_targetILNS1_3genE2ELNS1_11target_archE906ELNS1_3gpuE6ELNS1_3repE0EEENS1_30default_config_static_selectorELNS0_4arch9wavefront6targetE0EEEvT1_,@function
_ZN7rocprim17ROCPRIM_400000_NS6detail17trampoline_kernelINS0_14default_configENS1_35adjacent_difference_config_selectorILb0EfEEZNS1_24adjacent_difference_implIS3_Lb0ELb0EPKfPfN6thrust23THRUST_200600_302600_NS4plusIfEEEE10hipError_tPvRmT2_T3_mT4_P12ihipStream_tbEUlT_E_NS1_11comp_targetILNS1_3genE2ELNS1_11target_archE906ELNS1_3gpuE6ELNS1_3repE0EEENS1_30default_config_static_selectorELNS0_4arch9wavefront6targetE0EEEvT1_: ; @_ZN7rocprim17ROCPRIM_400000_NS6detail17trampoline_kernelINS0_14default_configENS1_35adjacent_difference_config_selectorILb0EfEEZNS1_24adjacent_difference_implIS3_Lb0ELb0EPKfPfN6thrust23THRUST_200600_302600_NS4plusIfEEEE10hipError_tPvRmT2_T3_mT4_P12ihipStream_tbEUlT_E_NS1_11comp_targetILNS1_3genE2ELNS1_11target_archE906ELNS1_3gpuE6ELNS1_3repE0EEENS1_30default_config_static_selectorELNS0_4arch9wavefront6targetE0EEEvT1_
; %bb.0:
	.section	.rodata,"a",@progbits
	.p2align	6, 0x0
	.amdhsa_kernel _ZN7rocprim17ROCPRIM_400000_NS6detail17trampoline_kernelINS0_14default_configENS1_35adjacent_difference_config_selectorILb0EfEEZNS1_24adjacent_difference_implIS3_Lb0ELb0EPKfPfN6thrust23THRUST_200600_302600_NS4plusIfEEEE10hipError_tPvRmT2_T3_mT4_P12ihipStream_tbEUlT_E_NS1_11comp_targetILNS1_3genE2ELNS1_11target_archE906ELNS1_3gpuE6ELNS1_3repE0EEENS1_30default_config_static_selectorELNS0_4arch9wavefront6targetE0EEEvT1_
		.amdhsa_group_segment_fixed_size 0
		.amdhsa_private_segment_fixed_size 0
		.amdhsa_kernarg_size 56
		.amdhsa_user_sgpr_count 15
		.amdhsa_user_sgpr_dispatch_ptr 0
		.amdhsa_user_sgpr_queue_ptr 0
		.amdhsa_user_sgpr_kernarg_segment_ptr 1
		.amdhsa_user_sgpr_dispatch_id 0
		.amdhsa_user_sgpr_private_segment_size 0
		.amdhsa_wavefront_size32 1
		.amdhsa_uses_dynamic_stack 0
		.amdhsa_enable_private_segment 0
		.amdhsa_system_sgpr_workgroup_id_x 1
		.amdhsa_system_sgpr_workgroup_id_y 0
		.amdhsa_system_sgpr_workgroup_id_z 0
		.amdhsa_system_sgpr_workgroup_info 0
		.amdhsa_system_vgpr_workitem_id 0
		.amdhsa_next_free_vgpr 1
		.amdhsa_next_free_sgpr 1
		.amdhsa_reserve_vcc 0
		.amdhsa_float_round_mode_32 0
		.amdhsa_float_round_mode_16_64 0
		.amdhsa_float_denorm_mode_32 3
		.amdhsa_float_denorm_mode_16_64 3
		.amdhsa_dx10_clamp 1
		.amdhsa_ieee_mode 1
		.amdhsa_fp16_overflow 0
		.amdhsa_workgroup_processor_mode 1
		.amdhsa_memory_ordered 1
		.amdhsa_forward_progress 0
		.amdhsa_shared_vgpr_count 0
		.amdhsa_exception_fp_ieee_invalid_op 0
		.amdhsa_exception_fp_denorm_src 0
		.amdhsa_exception_fp_ieee_div_zero 0
		.amdhsa_exception_fp_ieee_overflow 0
		.amdhsa_exception_fp_ieee_underflow 0
		.amdhsa_exception_fp_ieee_inexact 0
		.amdhsa_exception_int_div_zero 0
	.end_amdhsa_kernel
	.section	.text._ZN7rocprim17ROCPRIM_400000_NS6detail17trampoline_kernelINS0_14default_configENS1_35adjacent_difference_config_selectorILb0EfEEZNS1_24adjacent_difference_implIS3_Lb0ELb0EPKfPfN6thrust23THRUST_200600_302600_NS4plusIfEEEE10hipError_tPvRmT2_T3_mT4_P12ihipStream_tbEUlT_E_NS1_11comp_targetILNS1_3genE2ELNS1_11target_archE906ELNS1_3gpuE6ELNS1_3repE0EEENS1_30default_config_static_selectorELNS0_4arch9wavefront6targetE0EEEvT1_,"axG",@progbits,_ZN7rocprim17ROCPRIM_400000_NS6detail17trampoline_kernelINS0_14default_configENS1_35adjacent_difference_config_selectorILb0EfEEZNS1_24adjacent_difference_implIS3_Lb0ELb0EPKfPfN6thrust23THRUST_200600_302600_NS4plusIfEEEE10hipError_tPvRmT2_T3_mT4_P12ihipStream_tbEUlT_E_NS1_11comp_targetILNS1_3genE2ELNS1_11target_archE906ELNS1_3gpuE6ELNS1_3repE0EEENS1_30default_config_static_selectorELNS0_4arch9wavefront6targetE0EEEvT1_,comdat
.Lfunc_end603:
	.size	_ZN7rocprim17ROCPRIM_400000_NS6detail17trampoline_kernelINS0_14default_configENS1_35adjacent_difference_config_selectorILb0EfEEZNS1_24adjacent_difference_implIS3_Lb0ELb0EPKfPfN6thrust23THRUST_200600_302600_NS4plusIfEEEE10hipError_tPvRmT2_T3_mT4_P12ihipStream_tbEUlT_E_NS1_11comp_targetILNS1_3genE2ELNS1_11target_archE906ELNS1_3gpuE6ELNS1_3repE0EEENS1_30default_config_static_selectorELNS0_4arch9wavefront6targetE0EEEvT1_, .Lfunc_end603-_ZN7rocprim17ROCPRIM_400000_NS6detail17trampoline_kernelINS0_14default_configENS1_35adjacent_difference_config_selectorILb0EfEEZNS1_24adjacent_difference_implIS3_Lb0ELb0EPKfPfN6thrust23THRUST_200600_302600_NS4plusIfEEEE10hipError_tPvRmT2_T3_mT4_P12ihipStream_tbEUlT_E_NS1_11comp_targetILNS1_3genE2ELNS1_11target_archE906ELNS1_3gpuE6ELNS1_3repE0EEENS1_30default_config_static_selectorELNS0_4arch9wavefront6targetE0EEEvT1_
                                        ; -- End function
	.section	.AMDGPU.csdata,"",@progbits
; Kernel info:
; codeLenInByte = 0
; NumSgprs: 0
; NumVgprs: 0
; ScratchSize: 0
; MemoryBound: 0
; FloatMode: 240
; IeeeMode: 1
; LDSByteSize: 0 bytes/workgroup (compile time only)
; SGPRBlocks: 0
; VGPRBlocks: 0
; NumSGPRsForWavesPerEU: 1
; NumVGPRsForWavesPerEU: 1
; Occupancy: 16
; WaveLimiterHint : 0
; COMPUTE_PGM_RSRC2:SCRATCH_EN: 0
; COMPUTE_PGM_RSRC2:USER_SGPR: 15
; COMPUTE_PGM_RSRC2:TRAP_HANDLER: 0
; COMPUTE_PGM_RSRC2:TGID_X_EN: 1
; COMPUTE_PGM_RSRC2:TGID_Y_EN: 0
; COMPUTE_PGM_RSRC2:TGID_Z_EN: 0
; COMPUTE_PGM_RSRC2:TIDIG_COMP_CNT: 0
	.section	.text._ZN7rocprim17ROCPRIM_400000_NS6detail17trampoline_kernelINS0_14default_configENS1_35adjacent_difference_config_selectorILb0EfEEZNS1_24adjacent_difference_implIS3_Lb0ELb0EPKfPfN6thrust23THRUST_200600_302600_NS4plusIfEEEE10hipError_tPvRmT2_T3_mT4_P12ihipStream_tbEUlT_E_NS1_11comp_targetILNS1_3genE9ELNS1_11target_archE1100ELNS1_3gpuE3ELNS1_3repE0EEENS1_30default_config_static_selectorELNS0_4arch9wavefront6targetE0EEEvT1_,"axG",@progbits,_ZN7rocprim17ROCPRIM_400000_NS6detail17trampoline_kernelINS0_14default_configENS1_35adjacent_difference_config_selectorILb0EfEEZNS1_24adjacent_difference_implIS3_Lb0ELb0EPKfPfN6thrust23THRUST_200600_302600_NS4plusIfEEEE10hipError_tPvRmT2_T3_mT4_P12ihipStream_tbEUlT_E_NS1_11comp_targetILNS1_3genE9ELNS1_11target_archE1100ELNS1_3gpuE3ELNS1_3repE0EEENS1_30default_config_static_selectorELNS0_4arch9wavefront6targetE0EEEvT1_,comdat
	.protected	_ZN7rocprim17ROCPRIM_400000_NS6detail17trampoline_kernelINS0_14default_configENS1_35adjacent_difference_config_selectorILb0EfEEZNS1_24adjacent_difference_implIS3_Lb0ELb0EPKfPfN6thrust23THRUST_200600_302600_NS4plusIfEEEE10hipError_tPvRmT2_T3_mT4_P12ihipStream_tbEUlT_E_NS1_11comp_targetILNS1_3genE9ELNS1_11target_archE1100ELNS1_3gpuE3ELNS1_3repE0EEENS1_30default_config_static_selectorELNS0_4arch9wavefront6targetE0EEEvT1_ ; -- Begin function _ZN7rocprim17ROCPRIM_400000_NS6detail17trampoline_kernelINS0_14default_configENS1_35adjacent_difference_config_selectorILb0EfEEZNS1_24adjacent_difference_implIS3_Lb0ELb0EPKfPfN6thrust23THRUST_200600_302600_NS4plusIfEEEE10hipError_tPvRmT2_T3_mT4_P12ihipStream_tbEUlT_E_NS1_11comp_targetILNS1_3genE9ELNS1_11target_archE1100ELNS1_3gpuE3ELNS1_3repE0EEENS1_30default_config_static_selectorELNS0_4arch9wavefront6targetE0EEEvT1_
	.globl	_ZN7rocprim17ROCPRIM_400000_NS6detail17trampoline_kernelINS0_14default_configENS1_35adjacent_difference_config_selectorILb0EfEEZNS1_24adjacent_difference_implIS3_Lb0ELb0EPKfPfN6thrust23THRUST_200600_302600_NS4plusIfEEEE10hipError_tPvRmT2_T3_mT4_P12ihipStream_tbEUlT_E_NS1_11comp_targetILNS1_3genE9ELNS1_11target_archE1100ELNS1_3gpuE3ELNS1_3repE0EEENS1_30default_config_static_selectorELNS0_4arch9wavefront6targetE0EEEvT1_
	.p2align	8
	.type	_ZN7rocprim17ROCPRIM_400000_NS6detail17trampoline_kernelINS0_14default_configENS1_35adjacent_difference_config_selectorILb0EfEEZNS1_24adjacent_difference_implIS3_Lb0ELb0EPKfPfN6thrust23THRUST_200600_302600_NS4plusIfEEEE10hipError_tPvRmT2_T3_mT4_P12ihipStream_tbEUlT_E_NS1_11comp_targetILNS1_3genE9ELNS1_11target_archE1100ELNS1_3gpuE3ELNS1_3repE0EEENS1_30default_config_static_selectorELNS0_4arch9wavefront6targetE0EEEvT1_,@function
_ZN7rocprim17ROCPRIM_400000_NS6detail17trampoline_kernelINS0_14default_configENS1_35adjacent_difference_config_selectorILb0EfEEZNS1_24adjacent_difference_implIS3_Lb0ELb0EPKfPfN6thrust23THRUST_200600_302600_NS4plusIfEEEE10hipError_tPvRmT2_T3_mT4_P12ihipStream_tbEUlT_E_NS1_11comp_targetILNS1_3genE9ELNS1_11target_archE1100ELNS1_3gpuE3ELNS1_3repE0EEENS1_30default_config_static_selectorELNS0_4arch9wavefront6targetE0EEEvT1_: ; @_ZN7rocprim17ROCPRIM_400000_NS6detail17trampoline_kernelINS0_14default_configENS1_35adjacent_difference_config_selectorILb0EfEEZNS1_24adjacent_difference_implIS3_Lb0ELb0EPKfPfN6thrust23THRUST_200600_302600_NS4plusIfEEEE10hipError_tPvRmT2_T3_mT4_P12ihipStream_tbEUlT_E_NS1_11comp_targetILNS1_3genE9ELNS1_11target_archE1100ELNS1_3gpuE3ELNS1_3repE0EEENS1_30default_config_static_selectorELNS0_4arch9wavefront6targetE0EEEvT1_
; %bb.0:
	s_load_b256 s[4:11], s[0:1], 0x0
	s_mov_b32 s2, 0x2cccca00
	s_waitcnt lgkmcnt(0)
	s_lshl_b64 s[12:13], s[6:7], 2
	s_delay_alu instid0(SALU_CYCLE_1) | instskip(SKIP_4) | instid1(VALU_DEP_1)
	s_add_u32 s17, s4, s12
	s_addc_u32 s18, s5, s13
	s_add_u32 s2, 0x230, s2
	s_addc_u32 s3, 0, 0
	v_add_co_u32 v1, s2, 0xa0000000, s2
	s_cmp_lg_u32 s2, 0
	s_addc_u32 s3, s3, 0xccccc
	s_delay_alu instid0(VALU_DEP_1) | instskip(SKIP_1) | instid1(VALU_DEP_1)
	v_readfirstlane_b32 s2, v1
	s_mul_i32 s4, s3, 0xffffec00
	s_mul_hi_u32 s5, s2, 0xffffec00
	s_mul_i32 s6, s2, 0xffffec00
	s_sub_i32 s5, s5, s2
	s_mul_hi_u32 s7, s2, s6
	s_add_i32 s5, s5, s4
	s_mul_hi_u32 s14, s3, s6
	s_mul_i32 s4, s3, s6
	s_mul_hi_u32 s6, s2, s5
	s_mul_i32 s2, s2, s5
	s_mul_hi_u32 s16, s3, s5
	s_add_u32 s2, s7, s2
	s_addc_u32 s6, 0, s6
	s_add_u32 s2, s2, s4
	s_mul_i32 s5, s3, s5
	s_addc_u32 s2, s6, s14
	s_addc_u32 s4, s16, 0
	s_add_u32 s2, s2, s5
	s_addc_u32 s4, 0, s4
	v_add_co_u32 v1, s2, v1, s2
	s_delay_alu instid0(VALU_DEP_1) | instskip(SKIP_1) | instid1(VALU_DEP_1)
	s_cmp_lg_u32 s2, 0
	s_addc_u32 s2, s3, s4
	v_readfirstlane_b32 s3, v1
	s_mul_i32 s5, s10, s2
	s_mul_hi_u32 s4, s10, s2
	s_mul_hi_u32 s6, s11, s2
	s_mul_i32 s2, s11, s2
	s_mul_hi_u32 s7, s10, s3
	s_mul_hi_u32 s14, s11, s3
	s_mul_i32 s3, s11, s3
	s_add_u32 s5, s7, s5
	s_addc_u32 s4, 0, s4
	s_add_u32 s3, s5, s3
	s_addc_u32 s3, s4, s14
	s_addc_u32 s4, s6, 0
	s_add_u32 s5, s3, s2
	s_addc_u32 s4, 0, s4
	s_mul_i32 s3, s5, 0x1400
	s_add_u32 s2, s5, 1
	v_sub_co_u32 v1, s3, s10, s3
	s_mul_hi_u32 s6, s5, 0x1400
	s_addc_u32 s7, s4, 0
	s_mul_i32 s14, s4, 0x1400
	s_delay_alu instid0(VALU_DEP_1)
	v_subrev_co_u32 v2, s16, 0x1400, v1
	s_add_u32 s19, s5, 2
	s_addc_u32 s20, s4, 0
	s_add_i32 s6, s6, s14
	s_cmp_lg_u32 s3, 0
	v_readfirstlane_b32 s3, v2
	s_subb_u32 s6, s11, s6
	s_cmp_lg_u32 s16, 0
	s_subb_u32 s14, s6, 0
	s_delay_alu instid0(VALU_DEP_1) | instskip(SKIP_4) | instid1(SALU_CYCLE_1)
	s_cmpk_gt_u32 s3, 0x13ff
	s_cselect_b32 s3, -1, 0
	s_cmp_eq_u32 s14, 0
	v_readfirstlane_b32 s14, v1
	s_cselect_b32 s3, s3, -1
	s_cmp_lg_u32 s3, 0
	s_cselect_b32 s16, s19, s2
	s_cselect_b32 s7, s20, s7
	s_cmpk_gt_u32 s14, 0x13ff
	s_mov_b32 s14, -1
	s_cselect_b32 s2, -1, 0
	s_cmp_eq_u32 s6, 0
	s_cselect_b32 s2, s2, -1
	s_delay_alu instid0(SALU_CYCLE_1)
	s_cmp_lg_u32 s2, 0
	s_load_b64 s[2:3], s[0:1], 0x30
	s_cselect_b32 s4, s7, s4
	s_cselect_b32 s5, s16, s5
	s_mul_i32 s0, s4, 0x1400
	s_mul_hi_u32 s1, s5, 0x1400
	s_mul_i32 s6, s5, 0x1400
	s_add_i32 s1, s1, s0
	s_sub_u32 s0, s10, s6
	s_subb_u32 s1, s11, s1
	s_mul_i32 s6, s15, 0x1400
	s_cmp_lg_u64 s[0:1], 0
	s_mov_b32 s7, 0
	s_cselect_b32 s0, -1, 0
	s_delay_alu instid0(SALU_CYCLE_1) | instskip(NEXT) | instid1(VALU_DEP_1)
	v_cndmask_b32_e64 v1, 0, 1, s0
	v_readfirstlane_b32 s0, v1
	s_delay_alu instid0(VALU_DEP_1)
	s_add_u32 s0, s5, s0
	s_addc_u32 s1, s4, 0
	s_waitcnt lgkmcnt(0)
	s_add_u32 s2, s2, s15
	s_addc_u32 s3, s3, 0
	s_add_u32 s4, s0, -1
	s_addc_u32 s5, s1, -1
	s_mul_i32 s11, s4, 0xffffec00
	v_cmp_ge_u64_e64 s16, s[2:3], s[4:5]
	s_delay_alu instid0(VALU_DEP_1)
	s_and_b32 vcc_lo, exec_lo, s16
	s_cbranch_vccz .LBB604_12
; %bb.1:
	s_lshl_b64 s[14:15], s[6:7], 2
	s_add_i32 s19, s11, s10
	s_add_u32 s14, s17, s14
	s_addc_u32 s15, s18, s15
	s_mov_b32 s7, exec_lo
                                        ; implicit-def: $vgpr1_vgpr2_vgpr3_vgpr4_vgpr5
	v_cmpx_gt_u32_e64 s19, v0
	s_cbranch_execz .LBB604_3
; %bb.2:
	v_lshlrev_b32_e32 v1, 2, v0
	global_load_b32 v1, v1, s[14:15]
.LBB604_3:
	s_or_b32 exec_lo, exec_lo, s7
	v_or_b32_e32 v6, 0x400, v0
	s_mov_b32 s7, exec_lo
	s_delay_alu instid0(VALU_DEP_1)
	v_cmpx_gt_u32_e64 s19, v6
	s_cbranch_execz .LBB604_5
; %bb.4:
	v_lshlrev_b32_e32 v2, 2, v6
	global_load_b32 v2, v2, s[14:15]
.LBB604_5:
	s_or_b32 exec_lo, exec_lo, s7
	v_or_b32_e32 v6, 0x800, v0
	s_mov_b32 s7, exec_lo
	s_delay_alu instid0(VALU_DEP_1)
	;; [unrolled: 10-line block ×4, first 2 shown]
	v_cmpx_gt_u32_e64 s19, v6
	s_cbranch_execz .LBB604_11
; %bb.10:
	v_lshlrev_b32_e32 v5, 2, v6
	global_load_b32 v5, v5, s[14:15]
.LBB604_11:
	s_or_b32 exec_lo, exec_lo, s7
	v_lshlrev_b32_e32 v6, 2, v0
	s_mov_b32 s14, 0
	s_waitcnt vmcnt(0)
	ds_store_2addr_stride64_b32 v6, v1, v2 offset1:16
	ds_store_2addr_stride64_b32 v6, v3, v4 offset0:32 offset1:48
	ds_store_b32 v6, v5 offset:16384
	s_waitcnt lgkmcnt(0)
	s_barrier
.LBB604_12:
	v_lshlrev_b32_e32 v7, 2, v0
	s_and_b32 vcc_lo, exec_lo, s14
	s_cbranch_vccz .LBB604_14
; %bb.13:
	s_mov_b32 s7, 0
	s_delay_alu instid0(SALU_CYCLE_1) | instskip(NEXT) | instid1(SALU_CYCLE_1)
	s_lshl_b64 s[14:15], s[6:7], 2
	s_add_u32 s14, s17, s14
	s_addc_u32 s15, s18, s15
	v_add_co_u32 v3, s7, s14, v7
	s_delay_alu instid0(VALU_DEP_1) | instskip(NEXT) | instid1(VALU_DEP_2)
	v_add_co_ci_u32_e64 v4, null, s15, 0, s7
	v_add_co_u32 v1, vcc_lo, v3, 0x2000
	s_delay_alu instid0(VALU_DEP_2)
	v_add_co_ci_u32_e32 v2, vcc_lo, 0, v4, vcc_lo
	v_add_co_u32 v3, vcc_lo, v3, 0x4000
	v_add_co_ci_u32_e32 v4, vcc_lo, 0, v4, vcc_lo
	s_clause 0x4
	global_load_b32 v5, v7, s[14:15]
	global_load_b32 v6, v[1:2], off offset:-4096
	global_load_b32 v1, v[1:2], off
	global_load_b32 v2, v[3:4], off offset:-4096
	global_load_b32 v3, v[3:4], off
	s_waitcnt vmcnt(3)
	ds_store_2addr_stride64_b32 v7, v5, v6 offset1:16
	s_waitcnt vmcnt(1)
	ds_store_2addr_stride64_b32 v7, v1, v2 offset0:32 offset1:48
	s_waitcnt vmcnt(0)
	ds_store_b32 v7, v3 offset:16384
	s_waitcnt lgkmcnt(0)
	s_barrier
.LBB604_14:
	v_mul_u32_u24_e32 v1, 5, v0
	buffer_gl0_inv
	s_cmp_eq_u64 s[2:3], 0
	v_lshlrev_b32_e32 v5, 2, v1
	ds_load_2addr_b32 v[1:2], v5 offset1:1
	ds_load_2addr_b32 v[3:4], v5 offset0:2 offset1:3
	ds_load_b32 v5, v5 offset:16
	s_waitcnt lgkmcnt(0)
	s_barrier
	buffer_gl0_inv
	s_cbranch_scc1 .LBB604_19
; %bb.15:
	s_mov_b32 s7, 0
	s_delay_alu instid0(SALU_CYCLE_1) | instskip(NEXT) | instid1(SALU_CYCLE_1)
	s_lshl_b64 s[14:15], s[6:7], 2
	s_add_u32 s7, s17, s14
	s_addc_u32 s15, s18, s15
	s_add_u32 s14, s7, -4
	s_addc_u32 s15, s15, -1
	s_cmp_eq_u64 s[2:3], s[4:5]
	s_load_b32 s7, s[14:15], 0x0
	s_cbranch_scc1 .LBB604_20
; %bb.16:
	s_waitcnt lgkmcnt(0)
	v_mov_b32_e32 v6, s7
	s_mov_b32 s3, exec_lo
	ds_store_b32 v7, v5
	s_waitcnt lgkmcnt(0)
	s_barrier
	buffer_gl0_inv
	v_cmpx_ne_u32_e32 0, v0
	s_cbranch_execz .LBB604_18
; %bb.17:
	v_add_nc_u32_e32 v6, -4, v7
	ds_load_b32 v6, v6
.LBB604_18:
	s_or_b32 exec_lo, exec_lo, s3
	v_dual_add_f32 v8, v4, v5 :: v_dual_add_f32 v9, v3, v4
	v_dual_add_f32 v10, v2, v3 :: v_dual_add_f32 v11, v1, v2
	s_waitcnt lgkmcnt(0)
	v_add_f32_e32 v12, v1, v6
	s_branch .LBB604_24
.LBB604_19:
                                        ; implicit-def: $vgpr8
                                        ; implicit-def: $vgpr9
                                        ; implicit-def: $vgpr10
                                        ; implicit-def: $vgpr11
                                        ; implicit-def: $vgpr12
	s_branch .LBB604_25
.LBB604_20:
                                        ; implicit-def: $vgpr8
                                        ; implicit-def: $vgpr9
                                        ; implicit-def: $vgpr10
                                        ; implicit-def: $vgpr11
                                        ; implicit-def: $vgpr12
	s_cbranch_execz .LBB604_24
; %bb.21:
	v_mul_u32_u24_e32 v6, 5, v0
	s_waitcnt lgkmcnt(0)
	v_mov_b32_e32 v10, s7
	s_mov_b32 s3, exec_lo
	ds_store_b32 v7, v5
	s_waitcnt lgkmcnt(0)
	s_barrier
	buffer_gl0_inv
	v_cmpx_ne_u32_e32 0, v0
	s_cbranch_execz .LBB604_23
; %bb.22:
	v_add_nc_u32_e32 v8, -4, v7
	ds_load_b32 v10, v8
.LBB604_23:
	s_or_b32 exec_lo, exec_lo, s3
	v_dual_add_f32 v9, v4, v5 :: v_dual_add_nc_u32 v8, 4, v6
	s_mulk_i32 s2, 0xec00
	v_dual_add_f32 v12, v3, v4 :: v_dual_add_nc_u32 v11, 3, v6
	s_add_i32 s2, s2, s10
	v_add_f32_e32 v14, v1, v2
	v_cmp_gt_u32_e32 vcc_lo, s2, v8
	s_waitcnt lgkmcnt(0)
	v_add_f32_e32 v15, v1, v10
	v_cndmask_b32_e32 v8, v5, v9, vcc_lo
	v_cmp_gt_u32_e32 vcc_lo, s2, v11
	v_add_nc_u32_e32 v11, 2, v6
	v_dual_cndmask_b32 v9, v4, v12 :: v_dual_add_f32 v12, v2, v3
	s_delay_alu instid0(VALU_DEP_2) | instskip(NEXT) | instid1(VALU_DEP_2)
	v_cmp_gt_u32_e32 vcc_lo, s2, v11
	v_dual_cndmask_b32 v10, v3, v12 :: v_dual_add_nc_u32 v13, 1, v6
	s_delay_alu instid0(VALU_DEP_1)
	v_cmp_gt_u32_e32 vcc_lo, s2, v13
	v_cndmask_b32_e32 v11, v2, v14, vcc_lo
	v_cmp_gt_u32_e32 vcc_lo, s2, v6
	v_cndmask_b32_e32 v12, v1, v15, vcc_lo
.LBB604_24:
	s_cbranch_execnz .LBB604_33
.LBB604_25:
	v_dual_add_f32 v8, v4, v5 :: v_dual_add_f32 v9, v3, v4
	v_dual_add_f32 v10, v2, v3 :: v_dual_add_f32 v11, v1, v2
	v_cmp_ne_u32_e32 vcc_lo, 0, v0
	s_cmp_eq_u64 s[0:1], 1
	s_cbranch_scc1 .LBB604_29
; %bb.26:
	v_mov_b32_e32 v12, v1
	s_mov_b32 s0, 0
	ds_store_b32 v7, v5
	s_waitcnt lgkmcnt(0)
	s_barrier
	buffer_gl0_inv
	s_and_saveexec_b32 s1, vcc_lo
	s_cbranch_execz .LBB604_28
; %bb.27:
	v_add_nc_u32_e32 v6, -4, v7
	ds_load_b32 v6, v6
	s_waitcnt lgkmcnt(0)
	v_add_f32_e32 v12, v1, v6
.LBB604_28:
	s_or_b32 exec_lo, exec_lo, s1
	s_delay_alu instid0(SALU_CYCLE_1)
	s_and_not1_b32 vcc_lo, exec_lo, s0
	s_cbranch_vccz .LBB604_30
	s_branch .LBB604_33
.LBB604_29:
                                        ; implicit-def: $vgpr12
.LBB604_30:
	v_mad_u32_u24 v6, v0, 5, 4
	v_mul_u32_u24_e32 v13, 5, v0
	v_mad_u32_u24 v12, v0, 5, 3
	v_mad_u32_u24 v14, v0, 5, 2
	v_cmp_ne_u32_e64 s3, 0, v0
	v_cmp_gt_u32_e32 vcc_lo, s10, v6
	v_mad_u32_u24 v6, v0, 5, 1
	v_cmp_gt_u32_e64 s4, s10, v13
	v_cmp_gt_u32_e64 s0, s10, v12
	;; [unrolled: 1-line block ×3, first 2 shown]
	ds_store_b32 v7, v5
	v_cmp_gt_u32_e64 s2, s10, v6
	s_and_b32 s4, s3, s4
	s_waitcnt lgkmcnt(0)
	s_barrier
	buffer_gl0_inv
	s_and_saveexec_b32 s3, s4
	s_cbranch_execz .LBB604_32
; %bb.31:
	v_add_nc_u32_e32 v6, -4, v7
	ds_load_b32 v6, v6
	s_waitcnt lgkmcnt(0)
	v_add_f32_e32 v1, v1, v6
.LBB604_32:
	s_or_b32 exec_lo, exec_lo, s3
	v_cndmask_b32_e32 v8, v5, v8, vcc_lo
	v_cndmask_b32_e64 v9, v4, v9, s0
	v_cndmask_b32_e64 v10, v3, v10, s1
	;; [unrolled: 1-line block ×3, first 2 shown]
	v_mov_b32_e32 v12, v1
.LBB604_33:
	v_mul_u32_u24_e32 v13, 20, v0
	v_lshlrev_b32_e32 v14, 4, v0
	s_add_u32 s1, s8, s12
	s_addc_u32 s0, s9, s13
	s_and_b32 vcc_lo, exec_lo, s16
	s_waitcnt lgkmcnt(0)
	s_barrier
	buffer_gl0_inv
	s_cbranch_vccz .LBB604_43
; %bb.34:
	v_sub_nc_u32_e32 v1, v13, v14
	ds_store_2addr_b32 v13, v12, v11 offset1:1
	ds_store_2addr_b32 v13, v10, v9 offset0:2 offset1:3
	ds_store_b32 v13, v8 offset:16
	s_waitcnt lgkmcnt(0)
	s_barrier
	buffer_gl0_inv
	ds_load_2addr_stride64_b32 v[5:6], v1 offset0:16 offset1:32
	ds_load_2addr_stride64_b32 v[1:2], v1 offset0:48 offset1:64
	s_mov_b32 s7, 0
	s_add_i32 s11, s11, s10
	s_lshl_b64 s[2:3], s[6:7], 2
	s_delay_alu instid0(SALU_CYCLE_1) | instskip(SKIP_2) | instid1(VALU_DEP_1)
	s_add_u32 s2, s1, s2
	s_addc_u32 s3, s0, s3
	v_add_co_u32 v3, s2, s2, v7
	v_add_co_ci_u32_e64 v4, null, s3, 0, s2
	s_mov_b32 s2, exec_lo
	v_cmpx_gt_u32_e64 s11, v0
	s_cbranch_execz .LBB604_36
; %bb.35:
	v_sub_nc_u32_e32 v15, 0, v14
	s_delay_alu instid0(VALU_DEP_1)
	v_add_nc_u32_e32 v15, v13, v15
	ds_load_b32 v15, v15
	s_waitcnt lgkmcnt(0)
	global_store_b32 v[3:4], v15, off
.LBB604_36:
	s_or_b32 exec_lo, exec_lo, s2
	v_or_b32_e32 v15, 0x400, v0
	s_mov_b32 s2, exec_lo
	s_delay_alu instid0(VALU_DEP_1)
	v_cmpx_gt_u32_e64 s11, v15
	s_cbranch_execz .LBB604_38
; %bb.37:
	v_add_co_u32 v15, vcc_lo, 0x1000, v3
	v_add_co_ci_u32_e32 v16, vcc_lo, 0, v4, vcc_lo
	s_waitcnt lgkmcnt(1)
	global_store_b32 v[15:16], v5, off
.LBB604_38:
	s_or_b32 exec_lo, exec_lo, s2
	s_waitcnt lgkmcnt(1)
	v_or_b32_e32 v5, 0x800, v0
	s_mov_b32 s2, exec_lo
	s_delay_alu instid0(VALU_DEP_1)
	v_cmpx_gt_u32_e64 s11, v5
	s_cbranch_execz .LBB604_40
; %bb.39:
	v_add_co_u32 v15, vcc_lo, 0x2000, v3
	v_add_co_ci_u32_e32 v16, vcc_lo, 0, v4, vcc_lo
	global_store_b32 v[15:16], v6, off
.LBB604_40:
	s_or_b32 exec_lo, exec_lo, s2
	v_or_b32_e32 v5, 0xc00, v0
	s_mov_b32 s2, exec_lo
	s_delay_alu instid0(VALU_DEP_1)
	v_cmpx_gt_u32_e64 s11, v5
	s_cbranch_execz .LBB604_42
; %bb.41:
	v_add_co_u32 v5, vcc_lo, 0x3000, v3
	v_add_co_ci_u32_e32 v6, vcc_lo, 0, v4, vcc_lo
	s_waitcnt lgkmcnt(0)
	global_store_b32 v[5:6], v1, off
.LBB604_42:
	s_or_b32 exec_lo, exec_lo, s2
	v_or_b32_e32 v0, 0x1000, v0
	s_delay_alu instid0(VALU_DEP_1)
	v_cmp_gt_u32_e64 s2, s11, v0
	s_branch .LBB604_45
.LBB604_43:
	s_mov_b32 s2, 0
                                        ; implicit-def: $vgpr2
                                        ; implicit-def: $vgpr3_vgpr4
	s_cbranch_execz .LBB604_45
; %bb.44:
	s_waitcnt lgkmcnt(0)
	v_sub_nc_u32_e32 v2, v13, v14
	s_mov_b32 s7, 0
	ds_store_2addr_b32 v13, v12, v11 offset1:1
	ds_store_2addr_b32 v13, v10, v9 offset0:2 offset1:3
	ds_store_b32 v13, v8 offset:16
	s_waitcnt lgkmcnt(0)
	s_waitcnt_vscnt null, 0x0
	s_barrier
	buffer_gl0_inv
	ds_load_2addr_stride64_b32 v[0:1], v2 offset1:16
	ds_load_2addr_stride64_b32 v[5:6], v2 offset0:32 offset1:48
	ds_load_b32 v2, v2 offset:16384
	s_lshl_b64 s[4:5], s[6:7], 2
	s_delay_alu instid0(SALU_CYCLE_1) | instskip(SKIP_2) | instid1(VALU_DEP_1)
	s_add_u32 s4, s1, s4
	s_addc_u32 s5, s0, s5
	v_add_co_u32 v3, s0, s4, v7
	v_add_co_ci_u32_e64 v4, null, s5, 0, s0
	s_or_b32 s2, s2, exec_lo
	s_delay_alu instid0(VALU_DEP_2) | instskip(NEXT) | instid1(VALU_DEP_2)
	v_add_co_u32 v8, vcc_lo, v3, 0x2000
	v_add_co_ci_u32_e32 v9, vcc_lo, 0, v4, vcc_lo
	v_add_co_u32 v10, vcc_lo, 0x3000, v3
	v_add_co_ci_u32_e32 v11, vcc_lo, 0, v4, vcc_lo
	s_waitcnt lgkmcnt(2)
	s_clause 0x1
	global_store_b32 v[8:9], v1, off offset:-4096
	global_store_b32 v7, v0, s[4:5]
	s_waitcnt lgkmcnt(1)
	s_clause 0x1
	global_store_b32 v[8:9], v5, off
	global_store_b32 v[10:11], v6, off
.LBB604_45:
	s_delay_alu instid0(VALU_DEP_1)
	s_and_saveexec_b32 s0, s2
	s_cbranch_execnz .LBB604_47
; %bb.46:
	s_nop 0
	s_sendmsg sendmsg(MSG_DEALLOC_VGPRS)
	s_endpgm
.LBB604_47:
	v_add_co_u32 v0, vcc_lo, 0x4000, v3
	s_waitcnt lgkmcnt(0)
	v_add_co_ci_u32_e32 v1, vcc_lo, 0, v4, vcc_lo
	global_store_b32 v[0:1], v2, off
	s_nop 0
	s_sendmsg sendmsg(MSG_DEALLOC_VGPRS)
	s_endpgm
	.section	.rodata,"a",@progbits
	.p2align	6, 0x0
	.amdhsa_kernel _ZN7rocprim17ROCPRIM_400000_NS6detail17trampoline_kernelINS0_14default_configENS1_35adjacent_difference_config_selectorILb0EfEEZNS1_24adjacent_difference_implIS3_Lb0ELb0EPKfPfN6thrust23THRUST_200600_302600_NS4plusIfEEEE10hipError_tPvRmT2_T3_mT4_P12ihipStream_tbEUlT_E_NS1_11comp_targetILNS1_3genE9ELNS1_11target_archE1100ELNS1_3gpuE3ELNS1_3repE0EEENS1_30default_config_static_selectorELNS0_4arch9wavefront6targetE0EEEvT1_
		.amdhsa_group_segment_fixed_size 20480
		.amdhsa_private_segment_fixed_size 0
		.amdhsa_kernarg_size 56
		.amdhsa_user_sgpr_count 15
		.amdhsa_user_sgpr_dispatch_ptr 0
		.amdhsa_user_sgpr_queue_ptr 0
		.amdhsa_user_sgpr_kernarg_segment_ptr 1
		.amdhsa_user_sgpr_dispatch_id 0
		.amdhsa_user_sgpr_private_segment_size 0
		.amdhsa_wavefront_size32 1
		.amdhsa_uses_dynamic_stack 0
		.amdhsa_enable_private_segment 0
		.amdhsa_system_sgpr_workgroup_id_x 1
		.amdhsa_system_sgpr_workgroup_id_y 0
		.amdhsa_system_sgpr_workgroup_id_z 0
		.amdhsa_system_sgpr_workgroup_info 0
		.amdhsa_system_vgpr_workitem_id 0
		.amdhsa_next_free_vgpr 17
		.amdhsa_next_free_sgpr 21
		.amdhsa_reserve_vcc 1
		.amdhsa_float_round_mode_32 0
		.amdhsa_float_round_mode_16_64 0
		.amdhsa_float_denorm_mode_32 3
		.amdhsa_float_denorm_mode_16_64 3
		.amdhsa_dx10_clamp 1
		.amdhsa_ieee_mode 1
		.amdhsa_fp16_overflow 0
		.amdhsa_workgroup_processor_mode 1
		.amdhsa_memory_ordered 1
		.amdhsa_forward_progress 0
		.amdhsa_shared_vgpr_count 0
		.amdhsa_exception_fp_ieee_invalid_op 0
		.amdhsa_exception_fp_denorm_src 0
		.amdhsa_exception_fp_ieee_div_zero 0
		.amdhsa_exception_fp_ieee_overflow 0
		.amdhsa_exception_fp_ieee_underflow 0
		.amdhsa_exception_fp_ieee_inexact 0
		.amdhsa_exception_int_div_zero 0
	.end_amdhsa_kernel
	.section	.text._ZN7rocprim17ROCPRIM_400000_NS6detail17trampoline_kernelINS0_14default_configENS1_35adjacent_difference_config_selectorILb0EfEEZNS1_24adjacent_difference_implIS3_Lb0ELb0EPKfPfN6thrust23THRUST_200600_302600_NS4plusIfEEEE10hipError_tPvRmT2_T3_mT4_P12ihipStream_tbEUlT_E_NS1_11comp_targetILNS1_3genE9ELNS1_11target_archE1100ELNS1_3gpuE3ELNS1_3repE0EEENS1_30default_config_static_selectorELNS0_4arch9wavefront6targetE0EEEvT1_,"axG",@progbits,_ZN7rocprim17ROCPRIM_400000_NS6detail17trampoline_kernelINS0_14default_configENS1_35adjacent_difference_config_selectorILb0EfEEZNS1_24adjacent_difference_implIS3_Lb0ELb0EPKfPfN6thrust23THRUST_200600_302600_NS4plusIfEEEE10hipError_tPvRmT2_T3_mT4_P12ihipStream_tbEUlT_E_NS1_11comp_targetILNS1_3genE9ELNS1_11target_archE1100ELNS1_3gpuE3ELNS1_3repE0EEENS1_30default_config_static_selectorELNS0_4arch9wavefront6targetE0EEEvT1_,comdat
.Lfunc_end604:
	.size	_ZN7rocprim17ROCPRIM_400000_NS6detail17trampoline_kernelINS0_14default_configENS1_35adjacent_difference_config_selectorILb0EfEEZNS1_24adjacent_difference_implIS3_Lb0ELb0EPKfPfN6thrust23THRUST_200600_302600_NS4plusIfEEEE10hipError_tPvRmT2_T3_mT4_P12ihipStream_tbEUlT_E_NS1_11comp_targetILNS1_3genE9ELNS1_11target_archE1100ELNS1_3gpuE3ELNS1_3repE0EEENS1_30default_config_static_selectorELNS0_4arch9wavefront6targetE0EEEvT1_, .Lfunc_end604-_ZN7rocprim17ROCPRIM_400000_NS6detail17trampoline_kernelINS0_14default_configENS1_35adjacent_difference_config_selectorILb0EfEEZNS1_24adjacent_difference_implIS3_Lb0ELb0EPKfPfN6thrust23THRUST_200600_302600_NS4plusIfEEEE10hipError_tPvRmT2_T3_mT4_P12ihipStream_tbEUlT_E_NS1_11comp_targetILNS1_3genE9ELNS1_11target_archE1100ELNS1_3gpuE3ELNS1_3repE0EEENS1_30default_config_static_selectorELNS0_4arch9wavefront6targetE0EEEvT1_
                                        ; -- End function
	.section	.AMDGPU.csdata,"",@progbits
; Kernel info:
; codeLenInByte = 2308
; NumSgprs: 23
; NumVgprs: 17
; ScratchSize: 0
; MemoryBound: 0
; FloatMode: 240
; IeeeMode: 1
; LDSByteSize: 20480 bytes/workgroup (compile time only)
; SGPRBlocks: 2
; VGPRBlocks: 2
; NumSGPRsForWavesPerEU: 23
; NumVGPRsForWavesPerEU: 17
; Occupancy: 16
; WaveLimiterHint : 1
; COMPUTE_PGM_RSRC2:SCRATCH_EN: 0
; COMPUTE_PGM_RSRC2:USER_SGPR: 15
; COMPUTE_PGM_RSRC2:TRAP_HANDLER: 0
; COMPUTE_PGM_RSRC2:TGID_X_EN: 1
; COMPUTE_PGM_RSRC2:TGID_Y_EN: 0
; COMPUTE_PGM_RSRC2:TGID_Z_EN: 0
; COMPUTE_PGM_RSRC2:TIDIG_COMP_CNT: 0
	.section	.text._ZN7rocprim17ROCPRIM_400000_NS6detail17trampoline_kernelINS0_14default_configENS1_35adjacent_difference_config_selectorILb0EfEEZNS1_24adjacent_difference_implIS3_Lb0ELb0EPKfPfN6thrust23THRUST_200600_302600_NS4plusIfEEEE10hipError_tPvRmT2_T3_mT4_P12ihipStream_tbEUlT_E_NS1_11comp_targetILNS1_3genE8ELNS1_11target_archE1030ELNS1_3gpuE2ELNS1_3repE0EEENS1_30default_config_static_selectorELNS0_4arch9wavefront6targetE0EEEvT1_,"axG",@progbits,_ZN7rocprim17ROCPRIM_400000_NS6detail17trampoline_kernelINS0_14default_configENS1_35adjacent_difference_config_selectorILb0EfEEZNS1_24adjacent_difference_implIS3_Lb0ELb0EPKfPfN6thrust23THRUST_200600_302600_NS4plusIfEEEE10hipError_tPvRmT2_T3_mT4_P12ihipStream_tbEUlT_E_NS1_11comp_targetILNS1_3genE8ELNS1_11target_archE1030ELNS1_3gpuE2ELNS1_3repE0EEENS1_30default_config_static_selectorELNS0_4arch9wavefront6targetE0EEEvT1_,comdat
	.protected	_ZN7rocprim17ROCPRIM_400000_NS6detail17trampoline_kernelINS0_14default_configENS1_35adjacent_difference_config_selectorILb0EfEEZNS1_24adjacent_difference_implIS3_Lb0ELb0EPKfPfN6thrust23THRUST_200600_302600_NS4plusIfEEEE10hipError_tPvRmT2_T3_mT4_P12ihipStream_tbEUlT_E_NS1_11comp_targetILNS1_3genE8ELNS1_11target_archE1030ELNS1_3gpuE2ELNS1_3repE0EEENS1_30default_config_static_selectorELNS0_4arch9wavefront6targetE0EEEvT1_ ; -- Begin function _ZN7rocprim17ROCPRIM_400000_NS6detail17trampoline_kernelINS0_14default_configENS1_35adjacent_difference_config_selectorILb0EfEEZNS1_24adjacent_difference_implIS3_Lb0ELb0EPKfPfN6thrust23THRUST_200600_302600_NS4plusIfEEEE10hipError_tPvRmT2_T3_mT4_P12ihipStream_tbEUlT_E_NS1_11comp_targetILNS1_3genE8ELNS1_11target_archE1030ELNS1_3gpuE2ELNS1_3repE0EEENS1_30default_config_static_selectorELNS0_4arch9wavefront6targetE0EEEvT1_
	.globl	_ZN7rocprim17ROCPRIM_400000_NS6detail17trampoline_kernelINS0_14default_configENS1_35adjacent_difference_config_selectorILb0EfEEZNS1_24adjacent_difference_implIS3_Lb0ELb0EPKfPfN6thrust23THRUST_200600_302600_NS4plusIfEEEE10hipError_tPvRmT2_T3_mT4_P12ihipStream_tbEUlT_E_NS1_11comp_targetILNS1_3genE8ELNS1_11target_archE1030ELNS1_3gpuE2ELNS1_3repE0EEENS1_30default_config_static_selectorELNS0_4arch9wavefront6targetE0EEEvT1_
	.p2align	8
	.type	_ZN7rocprim17ROCPRIM_400000_NS6detail17trampoline_kernelINS0_14default_configENS1_35adjacent_difference_config_selectorILb0EfEEZNS1_24adjacent_difference_implIS3_Lb0ELb0EPKfPfN6thrust23THRUST_200600_302600_NS4plusIfEEEE10hipError_tPvRmT2_T3_mT4_P12ihipStream_tbEUlT_E_NS1_11comp_targetILNS1_3genE8ELNS1_11target_archE1030ELNS1_3gpuE2ELNS1_3repE0EEENS1_30default_config_static_selectorELNS0_4arch9wavefront6targetE0EEEvT1_,@function
_ZN7rocprim17ROCPRIM_400000_NS6detail17trampoline_kernelINS0_14default_configENS1_35adjacent_difference_config_selectorILb0EfEEZNS1_24adjacent_difference_implIS3_Lb0ELb0EPKfPfN6thrust23THRUST_200600_302600_NS4plusIfEEEE10hipError_tPvRmT2_T3_mT4_P12ihipStream_tbEUlT_E_NS1_11comp_targetILNS1_3genE8ELNS1_11target_archE1030ELNS1_3gpuE2ELNS1_3repE0EEENS1_30default_config_static_selectorELNS0_4arch9wavefront6targetE0EEEvT1_: ; @_ZN7rocprim17ROCPRIM_400000_NS6detail17trampoline_kernelINS0_14default_configENS1_35adjacent_difference_config_selectorILb0EfEEZNS1_24adjacent_difference_implIS3_Lb0ELb0EPKfPfN6thrust23THRUST_200600_302600_NS4plusIfEEEE10hipError_tPvRmT2_T3_mT4_P12ihipStream_tbEUlT_E_NS1_11comp_targetILNS1_3genE8ELNS1_11target_archE1030ELNS1_3gpuE2ELNS1_3repE0EEENS1_30default_config_static_selectorELNS0_4arch9wavefront6targetE0EEEvT1_
; %bb.0:
	.section	.rodata,"a",@progbits
	.p2align	6, 0x0
	.amdhsa_kernel _ZN7rocprim17ROCPRIM_400000_NS6detail17trampoline_kernelINS0_14default_configENS1_35adjacent_difference_config_selectorILb0EfEEZNS1_24adjacent_difference_implIS3_Lb0ELb0EPKfPfN6thrust23THRUST_200600_302600_NS4plusIfEEEE10hipError_tPvRmT2_T3_mT4_P12ihipStream_tbEUlT_E_NS1_11comp_targetILNS1_3genE8ELNS1_11target_archE1030ELNS1_3gpuE2ELNS1_3repE0EEENS1_30default_config_static_selectorELNS0_4arch9wavefront6targetE0EEEvT1_
		.amdhsa_group_segment_fixed_size 0
		.amdhsa_private_segment_fixed_size 0
		.amdhsa_kernarg_size 56
		.amdhsa_user_sgpr_count 15
		.amdhsa_user_sgpr_dispatch_ptr 0
		.amdhsa_user_sgpr_queue_ptr 0
		.amdhsa_user_sgpr_kernarg_segment_ptr 1
		.amdhsa_user_sgpr_dispatch_id 0
		.amdhsa_user_sgpr_private_segment_size 0
		.amdhsa_wavefront_size32 1
		.amdhsa_uses_dynamic_stack 0
		.amdhsa_enable_private_segment 0
		.amdhsa_system_sgpr_workgroup_id_x 1
		.amdhsa_system_sgpr_workgroup_id_y 0
		.amdhsa_system_sgpr_workgroup_id_z 0
		.amdhsa_system_sgpr_workgroup_info 0
		.amdhsa_system_vgpr_workitem_id 0
		.amdhsa_next_free_vgpr 1
		.amdhsa_next_free_sgpr 1
		.amdhsa_reserve_vcc 0
		.amdhsa_float_round_mode_32 0
		.amdhsa_float_round_mode_16_64 0
		.amdhsa_float_denorm_mode_32 3
		.amdhsa_float_denorm_mode_16_64 3
		.amdhsa_dx10_clamp 1
		.amdhsa_ieee_mode 1
		.amdhsa_fp16_overflow 0
		.amdhsa_workgroup_processor_mode 1
		.amdhsa_memory_ordered 1
		.amdhsa_forward_progress 0
		.amdhsa_shared_vgpr_count 0
		.amdhsa_exception_fp_ieee_invalid_op 0
		.amdhsa_exception_fp_denorm_src 0
		.amdhsa_exception_fp_ieee_div_zero 0
		.amdhsa_exception_fp_ieee_overflow 0
		.amdhsa_exception_fp_ieee_underflow 0
		.amdhsa_exception_fp_ieee_inexact 0
		.amdhsa_exception_int_div_zero 0
	.end_amdhsa_kernel
	.section	.text._ZN7rocprim17ROCPRIM_400000_NS6detail17trampoline_kernelINS0_14default_configENS1_35adjacent_difference_config_selectorILb0EfEEZNS1_24adjacent_difference_implIS3_Lb0ELb0EPKfPfN6thrust23THRUST_200600_302600_NS4plusIfEEEE10hipError_tPvRmT2_T3_mT4_P12ihipStream_tbEUlT_E_NS1_11comp_targetILNS1_3genE8ELNS1_11target_archE1030ELNS1_3gpuE2ELNS1_3repE0EEENS1_30default_config_static_selectorELNS0_4arch9wavefront6targetE0EEEvT1_,"axG",@progbits,_ZN7rocprim17ROCPRIM_400000_NS6detail17trampoline_kernelINS0_14default_configENS1_35adjacent_difference_config_selectorILb0EfEEZNS1_24adjacent_difference_implIS3_Lb0ELb0EPKfPfN6thrust23THRUST_200600_302600_NS4plusIfEEEE10hipError_tPvRmT2_T3_mT4_P12ihipStream_tbEUlT_E_NS1_11comp_targetILNS1_3genE8ELNS1_11target_archE1030ELNS1_3gpuE2ELNS1_3repE0EEENS1_30default_config_static_selectorELNS0_4arch9wavefront6targetE0EEEvT1_,comdat
.Lfunc_end605:
	.size	_ZN7rocprim17ROCPRIM_400000_NS6detail17trampoline_kernelINS0_14default_configENS1_35adjacent_difference_config_selectorILb0EfEEZNS1_24adjacent_difference_implIS3_Lb0ELb0EPKfPfN6thrust23THRUST_200600_302600_NS4plusIfEEEE10hipError_tPvRmT2_T3_mT4_P12ihipStream_tbEUlT_E_NS1_11comp_targetILNS1_3genE8ELNS1_11target_archE1030ELNS1_3gpuE2ELNS1_3repE0EEENS1_30default_config_static_selectorELNS0_4arch9wavefront6targetE0EEEvT1_, .Lfunc_end605-_ZN7rocprim17ROCPRIM_400000_NS6detail17trampoline_kernelINS0_14default_configENS1_35adjacent_difference_config_selectorILb0EfEEZNS1_24adjacent_difference_implIS3_Lb0ELb0EPKfPfN6thrust23THRUST_200600_302600_NS4plusIfEEEE10hipError_tPvRmT2_T3_mT4_P12ihipStream_tbEUlT_E_NS1_11comp_targetILNS1_3genE8ELNS1_11target_archE1030ELNS1_3gpuE2ELNS1_3repE0EEENS1_30default_config_static_selectorELNS0_4arch9wavefront6targetE0EEEvT1_
                                        ; -- End function
	.section	.AMDGPU.csdata,"",@progbits
; Kernel info:
; codeLenInByte = 0
; NumSgprs: 0
; NumVgprs: 0
; ScratchSize: 0
; MemoryBound: 0
; FloatMode: 240
; IeeeMode: 1
; LDSByteSize: 0 bytes/workgroup (compile time only)
; SGPRBlocks: 0
; VGPRBlocks: 0
; NumSGPRsForWavesPerEU: 1
; NumVGPRsForWavesPerEU: 1
; Occupancy: 16
; WaveLimiterHint : 0
; COMPUTE_PGM_RSRC2:SCRATCH_EN: 0
; COMPUTE_PGM_RSRC2:USER_SGPR: 15
; COMPUTE_PGM_RSRC2:TRAP_HANDLER: 0
; COMPUTE_PGM_RSRC2:TGID_X_EN: 1
; COMPUTE_PGM_RSRC2:TGID_Y_EN: 0
; COMPUTE_PGM_RSRC2:TGID_Z_EN: 0
; COMPUTE_PGM_RSRC2:TIDIG_COMP_CNT: 0
	.section	.text._ZN7rocprim17ROCPRIM_400000_NS6detail17trampoline_kernelINS0_14default_configENS1_25transform_config_selectorIfLb0EEEZNS1_14transform_implILb0ES3_S5_NS0_18transform_iteratorINS0_17counting_iteratorImlEEZNS1_24adjacent_difference_implIS3_Lb1ELb0EPKfPfN6thrust23THRUST_200600_302600_NS4plusIfEEEE10hipError_tPvRmT2_T3_mT4_P12ihipStream_tbEUlmE_fEESD_NS0_8identityIvEEEESI_SL_SM_mSN_SP_bEUlT_E_NS1_11comp_targetILNS1_3genE0ELNS1_11target_archE4294967295ELNS1_3gpuE0ELNS1_3repE0EEENS1_30default_config_static_selectorELNS0_4arch9wavefront6targetE0EEEvT1_,"axG",@progbits,_ZN7rocprim17ROCPRIM_400000_NS6detail17trampoline_kernelINS0_14default_configENS1_25transform_config_selectorIfLb0EEEZNS1_14transform_implILb0ES3_S5_NS0_18transform_iteratorINS0_17counting_iteratorImlEEZNS1_24adjacent_difference_implIS3_Lb1ELb0EPKfPfN6thrust23THRUST_200600_302600_NS4plusIfEEEE10hipError_tPvRmT2_T3_mT4_P12ihipStream_tbEUlmE_fEESD_NS0_8identityIvEEEESI_SL_SM_mSN_SP_bEUlT_E_NS1_11comp_targetILNS1_3genE0ELNS1_11target_archE4294967295ELNS1_3gpuE0ELNS1_3repE0EEENS1_30default_config_static_selectorELNS0_4arch9wavefront6targetE0EEEvT1_,comdat
	.protected	_ZN7rocprim17ROCPRIM_400000_NS6detail17trampoline_kernelINS0_14default_configENS1_25transform_config_selectorIfLb0EEEZNS1_14transform_implILb0ES3_S5_NS0_18transform_iteratorINS0_17counting_iteratorImlEEZNS1_24adjacent_difference_implIS3_Lb1ELb0EPKfPfN6thrust23THRUST_200600_302600_NS4plusIfEEEE10hipError_tPvRmT2_T3_mT4_P12ihipStream_tbEUlmE_fEESD_NS0_8identityIvEEEESI_SL_SM_mSN_SP_bEUlT_E_NS1_11comp_targetILNS1_3genE0ELNS1_11target_archE4294967295ELNS1_3gpuE0ELNS1_3repE0EEENS1_30default_config_static_selectorELNS0_4arch9wavefront6targetE0EEEvT1_ ; -- Begin function _ZN7rocprim17ROCPRIM_400000_NS6detail17trampoline_kernelINS0_14default_configENS1_25transform_config_selectorIfLb0EEEZNS1_14transform_implILb0ES3_S5_NS0_18transform_iteratorINS0_17counting_iteratorImlEEZNS1_24adjacent_difference_implIS3_Lb1ELb0EPKfPfN6thrust23THRUST_200600_302600_NS4plusIfEEEE10hipError_tPvRmT2_T3_mT4_P12ihipStream_tbEUlmE_fEESD_NS0_8identityIvEEEESI_SL_SM_mSN_SP_bEUlT_E_NS1_11comp_targetILNS1_3genE0ELNS1_11target_archE4294967295ELNS1_3gpuE0ELNS1_3repE0EEENS1_30default_config_static_selectorELNS0_4arch9wavefront6targetE0EEEvT1_
	.globl	_ZN7rocprim17ROCPRIM_400000_NS6detail17trampoline_kernelINS0_14default_configENS1_25transform_config_selectorIfLb0EEEZNS1_14transform_implILb0ES3_S5_NS0_18transform_iteratorINS0_17counting_iteratorImlEEZNS1_24adjacent_difference_implIS3_Lb1ELb0EPKfPfN6thrust23THRUST_200600_302600_NS4plusIfEEEE10hipError_tPvRmT2_T3_mT4_P12ihipStream_tbEUlmE_fEESD_NS0_8identityIvEEEESI_SL_SM_mSN_SP_bEUlT_E_NS1_11comp_targetILNS1_3genE0ELNS1_11target_archE4294967295ELNS1_3gpuE0ELNS1_3repE0EEENS1_30default_config_static_selectorELNS0_4arch9wavefront6targetE0EEEvT1_
	.p2align	8
	.type	_ZN7rocprim17ROCPRIM_400000_NS6detail17trampoline_kernelINS0_14default_configENS1_25transform_config_selectorIfLb0EEEZNS1_14transform_implILb0ES3_S5_NS0_18transform_iteratorINS0_17counting_iteratorImlEEZNS1_24adjacent_difference_implIS3_Lb1ELb0EPKfPfN6thrust23THRUST_200600_302600_NS4plusIfEEEE10hipError_tPvRmT2_T3_mT4_P12ihipStream_tbEUlmE_fEESD_NS0_8identityIvEEEESI_SL_SM_mSN_SP_bEUlT_E_NS1_11comp_targetILNS1_3genE0ELNS1_11target_archE4294967295ELNS1_3gpuE0ELNS1_3repE0EEENS1_30default_config_static_selectorELNS0_4arch9wavefront6targetE0EEEvT1_,@function
_ZN7rocprim17ROCPRIM_400000_NS6detail17trampoline_kernelINS0_14default_configENS1_25transform_config_selectorIfLb0EEEZNS1_14transform_implILb0ES3_S5_NS0_18transform_iteratorINS0_17counting_iteratorImlEEZNS1_24adjacent_difference_implIS3_Lb1ELb0EPKfPfN6thrust23THRUST_200600_302600_NS4plusIfEEEE10hipError_tPvRmT2_T3_mT4_P12ihipStream_tbEUlmE_fEESD_NS0_8identityIvEEEESI_SL_SM_mSN_SP_bEUlT_E_NS1_11comp_targetILNS1_3genE0ELNS1_11target_archE4294967295ELNS1_3gpuE0ELNS1_3repE0EEENS1_30default_config_static_selectorELNS0_4arch9wavefront6targetE0EEEvT1_: ; @_ZN7rocprim17ROCPRIM_400000_NS6detail17trampoline_kernelINS0_14default_configENS1_25transform_config_selectorIfLb0EEEZNS1_14transform_implILb0ES3_S5_NS0_18transform_iteratorINS0_17counting_iteratorImlEEZNS1_24adjacent_difference_implIS3_Lb1ELb0EPKfPfN6thrust23THRUST_200600_302600_NS4plusIfEEEE10hipError_tPvRmT2_T3_mT4_P12ihipStream_tbEUlmE_fEESD_NS0_8identityIvEEEESI_SL_SM_mSN_SP_bEUlT_E_NS1_11comp_targetILNS1_3genE0ELNS1_11target_archE4294967295ELNS1_3gpuE0ELNS1_3repE0EEENS1_30default_config_static_selectorELNS0_4arch9wavefront6targetE0EEEvT1_
; %bb.0:
	.section	.rodata,"a",@progbits
	.p2align	6, 0x0
	.amdhsa_kernel _ZN7rocprim17ROCPRIM_400000_NS6detail17trampoline_kernelINS0_14default_configENS1_25transform_config_selectorIfLb0EEEZNS1_14transform_implILb0ES3_S5_NS0_18transform_iteratorINS0_17counting_iteratorImlEEZNS1_24adjacent_difference_implIS3_Lb1ELb0EPKfPfN6thrust23THRUST_200600_302600_NS4plusIfEEEE10hipError_tPvRmT2_T3_mT4_P12ihipStream_tbEUlmE_fEESD_NS0_8identityIvEEEESI_SL_SM_mSN_SP_bEUlT_E_NS1_11comp_targetILNS1_3genE0ELNS1_11target_archE4294967295ELNS1_3gpuE0ELNS1_3repE0EEENS1_30default_config_static_selectorELNS0_4arch9wavefront6targetE0EEEvT1_
		.amdhsa_group_segment_fixed_size 0
		.amdhsa_private_segment_fixed_size 0
		.amdhsa_kernarg_size 56
		.amdhsa_user_sgpr_count 15
		.amdhsa_user_sgpr_dispatch_ptr 0
		.amdhsa_user_sgpr_queue_ptr 0
		.amdhsa_user_sgpr_kernarg_segment_ptr 1
		.amdhsa_user_sgpr_dispatch_id 0
		.amdhsa_user_sgpr_private_segment_size 0
		.amdhsa_wavefront_size32 1
		.amdhsa_uses_dynamic_stack 0
		.amdhsa_enable_private_segment 0
		.amdhsa_system_sgpr_workgroup_id_x 1
		.amdhsa_system_sgpr_workgroup_id_y 0
		.amdhsa_system_sgpr_workgroup_id_z 0
		.amdhsa_system_sgpr_workgroup_info 0
		.amdhsa_system_vgpr_workitem_id 0
		.amdhsa_next_free_vgpr 1
		.amdhsa_next_free_sgpr 1
		.amdhsa_reserve_vcc 0
		.amdhsa_float_round_mode_32 0
		.amdhsa_float_round_mode_16_64 0
		.amdhsa_float_denorm_mode_32 3
		.amdhsa_float_denorm_mode_16_64 3
		.amdhsa_dx10_clamp 1
		.amdhsa_ieee_mode 1
		.amdhsa_fp16_overflow 0
		.amdhsa_workgroup_processor_mode 1
		.amdhsa_memory_ordered 1
		.amdhsa_forward_progress 0
		.amdhsa_shared_vgpr_count 0
		.amdhsa_exception_fp_ieee_invalid_op 0
		.amdhsa_exception_fp_denorm_src 0
		.amdhsa_exception_fp_ieee_div_zero 0
		.amdhsa_exception_fp_ieee_overflow 0
		.amdhsa_exception_fp_ieee_underflow 0
		.amdhsa_exception_fp_ieee_inexact 0
		.amdhsa_exception_int_div_zero 0
	.end_amdhsa_kernel
	.section	.text._ZN7rocprim17ROCPRIM_400000_NS6detail17trampoline_kernelINS0_14default_configENS1_25transform_config_selectorIfLb0EEEZNS1_14transform_implILb0ES3_S5_NS0_18transform_iteratorINS0_17counting_iteratorImlEEZNS1_24adjacent_difference_implIS3_Lb1ELb0EPKfPfN6thrust23THRUST_200600_302600_NS4plusIfEEEE10hipError_tPvRmT2_T3_mT4_P12ihipStream_tbEUlmE_fEESD_NS0_8identityIvEEEESI_SL_SM_mSN_SP_bEUlT_E_NS1_11comp_targetILNS1_3genE0ELNS1_11target_archE4294967295ELNS1_3gpuE0ELNS1_3repE0EEENS1_30default_config_static_selectorELNS0_4arch9wavefront6targetE0EEEvT1_,"axG",@progbits,_ZN7rocprim17ROCPRIM_400000_NS6detail17trampoline_kernelINS0_14default_configENS1_25transform_config_selectorIfLb0EEEZNS1_14transform_implILb0ES3_S5_NS0_18transform_iteratorINS0_17counting_iteratorImlEEZNS1_24adjacent_difference_implIS3_Lb1ELb0EPKfPfN6thrust23THRUST_200600_302600_NS4plusIfEEEE10hipError_tPvRmT2_T3_mT4_P12ihipStream_tbEUlmE_fEESD_NS0_8identityIvEEEESI_SL_SM_mSN_SP_bEUlT_E_NS1_11comp_targetILNS1_3genE0ELNS1_11target_archE4294967295ELNS1_3gpuE0ELNS1_3repE0EEENS1_30default_config_static_selectorELNS0_4arch9wavefront6targetE0EEEvT1_,comdat
.Lfunc_end606:
	.size	_ZN7rocprim17ROCPRIM_400000_NS6detail17trampoline_kernelINS0_14default_configENS1_25transform_config_selectorIfLb0EEEZNS1_14transform_implILb0ES3_S5_NS0_18transform_iteratorINS0_17counting_iteratorImlEEZNS1_24adjacent_difference_implIS3_Lb1ELb0EPKfPfN6thrust23THRUST_200600_302600_NS4plusIfEEEE10hipError_tPvRmT2_T3_mT4_P12ihipStream_tbEUlmE_fEESD_NS0_8identityIvEEEESI_SL_SM_mSN_SP_bEUlT_E_NS1_11comp_targetILNS1_3genE0ELNS1_11target_archE4294967295ELNS1_3gpuE0ELNS1_3repE0EEENS1_30default_config_static_selectorELNS0_4arch9wavefront6targetE0EEEvT1_, .Lfunc_end606-_ZN7rocprim17ROCPRIM_400000_NS6detail17trampoline_kernelINS0_14default_configENS1_25transform_config_selectorIfLb0EEEZNS1_14transform_implILb0ES3_S5_NS0_18transform_iteratorINS0_17counting_iteratorImlEEZNS1_24adjacent_difference_implIS3_Lb1ELb0EPKfPfN6thrust23THRUST_200600_302600_NS4plusIfEEEE10hipError_tPvRmT2_T3_mT4_P12ihipStream_tbEUlmE_fEESD_NS0_8identityIvEEEESI_SL_SM_mSN_SP_bEUlT_E_NS1_11comp_targetILNS1_3genE0ELNS1_11target_archE4294967295ELNS1_3gpuE0ELNS1_3repE0EEENS1_30default_config_static_selectorELNS0_4arch9wavefront6targetE0EEEvT1_
                                        ; -- End function
	.section	.AMDGPU.csdata,"",@progbits
; Kernel info:
; codeLenInByte = 0
; NumSgprs: 0
; NumVgprs: 0
; ScratchSize: 0
; MemoryBound: 0
; FloatMode: 240
; IeeeMode: 1
; LDSByteSize: 0 bytes/workgroup (compile time only)
; SGPRBlocks: 0
; VGPRBlocks: 0
; NumSGPRsForWavesPerEU: 1
; NumVGPRsForWavesPerEU: 1
; Occupancy: 16
; WaveLimiterHint : 0
; COMPUTE_PGM_RSRC2:SCRATCH_EN: 0
; COMPUTE_PGM_RSRC2:USER_SGPR: 15
; COMPUTE_PGM_RSRC2:TRAP_HANDLER: 0
; COMPUTE_PGM_RSRC2:TGID_X_EN: 1
; COMPUTE_PGM_RSRC2:TGID_Y_EN: 0
; COMPUTE_PGM_RSRC2:TGID_Z_EN: 0
; COMPUTE_PGM_RSRC2:TIDIG_COMP_CNT: 0
	.section	.text._ZN7rocprim17ROCPRIM_400000_NS6detail17trampoline_kernelINS0_14default_configENS1_25transform_config_selectorIfLb0EEEZNS1_14transform_implILb0ES3_S5_NS0_18transform_iteratorINS0_17counting_iteratorImlEEZNS1_24adjacent_difference_implIS3_Lb1ELb0EPKfPfN6thrust23THRUST_200600_302600_NS4plusIfEEEE10hipError_tPvRmT2_T3_mT4_P12ihipStream_tbEUlmE_fEESD_NS0_8identityIvEEEESI_SL_SM_mSN_SP_bEUlT_E_NS1_11comp_targetILNS1_3genE5ELNS1_11target_archE942ELNS1_3gpuE9ELNS1_3repE0EEENS1_30default_config_static_selectorELNS0_4arch9wavefront6targetE0EEEvT1_,"axG",@progbits,_ZN7rocprim17ROCPRIM_400000_NS6detail17trampoline_kernelINS0_14default_configENS1_25transform_config_selectorIfLb0EEEZNS1_14transform_implILb0ES3_S5_NS0_18transform_iteratorINS0_17counting_iteratorImlEEZNS1_24adjacent_difference_implIS3_Lb1ELb0EPKfPfN6thrust23THRUST_200600_302600_NS4plusIfEEEE10hipError_tPvRmT2_T3_mT4_P12ihipStream_tbEUlmE_fEESD_NS0_8identityIvEEEESI_SL_SM_mSN_SP_bEUlT_E_NS1_11comp_targetILNS1_3genE5ELNS1_11target_archE942ELNS1_3gpuE9ELNS1_3repE0EEENS1_30default_config_static_selectorELNS0_4arch9wavefront6targetE0EEEvT1_,comdat
	.protected	_ZN7rocprim17ROCPRIM_400000_NS6detail17trampoline_kernelINS0_14default_configENS1_25transform_config_selectorIfLb0EEEZNS1_14transform_implILb0ES3_S5_NS0_18transform_iteratorINS0_17counting_iteratorImlEEZNS1_24adjacent_difference_implIS3_Lb1ELb0EPKfPfN6thrust23THRUST_200600_302600_NS4plusIfEEEE10hipError_tPvRmT2_T3_mT4_P12ihipStream_tbEUlmE_fEESD_NS0_8identityIvEEEESI_SL_SM_mSN_SP_bEUlT_E_NS1_11comp_targetILNS1_3genE5ELNS1_11target_archE942ELNS1_3gpuE9ELNS1_3repE0EEENS1_30default_config_static_selectorELNS0_4arch9wavefront6targetE0EEEvT1_ ; -- Begin function _ZN7rocprim17ROCPRIM_400000_NS6detail17trampoline_kernelINS0_14default_configENS1_25transform_config_selectorIfLb0EEEZNS1_14transform_implILb0ES3_S5_NS0_18transform_iteratorINS0_17counting_iteratorImlEEZNS1_24adjacent_difference_implIS3_Lb1ELb0EPKfPfN6thrust23THRUST_200600_302600_NS4plusIfEEEE10hipError_tPvRmT2_T3_mT4_P12ihipStream_tbEUlmE_fEESD_NS0_8identityIvEEEESI_SL_SM_mSN_SP_bEUlT_E_NS1_11comp_targetILNS1_3genE5ELNS1_11target_archE942ELNS1_3gpuE9ELNS1_3repE0EEENS1_30default_config_static_selectorELNS0_4arch9wavefront6targetE0EEEvT1_
	.globl	_ZN7rocprim17ROCPRIM_400000_NS6detail17trampoline_kernelINS0_14default_configENS1_25transform_config_selectorIfLb0EEEZNS1_14transform_implILb0ES3_S5_NS0_18transform_iteratorINS0_17counting_iteratorImlEEZNS1_24adjacent_difference_implIS3_Lb1ELb0EPKfPfN6thrust23THRUST_200600_302600_NS4plusIfEEEE10hipError_tPvRmT2_T3_mT4_P12ihipStream_tbEUlmE_fEESD_NS0_8identityIvEEEESI_SL_SM_mSN_SP_bEUlT_E_NS1_11comp_targetILNS1_3genE5ELNS1_11target_archE942ELNS1_3gpuE9ELNS1_3repE0EEENS1_30default_config_static_selectorELNS0_4arch9wavefront6targetE0EEEvT1_
	.p2align	8
	.type	_ZN7rocprim17ROCPRIM_400000_NS6detail17trampoline_kernelINS0_14default_configENS1_25transform_config_selectorIfLb0EEEZNS1_14transform_implILb0ES3_S5_NS0_18transform_iteratorINS0_17counting_iteratorImlEEZNS1_24adjacent_difference_implIS3_Lb1ELb0EPKfPfN6thrust23THRUST_200600_302600_NS4plusIfEEEE10hipError_tPvRmT2_T3_mT4_P12ihipStream_tbEUlmE_fEESD_NS0_8identityIvEEEESI_SL_SM_mSN_SP_bEUlT_E_NS1_11comp_targetILNS1_3genE5ELNS1_11target_archE942ELNS1_3gpuE9ELNS1_3repE0EEENS1_30default_config_static_selectorELNS0_4arch9wavefront6targetE0EEEvT1_,@function
_ZN7rocprim17ROCPRIM_400000_NS6detail17trampoline_kernelINS0_14default_configENS1_25transform_config_selectorIfLb0EEEZNS1_14transform_implILb0ES3_S5_NS0_18transform_iteratorINS0_17counting_iteratorImlEEZNS1_24adjacent_difference_implIS3_Lb1ELb0EPKfPfN6thrust23THRUST_200600_302600_NS4plusIfEEEE10hipError_tPvRmT2_T3_mT4_P12ihipStream_tbEUlmE_fEESD_NS0_8identityIvEEEESI_SL_SM_mSN_SP_bEUlT_E_NS1_11comp_targetILNS1_3genE5ELNS1_11target_archE942ELNS1_3gpuE9ELNS1_3repE0EEENS1_30default_config_static_selectorELNS0_4arch9wavefront6targetE0EEEvT1_: ; @_ZN7rocprim17ROCPRIM_400000_NS6detail17trampoline_kernelINS0_14default_configENS1_25transform_config_selectorIfLb0EEEZNS1_14transform_implILb0ES3_S5_NS0_18transform_iteratorINS0_17counting_iteratorImlEEZNS1_24adjacent_difference_implIS3_Lb1ELb0EPKfPfN6thrust23THRUST_200600_302600_NS4plusIfEEEE10hipError_tPvRmT2_T3_mT4_P12ihipStream_tbEUlmE_fEESD_NS0_8identityIvEEEESI_SL_SM_mSN_SP_bEUlT_E_NS1_11comp_targetILNS1_3genE5ELNS1_11target_archE942ELNS1_3gpuE9ELNS1_3repE0EEENS1_30default_config_static_selectorELNS0_4arch9wavefront6targetE0EEEvT1_
; %bb.0:
	.section	.rodata,"a",@progbits
	.p2align	6, 0x0
	.amdhsa_kernel _ZN7rocprim17ROCPRIM_400000_NS6detail17trampoline_kernelINS0_14default_configENS1_25transform_config_selectorIfLb0EEEZNS1_14transform_implILb0ES3_S5_NS0_18transform_iteratorINS0_17counting_iteratorImlEEZNS1_24adjacent_difference_implIS3_Lb1ELb0EPKfPfN6thrust23THRUST_200600_302600_NS4plusIfEEEE10hipError_tPvRmT2_T3_mT4_P12ihipStream_tbEUlmE_fEESD_NS0_8identityIvEEEESI_SL_SM_mSN_SP_bEUlT_E_NS1_11comp_targetILNS1_3genE5ELNS1_11target_archE942ELNS1_3gpuE9ELNS1_3repE0EEENS1_30default_config_static_selectorELNS0_4arch9wavefront6targetE0EEEvT1_
		.amdhsa_group_segment_fixed_size 0
		.amdhsa_private_segment_fixed_size 0
		.amdhsa_kernarg_size 56
		.amdhsa_user_sgpr_count 15
		.amdhsa_user_sgpr_dispatch_ptr 0
		.amdhsa_user_sgpr_queue_ptr 0
		.amdhsa_user_sgpr_kernarg_segment_ptr 1
		.amdhsa_user_sgpr_dispatch_id 0
		.amdhsa_user_sgpr_private_segment_size 0
		.amdhsa_wavefront_size32 1
		.amdhsa_uses_dynamic_stack 0
		.amdhsa_enable_private_segment 0
		.amdhsa_system_sgpr_workgroup_id_x 1
		.amdhsa_system_sgpr_workgroup_id_y 0
		.amdhsa_system_sgpr_workgroup_id_z 0
		.amdhsa_system_sgpr_workgroup_info 0
		.amdhsa_system_vgpr_workitem_id 0
		.amdhsa_next_free_vgpr 1
		.amdhsa_next_free_sgpr 1
		.amdhsa_reserve_vcc 0
		.amdhsa_float_round_mode_32 0
		.amdhsa_float_round_mode_16_64 0
		.amdhsa_float_denorm_mode_32 3
		.amdhsa_float_denorm_mode_16_64 3
		.amdhsa_dx10_clamp 1
		.amdhsa_ieee_mode 1
		.amdhsa_fp16_overflow 0
		.amdhsa_workgroup_processor_mode 1
		.amdhsa_memory_ordered 1
		.amdhsa_forward_progress 0
		.amdhsa_shared_vgpr_count 0
		.amdhsa_exception_fp_ieee_invalid_op 0
		.amdhsa_exception_fp_denorm_src 0
		.amdhsa_exception_fp_ieee_div_zero 0
		.amdhsa_exception_fp_ieee_overflow 0
		.amdhsa_exception_fp_ieee_underflow 0
		.amdhsa_exception_fp_ieee_inexact 0
		.amdhsa_exception_int_div_zero 0
	.end_amdhsa_kernel
	.section	.text._ZN7rocprim17ROCPRIM_400000_NS6detail17trampoline_kernelINS0_14default_configENS1_25transform_config_selectorIfLb0EEEZNS1_14transform_implILb0ES3_S5_NS0_18transform_iteratorINS0_17counting_iteratorImlEEZNS1_24adjacent_difference_implIS3_Lb1ELb0EPKfPfN6thrust23THRUST_200600_302600_NS4plusIfEEEE10hipError_tPvRmT2_T3_mT4_P12ihipStream_tbEUlmE_fEESD_NS0_8identityIvEEEESI_SL_SM_mSN_SP_bEUlT_E_NS1_11comp_targetILNS1_3genE5ELNS1_11target_archE942ELNS1_3gpuE9ELNS1_3repE0EEENS1_30default_config_static_selectorELNS0_4arch9wavefront6targetE0EEEvT1_,"axG",@progbits,_ZN7rocprim17ROCPRIM_400000_NS6detail17trampoline_kernelINS0_14default_configENS1_25transform_config_selectorIfLb0EEEZNS1_14transform_implILb0ES3_S5_NS0_18transform_iteratorINS0_17counting_iteratorImlEEZNS1_24adjacent_difference_implIS3_Lb1ELb0EPKfPfN6thrust23THRUST_200600_302600_NS4plusIfEEEE10hipError_tPvRmT2_T3_mT4_P12ihipStream_tbEUlmE_fEESD_NS0_8identityIvEEEESI_SL_SM_mSN_SP_bEUlT_E_NS1_11comp_targetILNS1_3genE5ELNS1_11target_archE942ELNS1_3gpuE9ELNS1_3repE0EEENS1_30default_config_static_selectorELNS0_4arch9wavefront6targetE0EEEvT1_,comdat
.Lfunc_end607:
	.size	_ZN7rocprim17ROCPRIM_400000_NS6detail17trampoline_kernelINS0_14default_configENS1_25transform_config_selectorIfLb0EEEZNS1_14transform_implILb0ES3_S5_NS0_18transform_iteratorINS0_17counting_iteratorImlEEZNS1_24adjacent_difference_implIS3_Lb1ELb0EPKfPfN6thrust23THRUST_200600_302600_NS4plusIfEEEE10hipError_tPvRmT2_T3_mT4_P12ihipStream_tbEUlmE_fEESD_NS0_8identityIvEEEESI_SL_SM_mSN_SP_bEUlT_E_NS1_11comp_targetILNS1_3genE5ELNS1_11target_archE942ELNS1_3gpuE9ELNS1_3repE0EEENS1_30default_config_static_selectorELNS0_4arch9wavefront6targetE0EEEvT1_, .Lfunc_end607-_ZN7rocprim17ROCPRIM_400000_NS6detail17trampoline_kernelINS0_14default_configENS1_25transform_config_selectorIfLb0EEEZNS1_14transform_implILb0ES3_S5_NS0_18transform_iteratorINS0_17counting_iteratorImlEEZNS1_24adjacent_difference_implIS3_Lb1ELb0EPKfPfN6thrust23THRUST_200600_302600_NS4plusIfEEEE10hipError_tPvRmT2_T3_mT4_P12ihipStream_tbEUlmE_fEESD_NS0_8identityIvEEEESI_SL_SM_mSN_SP_bEUlT_E_NS1_11comp_targetILNS1_3genE5ELNS1_11target_archE942ELNS1_3gpuE9ELNS1_3repE0EEENS1_30default_config_static_selectorELNS0_4arch9wavefront6targetE0EEEvT1_
                                        ; -- End function
	.section	.AMDGPU.csdata,"",@progbits
; Kernel info:
; codeLenInByte = 0
; NumSgprs: 0
; NumVgprs: 0
; ScratchSize: 0
; MemoryBound: 0
; FloatMode: 240
; IeeeMode: 1
; LDSByteSize: 0 bytes/workgroup (compile time only)
; SGPRBlocks: 0
; VGPRBlocks: 0
; NumSGPRsForWavesPerEU: 1
; NumVGPRsForWavesPerEU: 1
; Occupancy: 16
; WaveLimiterHint : 0
; COMPUTE_PGM_RSRC2:SCRATCH_EN: 0
; COMPUTE_PGM_RSRC2:USER_SGPR: 15
; COMPUTE_PGM_RSRC2:TRAP_HANDLER: 0
; COMPUTE_PGM_RSRC2:TGID_X_EN: 1
; COMPUTE_PGM_RSRC2:TGID_Y_EN: 0
; COMPUTE_PGM_RSRC2:TGID_Z_EN: 0
; COMPUTE_PGM_RSRC2:TIDIG_COMP_CNT: 0
	.section	.text._ZN7rocprim17ROCPRIM_400000_NS6detail17trampoline_kernelINS0_14default_configENS1_25transform_config_selectorIfLb0EEEZNS1_14transform_implILb0ES3_S5_NS0_18transform_iteratorINS0_17counting_iteratorImlEEZNS1_24adjacent_difference_implIS3_Lb1ELb0EPKfPfN6thrust23THRUST_200600_302600_NS4plusIfEEEE10hipError_tPvRmT2_T3_mT4_P12ihipStream_tbEUlmE_fEESD_NS0_8identityIvEEEESI_SL_SM_mSN_SP_bEUlT_E_NS1_11comp_targetILNS1_3genE4ELNS1_11target_archE910ELNS1_3gpuE8ELNS1_3repE0EEENS1_30default_config_static_selectorELNS0_4arch9wavefront6targetE0EEEvT1_,"axG",@progbits,_ZN7rocprim17ROCPRIM_400000_NS6detail17trampoline_kernelINS0_14default_configENS1_25transform_config_selectorIfLb0EEEZNS1_14transform_implILb0ES3_S5_NS0_18transform_iteratorINS0_17counting_iteratorImlEEZNS1_24adjacent_difference_implIS3_Lb1ELb0EPKfPfN6thrust23THRUST_200600_302600_NS4plusIfEEEE10hipError_tPvRmT2_T3_mT4_P12ihipStream_tbEUlmE_fEESD_NS0_8identityIvEEEESI_SL_SM_mSN_SP_bEUlT_E_NS1_11comp_targetILNS1_3genE4ELNS1_11target_archE910ELNS1_3gpuE8ELNS1_3repE0EEENS1_30default_config_static_selectorELNS0_4arch9wavefront6targetE0EEEvT1_,comdat
	.protected	_ZN7rocprim17ROCPRIM_400000_NS6detail17trampoline_kernelINS0_14default_configENS1_25transform_config_selectorIfLb0EEEZNS1_14transform_implILb0ES3_S5_NS0_18transform_iteratorINS0_17counting_iteratorImlEEZNS1_24adjacent_difference_implIS3_Lb1ELb0EPKfPfN6thrust23THRUST_200600_302600_NS4plusIfEEEE10hipError_tPvRmT2_T3_mT4_P12ihipStream_tbEUlmE_fEESD_NS0_8identityIvEEEESI_SL_SM_mSN_SP_bEUlT_E_NS1_11comp_targetILNS1_3genE4ELNS1_11target_archE910ELNS1_3gpuE8ELNS1_3repE0EEENS1_30default_config_static_selectorELNS0_4arch9wavefront6targetE0EEEvT1_ ; -- Begin function _ZN7rocprim17ROCPRIM_400000_NS6detail17trampoline_kernelINS0_14default_configENS1_25transform_config_selectorIfLb0EEEZNS1_14transform_implILb0ES3_S5_NS0_18transform_iteratorINS0_17counting_iteratorImlEEZNS1_24adjacent_difference_implIS3_Lb1ELb0EPKfPfN6thrust23THRUST_200600_302600_NS4plusIfEEEE10hipError_tPvRmT2_T3_mT4_P12ihipStream_tbEUlmE_fEESD_NS0_8identityIvEEEESI_SL_SM_mSN_SP_bEUlT_E_NS1_11comp_targetILNS1_3genE4ELNS1_11target_archE910ELNS1_3gpuE8ELNS1_3repE0EEENS1_30default_config_static_selectorELNS0_4arch9wavefront6targetE0EEEvT1_
	.globl	_ZN7rocprim17ROCPRIM_400000_NS6detail17trampoline_kernelINS0_14default_configENS1_25transform_config_selectorIfLb0EEEZNS1_14transform_implILb0ES3_S5_NS0_18transform_iteratorINS0_17counting_iteratorImlEEZNS1_24adjacent_difference_implIS3_Lb1ELb0EPKfPfN6thrust23THRUST_200600_302600_NS4plusIfEEEE10hipError_tPvRmT2_T3_mT4_P12ihipStream_tbEUlmE_fEESD_NS0_8identityIvEEEESI_SL_SM_mSN_SP_bEUlT_E_NS1_11comp_targetILNS1_3genE4ELNS1_11target_archE910ELNS1_3gpuE8ELNS1_3repE0EEENS1_30default_config_static_selectorELNS0_4arch9wavefront6targetE0EEEvT1_
	.p2align	8
	.type	_ZN7rocprim17ROCPRIM_400000_NS6detail17trampoline_kernelINS0_14default_configENS1_25transform_config_selectorIfLb0EEEZNS1_14transform_implILb0ES3_S5_NS0_18transform_iteratorINS0_17counting_iteratorImlEEZNS1_24adjacent_difference_implIS3_Lb1ELb0EPKfPfN6thrust23THRUST_200600_302600_NS4plusIfEEEE10hipError_tPvRmT2_T3_mT4_P12ihipStream_tbEUlmE_fEESD_NS0_8identityIvEEEESI_SL_SM_mSN_SP_bEUlT_E_NS1_11comp_targetILNS1_3genE4ELNS1_11target_archE910ELNS1_3gpuE8ELNS1_3repE0EEENS1_30default_config_static_selectorELNS0_4arch9wavefront6targetE0EEEvT1_,@function
_ZN7rocprim17ROCPRIM_400000_NS6detail17trampoline_kernelINS0_14default_configENS1_25transform_config_selectorIfLb0EEEZNS1_14transform_implILb0ES3_S5_NS0_18transform_iteratorINS0_17counting_iteratorImlEEZNS1_24adjacent_difference_implIS3_Lb1ELb0EPKfPfN6thrust23THRUST_200600_302600_NS4plusIfEEEE10hipError_tPvRmT2_T3_mT4_P12ihipStream_tbEUlmE_fEESD_NS0_8identityIvEEEESI_SL_SM_mSN_SP_bEUlT_E_NS1_11comp_targetILNS1_3genE4ELNS1_11target_archE910ELNS1_3gpuE8ELNS1_3repE0EEENS1_30default_config_static_selectorELNS0_4arch9wavefront6targetE0EEEvT1_: ; @_ZN7rocprim17ROCPRIM_400000_NS6detail17trampoline_kernelINS0_14default_configENS1_25transform_config_selectorIfLb0EEEZNS1_14transform_implILb0ES3_S5_NS0_18transform_iteratorINS0_17counting_iteratorImlEEZNS1_24adjacent_difference_implIS3_Lb1ELb0EPKfPfN6thrust23THRUST_200600_302600_NS4plusIfEEEE10hipError_tPvRmT2_T3_mT4_P12ihipStream_tbEUlmE_fEESD_NS0_8identityIvEEEESI_SL_SM_mSN_SP_bEUlT_E_NS1_11comp_targetILNS1_3genE4ELNS1_11target_archE910ELNS1_3gpuE8ELNS1_3repE0EEENS1_30default_config_static_selectorELNS0_4arch9wavefront6targetE0EEEvT1_
; %bb.0:
	.section	.rodata,"a",@progbits
	.p2align	6, 0x0
	.amdhsa_kernel _ZN7rocprim17ROCPRIM_400000_NS6detail17trampoline_kernelINS0_14default_configENS1_25transform_config_selectorIfLb0EEEZNS1_14transform_implILb0ES3_S5_NS0_18transform_iteratorINS0_17counting_iteratorImlEEZNS1_24adjacent_difference_implIS3_Lb1ELb0EPKfPfN6thrust23THRUST_200600_302600_NS4plusIfEEEE10hipError_tPvRmT2_T3_mT4_P12ihipStream_tbEUlmE_fEESD_NS0_8identityIvEEEESI_SL_SM_mSN_SP_bEUlT_E_NS1_11comp_targetILNS1_3genE4ELNS1_11target_archE910ELNS1_3gpuE8ELNS1_3repE0EEENS1_30default_config_static_selectorELNS0_4arch9wavefront6targetE0EEEvT1_
		.amdhsa_group_segment_fixed_size 0
		.amdhsa_private_segment_fixed_size 0
		.amdhsa_kernarg_size 56
		.amdhsa_user_sgpr_count 15
		.amdhsa_user_sgpr_dispatch_ptr 0
		.amdhsa_user_sgpr_queue_ptr 0
		.amdhsa_user_sgpr_kernarg_segment_ptr 1
		.amdhsa_user_sgpr_dispatch_id 0
		.amdhsa_user_sgpr_private_segment_size 0
		.amdhsa_wavefront_size32 1
		.amdhsa_uses_dynamic_stack 0
		.amdhsa_enable_private_segment 0
		.amdhsa_system_sgpr_workgroup_id_x 1
		.amdhsa_system_sgpr_workgroup_id_y 0
		.amdhsa_system_sgpr_workgroup_id_z 0
		.amdhsa_system_sgpr_workgroup_info 0
		.amdhsa_system_vgpr_workitem_id 0
		.amdhsa_next_free_vgpr 1
		.amdhsa_next_free_sgpr 1
		.amdhsa_reserve_vcc 0
		.amdhsa_float_round_mode_32 0
		.amdhsa_float_round_mode_16_64 0
		.amdhsa_float_denorm_mode_32 3
		.amdhsa_float_denorm_mode_16_64 3
		.amdhsa_dx10_clamp 1
		.amdhsa_ieee_mode 1
		.amdhsa_fp16_overflow 0
		.amdhsa_workgroup_processor_mode 1
		.amdhsa_memory_ordered 1
		.amdhsa_forward_progress 0
		.amdhsa_shared_vgpr_count 0
		.amdhsa_exception_fp_ieee_invalid_op 0
		.amdhsa_exception_fp_denorm_src 0
		.amdhsa_exception_fp_ieee_div_zero 0
		.amdhsa_exception_fp_ieee_overflow 0
		.amdhsa_exception_fp_ieee_underflow 0
		.amdhsa_exception_fp_ieee_inexact 0
		.amdhsa_exception_int_div_zero 0
	.end_amdhsa_kernel
	.section	.text._ZN7rocprim17ROCPRIM_400000_NS6detail17trampoline_kernelINS0_14default_configENS1_25transform_config_selectorIfLb0EEEZNS1_14transform_implILb0ES3_S5_NS0_18transform_iteratorINS0_17counting_iteratorImlEEZNS1_24adjacent_difference_implIS3_Lb1ELb0EPKfPfN6thrust23THRUST_200600_302600_NS4plusIfEEEE10hipError_tPvRmT2_T3_mT4_P12ihipStream_tbEUlmE_fEESD_NS0_8identityIvEEEESI_SL_SM_mSN_SP_bEUlT_E_NS1_11comp_targetILNS1_3genE4ELNS1_11target_archE910ELNS1_3gpuE8ELNS1_3repE0EEENS1_30default_config_static_selectorELNS0_4arch9wavefront6targetE0EEEvT1_,"axG",@progbits,_ZN7rocprim17ROCPRIM_400000_NS6detail17trampoline_kernelINS0_14default_configENS1_25transform_config_selectorIfLb0EEEZNS1_14transform_implILb0ES3_S5_NS0_18transform_iteratorINS0_17counting_iteratorImlEEZNS1_24adjacent_difference_implIS3_Lb1ELb0EPKfPfN6thrust23THRUST_200600_302600_NS4plusIfEEEE10hipError_tPvRmT2_T3_mT4_P12ihipStream_tbEUlmE_fEESD_NS0_8identityIvEEEESI_SL_SM_mSN_SP_bEUlT_E_NS1_11comp_targetILNS1_3genE4ELNS1_11target_archE910ELNS1_3gpuE8ELNS1_3repE0EEENS1_30default_config_static_selectorELNS0_4arch9wavefront6targetE0EEEvT1_,comdat
.Lfunc_end608:
	.size	_ZN7rocprim17ROCPRIM_400000_NS6detail17trampoline_kernelINS0_14default_configENS1_25transform_config_selectorIfLb0EEEZNS1_14transform_implILb0ES3_S5_NS0_18transform_iteratorINS0_17counting_iteratorImlEEZNS1_24adjacent_difference_implIS3_Lb1ELb0EPKfPfN6thrust23THRUST_200600_302600_NS4plusIfEEEE10hipError_tPvRmT2_T3_mT4_P12ihipStream_tbEUlmE_fEESD_NS0_8identityIvEEEESI_SL_SM_mSN_SP_bEUlT_E_NS1_11comp_targetILNS1_3genE4ELNS1_11target_archE910ELNS1_3gpuE8ELNS1_3repE0EEENS1_30default_config_static_selectorELNS0_4arch9wavefront6targetE0EEEvT1_, .Lfunc_end608-_ZN7rocprim17ROCPRIM_400000_NS6detail17trampoline_kernelINS0_14default_configENS1_25transform_config_selectorIfLb0EEEZNS1_14transform_implILb0ES3_S5_NS0_18transform_iteratorINS0_17counting_iteratorImlEEZNS1_24adjacent_difference_implIS3_Lb1ELb0EPKfPfN6thrust23THRUST_200600_302600_NS4plusIfEEEE10hipError_tPvRmT2_T3_mT4_P12ihipStream_tbEUlmE_fEESD_NS0_8identityIvEEEESI_SL_SM_mSN_SP_bEUlT_E_NS1_11comp_targetILNS1_3genE4ELNS1_11target_archE910ELNS1_3gpuE8ELNS1_3repE0EEENS1_30default_config_static_selectorELNS0_4arch9wavefront6targetE0EEEvT1_
                                        ; -- End function
	.section	.AMDGPU.csdata,"",@progbits
; Kernel info:
; codeLenInByte = 0
; NumSgprs: 0
; NumVgprs: 0
; ScratchSize: 0
; MemoryBound: 0
; FloatMode: 240
; IeeeMode: 1
; LDSByteSize: 0 bytes/workgroup (compile time only)
; SGPRBlocks: 0
; VGPRBlocks: 0
; NumSGPRsForWavesPerEU: 1
; NumVGPRsForWavesPerEU: 1
; Occupancy: 16
; WaveLimiterHint : 0
; COMPUTE_PGM_RSRC2:SCRATCH_EN: 0
; COMPUTE_PGM_RSRC2:USER_SGPR: 15
; COMPUTE_PGM_RSRC2:TRAP_HANDLER: 0
; COMPUTE_PGM_RSRC2:TGID_X_EN: 1
; COMPUTE_PGM_RSRC2:TGID_Y_EN: 0
; COMPUTE_PGM_RSRC2:TGID_Z_EN: 0
; COMPUTE_PGM_RSRC2:TIDIG_COMP_CNT: 0
	.section	.text._ZN7rocprim17ROCPRIM_400000_NS6detail17trampoline_kernelINS0_14default_configENS1_25transform_config_selectorIfLb0EEEZNS1_14transform_implILb0ES3_S5_NS0_18transform_iteratorINS0_17counting_iteratorImlEEZNS1_24adjacent_difference_implIS3_Lb1ELb0EPKfPfN6thrust23THRUST_200600_302600_NS4plusIfEEEE10hipError_tPvRmT2_T3_mT4_P12ihipStream_tbEUlmE_fEESD_NS0_8identityIvEEEESI_SL_SM_mSN_SP_bEUlT_E_NS1_11comp_targetILNS1_3genE3ELNS1_11target_archE908ELNS1_3gpuE7ELNS1_3repE0EEENS1_30default_config_static_selectorELNS0_4arch9wavefront6targetE0EEEvT1_,"axG",@progbits,_ZN7rocprim17ROCPRIM_400000_NS6detail17trampoline_kernelINS0_14default_configENS1_25transform_config_selectorIfLb0EEEZNS1_14transform_implILb0ES3_S5_NS0_18transform_iteratorINS0_17counting_iteratorImlEEZNS1_24adjacent_difference_implIS3_Lb1ELb0EPKfPfN6thrust23THRUST_200600_302600_NS4plusIfEEEE10hipError_tPvRmT2_T3_mT4_P12ihipStream_tbEUlmE_fEESD_NS0_8identityIvEEEESI_SL_SM_mSN_SP_bEUlT_E_NS1_11comp_targetILNS1_3genE3ELNS1_11target_archE908ELNS1_3gpuE7ELNS1_3repE0EEENS1_30default_config_static_selectorELNS0_4arch9wavefront6targetE0EEEvT1_,comdat
	.protected	_ZN7rocprim17ROCPRIM_400000_NS6detail17trampoline_kernelINS0_14default_configENS1_25transform_config_selectorIfLb0EEEZNS1_14transform_implILb0ES3_S5_NS0_18transform_iteratorINS0_17counting_iteratorImlEEZNS1_24adjacent_difference_implIS3_Lb1ELb0EPKfPfN6thrust23THRUST_200600_302600_NS4plusIfEEEE10hipError_tPvRmT2_T3_mT4_P12ihipStream_tbEUlmE_fEESD_NS0_8identityIvEEEESI_SL_SM_mSN_SP_bEUlT_E_NS1_11comp_targetILNS1_3genE3ELNS1_11target_archE908ELNS1_3gpuE7ELNS1_3repE0EEENS1_30default_config_static_selectorELNS0_4arch9wavefront6targetE0EEEvT1_ ; -- Begin function _ZN7rocprim17ROCPRIM_400000_NS6detail17trampoline_kernelINS0_14default_configENS1_25transform_config_selectorIfLb0EEEZNS1_14transform_implILb0ES3_S5_NS0_18transform_iteratorINS0_17counting_iteratorImlEEZNS1_24adjacent_difference_implIS3_Lb1ELb0EPKfPfN6thrust23THRUST_200600_302600_NS4plusIfEEEE10hipError_tPvRmT2_T3_mT4_P12ihipStream_tbEUlmE_fEESD_NS0_8identityIvEEEESI_SL_SM_mSN_SP_bEUlT_E_NS1_11comp_targetILNS1_3genE3ELNS1_11target_archE908ELNS1_3gpuE7ELNS1_3repE0EEENS1_30default_config_static_selectorELNS0_4arch9wavefront6targetE0EEEvT1_
	.globl	_ZN7rocprim17ROCPRIM_400000_NS6detail17trampoline_kernelINS0_14default_configENS1_25transform_config_selectorIfLb0EEEZNS1_14transform_implILb0ES3_S5_NS0_18transform_iteratorINS0_17counting_iteratorImlEEZNS1_24adjacent_difference_implIS3_Lb1ELb0EPKfPfN6thrust23THRUST_200600_302600_NS4plusIfEEEE10hipError_tPvRmT2_T3_mT4_P12ihipStream_tbEUlmE_fEESD_NS0_8identityIvEEEESI_SL_SM_mSN_SP_bEUlT_E_NS1_11comp_targetILNS1_3genE3ELNS1_11target_archE908ELNS1_3gpuE7ELNS1_3repE0EEENS1_30default_config_static_selectorELNS0_4arch9wavefront6targetE0EEEvT1_
	.p2align	8
	.type	_ZN7rocprim17ROCPRIM_400000_NS6detail17trampoline_kernelINS0_14default_configENS1_25transform_config_selectorIfLb0EEEZNS1_14transform_implILb0ES3_S5_NS0_18transform_iteratorINS0_17counting_iteratorImlEEZNS1_24adjacent_difference_implIS3_Lb1ELb0EPKfPfN6thrust23THRUST_200600_302600_NS4plusIfEEEE10hipError_tPvRmT2_T3_mT4_P12ihipStream_tbEUlmE_fEESD_NS0_8identityIvEEEESI_SL_SM_mSN_SP_bEUlT_E_NS1_11comp_targetILNS1_3genE3ELNS1_11target_archE908ELNS1_3gpuE7ELNS1_3repE0EEENS1_30default_config_static_selectorELNS0_4arch9wavefront6targetE0EEEvT1_,@function
_ZN7rocprim17ROCPRIM_400000_NS6detail17trampoline_kernelINS0_14default_configENS1_25transform_config_selectorIfLb0EEEZNS1_14transform_implILb0ES3_S5_NS0_18transform_iteratorINS0_17counting_iteratorImlEEZNS1_24adjacent_difference_implIS3_Lb1ELb0EPKfPfN6thrust23THRUST_200600_302600_NS4plusIfEEEE10hipError_tPvRmT2_T3_mT4_P12ihipStream_tbEUlmE_fEESD_NS0_8identityIvEEEESI_SL_SM_mSN_SP_bEUlT_E_NS1_11comp_targetILNS1_3genE3ELNS1_11target_archE908ELNS1_3gpuE7ELNS1_3repE0EEENS1_30default_config_static_selectorELNS0_4arch9wavefront6targetE0EEEvT1_: ; @_ZN7rocprim17ROCPRIM_400000_NS6detail17trampoline_kernelINS0_14default_configENS1_25transform_config_selectorIfLb0EEEZNS1_14transform_implILb0ES3_S5_NS0_18transform_iteratorINS0_17counting_iteratorImlEEZNS1_24adjacent_difference_implIS3_Lb1ELb0EPKfPfN6thrust23THRUST_200600_302600_NS4plusIfEEEE10hipError_tPvRmT2_T3_mT4_P12ihipStream_tbEUlmE_fEESD_NS0_8identityIvEEEESI_SL_SM_mSN_SP_bEUlT_E_NS1_11comp_targetILNS1_3genE3ELNS1_11target_archE908ELNS1_3gpuE7ELNS1_3repE0EEENS1_30default_config_static_selectorELNS0_4arch9wavefront6targetE0EEEvT1_
; %bb.0:
	.section	.rodata,"a",@progbits
	.p2align	6, 0x0
	.amdhsa_kernel _ZN7rocprim17ROCPRIM_400000_NS6detail17trampoline_kernelINS0_14default_configENS1_25transform_config_selectorIfLb0EEEZNS1_14transform_implILb0ES3_S5_NS0_18transform_iteratorINS0_17counting_iteratorImlEEZNS1_24adjacent_difference_implIS3_Lb1ELb0EPKfPfN6thrust23THRUST_200600_302600_NS4plusIfEEEE10hipError_tPvRmT2_T3_mT4_P12ihipStream_tbEUlmE_fEESD_NS0_8identityIvEEEESI_SL_SM_mSN_SP_bEUlT_E_NS1_11comp_targetILNS1_3genE3ELNS1_11target_archE908ELNS1_3gpuE7ELNS1_3repE0EEENS1_30default_config_static_selectorELNS0_4arch9wavefront6targetE0EEEvT1_
		.amdhsa_group_segment_fixed_size 0
		.amdhsa_private_segment_fixed_size 0
		.amdhsa_kernarg_size 56
		.amdhsa_user_sgpr_count 15
		.amdhsa_user_sgpr_dispatch_ptr 0
		.amdhsa_user_sgpr_queue_ptr 0
		.amdhsa_user_sgpr_kernarg_segment_ptr 1
		.amdhsa_user_sgpr_dispatch_id 0
		.amdhsa_user_sgpr_private_segment_size 0
		.amdhsa_wavefront_size32 1
		.amdhsa_uses_dynamic_stack 0
		.amdhsa_enable_private_segment 0
		.amdhsa_system_sgpr_workgroup_id_x 1
		.amdhsa_system_sgpr_workgroup_id_y 0
		.amdhsa_system_sgpr_workgroup_id_z 0
		.amdhsa_system_sgpr_workgroup_info 0
		.amdhsa_system_vgpr_workitem_id 0
		.amdhsa_next_free_vgpr 1
		.amdhsa_next_free_sgpr 1
		.amdhsa_reserve_vcc 0
		.amdhsa_float_round_mode_32 0
		.amdhsa_float_round_mode_16_64 0
		.amdhsa_float_denorm_mode_32 3
		.amdhsa_float_denorm_mode_16_64 3
		.amdhsa_dx10_clamp 1
		.amdhsa_ieee_mode 1
		.amdhsa_fp16_overflow 0
		.amdhsa_workgroup_processor_mode 1
		.amdhsa_memory_ordered 1
		.amdhsa_forward_progress 0
		.amdhsa_shared_vgpr_count 0
		.amdhsa_exception_fp_ieee_invalid_op 0
		.amdhsa_exception_fp_denorm_src 0
		.amdhsa_exception_fp_ieee_div_zero 0
		.amdhsa_exception_fp_ieee_overflow 0
		.amdhsa_exception_fp_ieee_underflow 0
		.amdhsa_exception_fp_ieee_inexact 0
		.amdhsa_exception_int_div_zero 0
	.end_amdhsa_kernel
	.section	.text._ZN7rocprim17ROCPRIM_400000_NS6detail17trampoline_kernelINS0_14default_configENS1_25transform_config_selectorIfLb0EEEZNS1_14transform_implILb0ES3_S5_NS0_18transform_iteratorINS0_17counting_iteratorImlEEZNS1_24adjacent_difference_implIS3_Lb1ELb0EPKfPfN6thrust23THRUST_200600_302600_NS4plusIfEEEE10hipError_tPvRmT2_T3_mT4_P12ihipStream_tbEUlmE_fEESD_NS0_8identityIvEEEESI_SL_SM_mSN_SP_bEUlT_E_NS1_11comp_targetILNS1_3genE3ELNS1_11target_archE908ELNS1_3gpuE7ELNS1_3repE0EEENS1_30default_config_static_selectorELNS0_4arch9wavefront6targetE0EEEvT1_,"axG",@progbits,_ZN7rocprim17ROCPRIM_400000_NS6detail17trampoline_kernelINS0_14default_configENS1_25transform_config_selectorIfLb0EEEZNS1_14transform_implILb0ES3_S5_NS0_18transform_iteratorINS0_17counting_iteratorImlEEZNS1_24adjacent_difference_implIS3_Lb1ELb0EPKfPfN6thrust23THRUST_200600_302600_NS4plusIfEEEE10hipError_tPvRmT2_T3_mT4_P12ihipStream_tbEUlmE_fEESD_NS0_8identityIvEEEESI_SL_SM_mSN_SP_bEUlT_E_NS1_11comp_targetILNS1_3genE3ELNS1_11target_archE908ELNS1_3gpuE7ELNS1_3repE0EEENS1_30default_config_static_selectorELNS0_4arch9wavefront6targetE0EEEvT1_,comdat
.Lfunc_end609:
	.size	_ZN7rocprim17ROCPRIM_400000_NS6detail17trampoline_kernelINS0_14default_configENS1_25transform_config_selectorIfLb0EEEZNS1_14transform_implILb0ES3_S5_NS0_18transform_iteratorINS0_17counting_iteratorImlEEZNS1_24adjacent_difference_implIS3_Lb1ELb0EPKfPfN6thrust23THRUST_200600_302600_NS4plusIfEEEE10hipError_tPvRmT2_T3_mT4_P12ihipStream_tbEUlmE_fEESD_NS0_8identityIvEEEESI_SL_SM_mSN_SP_bEUlT_E_NS1_11comp_targetILNS1_3genE3ELNS1_11target_archE908ELNS1_3gpuE7ELNS1_3repE0EEENS1_30default_config_static_selectorELNS0_4arch9wavefront6targetE0EEEvT1_, .Lfunc_end609-_ZN7rocprim17ROCPRIM_400000_NS6detail17trampoline_kernelINS0_14default_configENS1_25transform_config_selectorIfLb0EEEZNS1_14transform_implILb0ES3_S5_NS0_18transform_iteratorINS0_17counting_iteratorImlEEZNS1_24adjacent_difference_implIS3_Lb1ELb0EPKfPfN6thrust23THRUST_200600_302600_NS4plusIfEEEE10hipError_tPvRmT2_T3_mT4_P12ihipStream_tbEUlmE_fEESD_NS0_8identityIvEEEESI_SL_SM_mSN_SP_bEUlT_E_NS1_11comp_targetILNS1_3genE3ELNS1_11target_archE908ELNS1_3gpuE7ELNS1_3repE0EEENS1_30default_config_static_selectorELNS0_4arch9wavefront6targetE0EEEvT1_
                                        ; -- End function
	.section	.AMDGPU.csdata,"",@progbits
; Kernel info:
; codeLenInByte = 0
; NumSgprs: 0
; NumVgprs: 0
; ScratchSize: 0
; MemoryBound: 0
; FloatMode: 240
; IeeeMode: 1
; LDSByteSize: 0 bytes/workgroup (compile time only)
; SGPRBlocks: 0
; VGPRBlocks: 0
; NumSGPRsForWavesPerEU: 1
; NumVGPRsForWavesPerEU: 1
; Occupancy: 16
; WaveLimiterHint : 0
; COMPUTE_PGM_RSRC2:SCRATCH_EN: 0
; COMPUTE_PGM_RSRC2:USER_SGPR: 15
; COMPUTE_PGM_RSRC2:TRAP_HANDLER: 0
; COMPUTE_PGM_RSRC2:TGID_X_EN: 1
; COMPUTE_PGM_RSRC2:TGID_Y_EN: 0
; COMPUTE_PGM_RSRC2:TGID_Z_EN: 0
; COMPUTE_PGM_RSRC2:TIDIG_COMP_CNT: 0
	.section	.text._ZN7rocprim17ROCPRIM_400000_NS6detail17trampoline_kernelINS0_14default_configENS1_25transform_config_selectorIfLb0EEEZNS1_14transform_implILb0ES3_S5_NS0_18transform_iteratorINS0_17counting_iteratorImlEEZNS1_24adjacent_difference_implIS3_Lb1ELb0EPKfPfN6thrust23THRUST_200600_302600_NS4plusIfEEEE10hipError_tPvRmT2_T3_mT4_P12ihipStream_tbEUlmE_fEESD_NS0_8identityIvEEEESI_SL_SM_mSN_SP_bEUlT_E_NS1_11comp_targetILNS1_3genE2ELNS1_11target_archE906ELNS1_3gpuE6ELNS1_3repE0EEENS1_30default_config_static_selectorELNS0_4arch9wavefront6targetE0EEEvT1_,"axG",@progbits,_ZN7rocprim17ROCPRIM_400000_NS6detail17trampoline_kernelINS0_14default_configENS1_25transform_config_selectorIfLb0EEEZNS1_14transform_implILb0ES3_S5_NS0_18transform_iteratorINS0_17counting_iteratorImlEEZNS1_24adjacent_difference_implIS3_Lb1ELb0EPKfPfN6thrust23THRUST_200600_302600_NS4plusIfEEEE10hipError_tPvRmT2_T3_mT4_P12ihipStream_tbEUlmE_fEESD_NS0_8identityIvEEEESI_SL_SM_mSN_SP_bEUlT_E_NS1_11comp_targetILNS1_3genE2ELNS1_11target_archE906ELNS1_3gpuE6ELNS1_3repE0EEENS1_30default_config_static_selectorELNS0_4arch9wavefront6targetE0EEEvT1_,comdat
	.protected	_ZN7rocprim17ROCPRIM_400000_NS6detail17trampoline_kernelINS0_14default_configENS1_25transform_config_selectorIfLb0EEEZNS1_14transform_implILb0ES3_S5_NS0_18transform_iteratorINS0_17counting_iteratorImlEEZNS1_24adjacent_difference_implIS3_Lb1ELb0EPKfPfN6thrust23THRUST_200600_302600_NS4plusIfEEEE10hipError_tPvRmT2_T3_mT4_P12ihipStream_tbEUlmE_fEESD_NS0_8identityIvEEEESI_SL_SM_mSN_SP_bEUlT_E_NS1_11comp_targetILNS1_3genE2ELNS1_11target_archE906ELNS1_3gpuE6ELNS1_3repE0EEENS1_30default_config_static_selectorELNS0_4arch9wavefront6targetE0EEEvT1_ ; -- Begin function _ZN7rocprim17ROCPRIM_400000_NS6detail17trampoline_kernelINS0_14default_configENS1_25transform_config_selectorIfLb0EEEZNS1_14transform_implILb0ES3_S5_NS0_18transform_iteratorINS0_17counting_iteratorImlEEZNS1_24adjacent_difference_implIS3_Lb1ELb0EPKfPfN6thrust23THRUST_200600_302600_NS4plusIfEEEE10hipError_tPvRmT2_T3_mT4_P12ihipStream_tbEUlmE_fEESD_NS0_8identityIvEEEESI_SL_SM_mSN_SP_bEUlT_E_NS1_11comp_targetILNS1_3genE2ELNS1_11target_archE906ELNS1_3gpuE6ELNS1_3repE0EEENS1_30default_config_static_selectorELNS0_4arch9wavefront6targetE0EEEvT1_
	.globl	_ZN7rocprim17ROCPRIM_400000_NS6detail17trampoline_kernelINS0_14default_configENS1_25transform_config_selectorIfLb0EEEZNS1_14transform_implILb0ES3_S5_NS0_18transform_iteratorINS0_17counting_iteratorImlEEZNS1_24adjacent_difference_implIS3_Lb1ELb0EPKfPfN6thrust23THRUST_200600_302600_NS4plusIfEEEE10hipError_tPvRmT2_T3_mT4_P12ihipStream_tbEUlmE_fEESD_NS0_8identityIvEEEESI_SL_SM_mSN_SP_bEUlT_E_NS1_11comp_targetILNS1_3genE2ELNS1_11target_archE906ELNS1_3gpuE6ELNS1_3repE0EEENS1_30default_config_static_selectorELNS0_4arch9wavefront6targetE0EEEvT1_
	.p2align	8
	.type	_ZN7rocprim17ROCPRIM_400000_NS6detail17trampoline_kernelINS0_14default_configENS1_25transform_config_selectorIfLb0EEEZNS1_14transform_implILb0ES3_S5_NS0_18transform_iteratorINS0_17counting_iteratorImlEEZNS1_24adjacent_difference_implIS3_Lb1ELb0EPKfPfN6thrust23THRUST_200600_302600_NS4plusIfEEEE10hipError_tPvRmT2_T3_mT4_P12ihipStream_tbEUlmE_fEESD_NS0_8identityIvEEEESI_SL_SM_mSN_SP_bEUlT_E_NS1_11comp_targetILNS1_3genE2ELNS1_11target_archE906ELNS1_3gpuE6ELNS1_3repE0EEENS1_30default_config_static_selectorELNS0_4arch9wavefront6targetE0EEEvT1_,@function
_ZN7rocprim17ROCPRIM_400000_NS6detail17trampoline_kernelINS0_14default_configENS1_25transform_config_selectorIfLb0EEEZNS1_14transform_implILb0ES3_S5_NS0_18transform_iteratorINS0_17counting_iteratorImlEEZNS1_24adjacent_difference_implIS3_Lb1ELb0EPKfPfN6thrust23THRUST_200600_302600_NS4plusIfEEEE10hipError_tPvRmT2_T3_mT4_P12ihipStream_tbEUlmE_fEESD_NS0_8identityIvEEEESI_SL_SM_mSN_SP_bEUlT_E_NS1_11comp_targetILNS1_3genE2ELNS1_11target_archE906ELNS1_3gpuE6ELNS1_3repE0EEENS1_30default_config_static_selectorELNS0_4arch9wavefront6targetE0EEEvT1_: ; @_ZN7rocprim17ROCPRIM_400000_NS6detail17trampoline_kernelINS0_14default_configENS1_25transform_config_selectorIfLb0EEEZNS1_14transform_implILb0ES3_S5_NS0_18transform_iteratorINS0_17counting_iteratorImlEEZNS1_24adjacent_difference_implIS3_Lb1ELb0EPKfPfN6thrust23THRUST_200600_302600_NS4plusIfEEEE10hipError_tPvRmT2_T3_mT4_P12ihipStream_tbEUlmE_fEESD_NS0_8identityIvEEEESI_SL_SM_mSN_SP_bEUlT_E_NS1_11comp_targetILNS1_3genE2ELNS1_11target_archE906ELNS1_3gpuE6ELNS1_3repE0EEENS1_30default_config_static_selectorELNS0_4arch9wavefront6targetE0EEEvT1_
; %bb.0:
	.section	.rodata,"a",@progbits
	.p2align	6, 0x0
	.amdhsa_kernel _ZN7rocprim17ROCPRIM_400000_NS6detail17trampoline_kernelINS0_14default_configENS1_25transform_config_selectorIfLb0EEEZNS1_14transform_implILb0ES3_S5_NS0_18transform_iteratorINS0_17counting_iteratorImlEEZNS1_24adjacent_difference_implIS3_Lb1ELb0EPKfPfN6thrust23THRUST_200600_302600_NS4plusIfEEEE10hipError_tPvRmT2_T3_mT4_P12ihipStream_tbEUlmE_fEESD_NS0_8identityIvEEEESI_SL_SM_mSN_SP_bEUlT_E_NS1_11comp_targetILNS1_3genE2ELNS1_11target_archE906ELNS1_3gpuE6ELNS1_3repE0EEENS1_30default_config_static_selectorELNS0_4arch9wavefront6targetE0EEEvT1_
		.amdhsa_group_segment_fixed_size 0
		.amdhsa_private_segment_fixed_size 0
		.amdhsa_kernarg_size 56
		.amdhsa_user_sgpr_count 15
		.amdhsa_user_sgpr_dispatch_ptr 0
		.amdhsa_user_sgpr_queue_ptr 0
		.amdhsa_user_sgpr_kernarg_segment_ptr 1
		.amdhsa_user_sgpr_dispatch_id 0
		.amdhsa_user_sgpr_private_segment_size 0
		.amdhsa_wavefront_size32 1
		.amdhsa_uses_dynamic_stack 0
		.amdhsa_enable_private_segment 0
		.amdhsa_system_sgpr_workgroup_id_x 1
		.amdhsa_system_sgpr_workgroup_id_y 0
		.amdhsa_system_sgpr_workgroup_id_z 0
		.amdhsa_system_sgpr_workgroup_info 0
		.amdhsa_system_vgpr_workitem_id 0
		.amdhsa_next_free_vgpr 1
		.amdhsa_next_free_sgpr 1
		.amdhsa_reserve_vcc 0
		.amdhsa_float_round_mode_32 0
		.amdhsa_float_round_mode_16_64 0
		.amdhsa_float_denorm_mode_32 3
		.amdhsa_float_denorm_mode_16_64 3
		.amdhsa_dx10_clamp 1
		.amdhsa_ieee_mode 1
		.amdhsa_fp16_overflow 0
		.amdhsa_workgroup_processor_mode 1
		.amdhsa_memory_ordered 1
		.amdhsa_forward_progress 0
		.amdhsa_shared_vgpr_count 0
		.amdhsa_exception_fp_ieee_invalid_op 0
		.amdhsa_exception_fp_denorm_src 0
		.amdhsa_exception_fp_ieee_div_zero 0
		.amdhsa_exception_fp_ieee_overflow 0
		.amdhsa_exception_fp_ieee_underflow 0
		.amdhsa_exception_fp_ieee_inexact 0
		.amdhsa_exception_int_div_zero 0
	.end_amdhsa_kernel
	.section	.text._ZN7rocprim17ROCPRIM_400000_NS6detail17trampoline_kernelINS0_14default_configENS1_25transform_config_selectorIfLb0EEEZNS1_14transform_implILb0ES3_S5_NS0_18transform_iteratorINS0_17counting_iteratorImlEEZNS1_24adjacent_difference_implIS3_Lb1ELb0EPKfPfN6thrust23THRUST_200600_302600_NS4plusIfEEEE10hipError_tPvRmT2_T3_mT4_P12ihipStream_tbEUlmE_fEESD_NS0_8identityIvEEEESI_SL_SM_mSN_SP_bEUlT_E_NS1_11comp_targetILNS1_3genE2ELNS1_11target_archE906ELNS1_3gpuE6ELNS1_3repE0EEENS1_30default_config_static_selectorELNS0_4arch9wavefront6targetE0EEEvT1_,"axG",@progbits,_ZN7rocprim17ROCPRIM_400000_NS6detail17trampoline_kernelINS0_14default_configENS1_25transform_config_selectorIfLb0EEEZNS1_14transform_implILb0ES3_S5_NS0_18transform_iteratorINS0_17counting_iteratorImlEEZNS1_24adjacent_difference_implIS3_Lb1ELb0EPKfPfN6thrust23THRUST_200600_302600_NS4plusIfEEEE10hipError_tPvRmT2_T3_mT4_P12ihipStream_tbEUlmE_fEESD_NS0_8identityIvEEEESI_SL_SM_mSN_SP_bEUlT_E_NS1_11comp_targetILNS1_3genE2ELNS1_11target_archE906ELNS1_3gpuE6ELNS1_3repE0EEENS1_30default_config_static_selectorELNS0_4arch9wavefront6targetE0EEEvT1_,comdat
.Lfunc_end610:
	.size	_ZN7rocprim17ROCPRIM_400000_NS6detail17trampoline_kernelINS0_14default_configENS1_25transform_config_selectorIfLb0EEEZNS1_14transform_implILb0ES3_S5_NS0_18transform_iteratorINS0_17counting_iteratorImlEEZNS1_24adjacent_difference_implIS3_Lb1ELb0EPKfPfN6thrust23THRUST_200600_302600_NS4plusIfEEEE10hipError_tPvRmT2_T3_mT4_P12ihipStream_tbEUlmE_fEESD_NS0_8identityIvEEEESI_SL_SM_mSN_SP_bEUlT_E_NS1_11comp_targetILNS1_3genE2ELNS1_11target_archE906ELNS1_3gpuE6ELNS1_3repE0EEENS1_30default_config_static_selectorELNS0_4arch9wavefront6targetE0EEEvT1_, .Lfunc_end610-_ZN7rocprim17ROCPRIM_400000_NS6detail17trampoline_kernelINS0_14default_configENS1_25transform_config_selectorIfLb0EEEZNS1_14transform_implILb0ES3_S5_NS0_18transform_iteratorINS0_17counting_iteratorImlEEZNS1_24adjacent_difference_implIS3_Lb1ELb0EPKfPfN6thrust23THRUST_200600_302600_NS4plusIfEEEE10hipError_tPvRmT2_T3_mT4_P12ihipStream_tbEUlmE_fEESD_NS0_8identityIvEEEESI_SL_SM_mSN_SP_bEUlT_E_NS1_11comp_targetILNS1_3genE2ELNS1_11target_archE906ELNS1_3gpuE6ELNS1_3repE0EEENS1_30default_config_static_selectorELNS0_4arch9wavefront6targetE0EEEvT1_
                                        ; -- End function
	.section	.AMDGPU.csdata,"",@progbits
; Kernel info:
; codeLenInByte = 0
; NumSgprs: 0
; NumVgprs: 0
; ScratchSize: 0
; MemoryBound: 0
; FloatMode: 240
; IeeeMode: 1
; LDSByteSize: 0 bytes/workgroup (compile time only)
; SGPRBlocks: 0
; VGPRBlocks: 0
; NumSGPRsForWavesPerEU: 1
; NumVGPRsForWavesPerEU: 1
; Occupancy: 16
; WaveLimiterHint : 0
; COMPUTE_PGM_RSRC2:SCRATCH_EN: 0
; COMPUTE_PGM_RSRC2:USER_SGPR: 15
; COMPUTE_PGM_RSRC2:TRAP_HANDLER: 0
; COMPUTE_PGM_RSRC2:TGID_X_EN: 1
; COMPUTE_PGM_RSRC2:TGID_Y_EN: 0
; COMPUTE_PGM_RSRC2:TGID_Z_EN: 0
; COMPUTE_PGM_RSRC2:TIDIG_COMP_CNT: 0
	.section	.text._ZN7rocprim17ROCPRIM_400000_NS6detail17trampoline_kernelINS0_14default_configENS1_25transform_config_selectorIfLb0EEEZNS1_14transform_implILb0ES3_S5_NS0_18transform_iteratorINS0_17counting_iteratorImlEEZNS1_24adjacent_difference_implIS3_Lb1ELb0EPKfPfN6thrust23THRUST_200600_302600_NS4plusIfEEEE10hipError_tPvRmT2_T3_mT4_P12ihipStream_tbEUlmE_fEESD_NS0_8identityIvEEEESI_SL_SM_mSN_SP_bEUlT_E_NS1_11comp_targetILNS1_3genE10ELNS1_11target_archE1201ELNS1_3gpuE5ELNS1_3repE0EEENS1_30default_config_static_selectorELNS0_4arch9wavefront6targetE0EEEvT1_,"axG",@progbits,_ZN7rocprim17ROCPRIM_400000_NS6detail17trampoline_kernelINS0_14default_configENS1_25transform_config_selectorIfLb0EEEZNS1_14transform_implILb0ES3_S5_NS0_18transform_iteratorINS0_17counting_iteratorImlEEZNS1_24adjacent_difference_implIS3_Lb1ELb0EPKfPfN6thrust23THRUST_200600_302600_NS4plusIfEEEE10hipError_tPvRmT2_T3_mT4_P12ihipStream_tbEUlmE_fEESD_NS0_8identityIvEEEESI_SL_SM_mSN_SP_bEUlT_E_NS1_11comp_targetILNS1_3genE10ELNS1_11target_archE1201ELNS1_3gpuE5ELNS1_3repE0EEENS1_30default_config_static_selectorELNS0_4arch9wavefront6targetE0EEEvT1_,comdat
	.protected	_ZN7rocprim17ROCPRIM_400000_NS6detail17trampoline_kernelINS0_14default_configENS1_25transform_config_selectorIfLb0EEEZNS1_14transform_implILb0ES3_S5_NS0_18transform_iteratorINS0_17counting_iteratorImlEEZNS1_24adjacent_difference_implIS3_Lb1ELb0EPKfPfN6thrust23THRUST_200600_302600_NS4plusIfEEEE10hipError_tPvRmT2_T3_mT4_P12ihipStream_tbEUlmE_fEESD_NS0_8identityIvEEEESI_SL_SM_mSN_SP_bEUlT_E_NS1_11comp_targetILNS1_3genE10ELNS1_11target_archE1201ELNS1_3gpuE5ELNS1_3repE0EEENS1_30default_config_static_selectorELNS0_4arch9wavefront6targetE0EEEvT1_ ; -- Begin function _ZN7rocprim17ROCPRIM_400000_NS6detail17trampoline_kernelINS0_14default_configENS1_25transform_config_selectorIfLb0EEEZNS1_14transform_implILb0ES3_S5_NS0_18transform_iteratorINS0_17counting_iteratorImlEEZNS1_24adjacent_difference_implIS3_Lb1ELb0EPKfPfN6thrust23THRUST_200600_302600_NS4plusIfEEEE10hipError_tPvRmT2_T3_mT4_P12ihipStream_tbEUlmE_fEESD_NS0_8identityIvEEEESI_SL_SM_mSN_SP_bEUlT_E_NS1_11comp_targetILNS1_3genE10ELNS1_11target_archE1201ELNS1_3gpuE5ELNS1_3repE0EEENS1_30default_config_static_selectorELNS0_4arch9wavefront6targetE0EEEvT1_
	.globl	_ZN7rocprim17ROCPRIM_400000_NS6detail17trampoline_kernelINS0_14default_configENS1_25transform_config_selectorIfLb0EEEZNS1_14transform_implILb0ES3_S5_NS0_18transform_iteratorINS0_17counting_iteratorImlEEZNS1_24adjacent_difference_implIS3_Lb1ELb0EPKfPfN6thrust23THRUST_200600_302600_NS4plusIfEEEE10hipError_tPvRmT2_T3_mT4_P12ihipStream_tbEUlmE_fEESD_NS0_8identityIvEEEESI_SL_SM_mSN_SP_bEUlT_E_NS1_11comp_targetILNS1_3genE10ELNS1_11target_archE1201ELNS1_3gpuE5ELNS1_3repE0EEENS1_30default_config_static_selectorELNS0_4arch9wavefront6targetE0EEEvT1_
	.p2align	8
	.type	_ZN7rocprim17ROCPRIM_400000_NS6detail17trampoline_kernelINS0_14default_configENS1_25transform_config_selectorIfLb0EEEZNS1_14transform_implILb0ES3_S5_NS0_18transform_iteratorINS0_17counting_iteratorImlEEZNS1_24adjacent_difference_implIS3_Lb1ELb0EPKfPfN6thrust23THRUST_200600_302600_NS4plusIfEEEE10hipError_tPvRmT2_T3_mT4_P12ihipStream_tbEUlmE_fEESD_NS0_8identityIvEEEESI_SL_SM_mSN_SP_bEUlT_E_NS1_11comp_targetILNS1_3genE10ELNS1_11target_archE1201ELNS1_3gpuE5ELNS1_3repE0EEENS1_30default_config_static_selectorELNS0_4arch9wavefront6targetE0EEEvT1_,@function
_ZN7rocprim17ROCPRIM_400000_NS6detail17trampoline_kernelINS0_14default_configENS1_25transform_config_selectorIfLb0EEEZNS1_14transform_implILb0ES3_S5_NS0_18transform_iteratorINS0_17counting_iteratorImlEEZNS1_24adjacent_difference_implIS3_Lb1ELb0EPKfPfN6thrust23THRUST_200600_302600_NS4plusIfEEEE10hipError_tPvRmT2_T3_mT4_P12ihipStream_tbEUlmE_fEESD_NS0_8identityIvEEEESI_SL_SM_mSN_SP_bEUlT_E_NS1_11comp_targetILNS1_3genE10ELNS1_11target_archE1201ELNS1_3gpuE5ELNS1_3repE0EEENS1_30default_config_static_selectorELNS0_4arch9wavefront6targetE0EEEvT1_: ; @_ZN7rocprim17ROCPRIM_400000_NS6detail17trampoline_kernelINS0_14default_configENS1_25transform_config_selectorIfLb0EEEZNS1_14transform_implILb0ES3_S5_NS0_18transform_iteratorINS0_17counting_iteratorImlEEZNS1_24adjacent_difference_implIS3_Lb1ELb0EPKfPfN6thrust23THRUST_200600_302600_NS4plusIfEEEE10hipError_tPvRmT2_T3_mT4_P12ihipStream_tbEUlmE_fEESD_NS0_8identityIvEEEESI_SL_SM_mSN_SP_bEUlT_E_NS1_11comp_targetILNS1_3genE10ELNS1_11target_archE1201ELNS1_3gpuE5ELNS1_3repE0EEENS1_30default_config_static_selectorELNS0_4arch9wavefront6targetE0EEEvT1_
; %bb.0:
	.section	.rodata,"a",@progbits
	.p2align	6, 0x0
	.amdhsa_kernel _ZN7rocprim17ROCPRIM_400000_NS6detail17trampoline_kernelINS0_14default_configENS1_25transform_config_selectorIfLb0EEEZNS1_14transform_implILb0ES3_S5_NS0_18transform_iteratorINS0_17counting_iteratorImlEEZNS1_24adjacent_difference_implIS3_Lb1ELb0EPKfPfN6thrust23THRUST_200600_302600_NS4plusIfEEEE10hipError_tPvRmT2_T3_mT4_P12ihipStream_tbEUlmE_fEESD_NS0_8identityIvEEEESI_SL_SM_mSN_SP_bEUlT_E_NS1_11comp_targetILNS1_3genE10ELNS1_11target_archE1201ELNS1_3gpuE5ELNS1_3repE0EEENS1_30default_config_static_selectorELNS0_4arch9wavefront6targetE0EEEvT1_
		.amdhsa_group_segment_fixed_size 0
		.amdhsa_private_segment_fixed_size 0
		.amdhsa_kernarg_size 56
		.amdhsa_user_sgpr_count 15
		.amdhsa_user_sgpr_dispatch_ptr 0
		.amdhsa_user_sgpr_queue_ptr 0
		.amdhsa_user_sgpr_kernarg_segment_ptr 1
		.amdhsa_user_sgpr_dispatch_id 0
		.amdhsa_user_sgpr_private_segment_size 0
		.amdhsa_wavefront_size32 1
		.amdhsa_uses_dynamic_stack 0
		.amdhsa_enable_private_segment 0
		.amdhsa_system_sgpr_workgroup_id_x 1
		.amdhsa_system_sgpr_workgroup_id_y 0
		.amdhsa_system_sgpr_workgroup_id_z 0
		.amdhsa_system_sgpr_workgroup_info 0
		.amdhsa_system_vgpr_workitem_id 0
		.amdhsa_next_free_vgpr 1
		.amdhsa_next_free_sgpr 1
		.amdhsa_reserve_vcc 0
		.amdhsa_float_round_mode_32 0
		.amdhsa_float_round_mode_16_64 0
		.amdhsa_float_denorm_mode_32 3
		.amdhsa_float_denorm_mode_16_64 3
		.amdhsa_dx10_clamp 1
		.amdhsa_ieee_mode 1
		.amdhsa_fp16_overflow 0
		.amdhsa_workgroup_processor_mode 1
		.amdhsa_memory_ordered 1
		.amdhsa_forward_progress 0
		.amdhsa_shared_vgpr_count 0
		.amdhsa_exception_fp_ieee_invalid_op 0
		.amdhsa_exception_fp_denorm_src 0
		.amdhsa_exception_fp_ieee_div_zero 0
		.amdhsa_exception_fp_ieee_overflow 0
		.amdhsa_exception_fp_ieee_underflow 0
		.amdhsa_exception_fp_ieee_inexact 0
		.amdhsa_exception_int_div_zero 0
	.end_amdhsa_kernel
	.section	.text._ZN7rocprim17ROCPRIM_400000_NS6detail17trampoline_kernelINS0_14default_configENS1_25transform_config_selectorIfLb0EEEZNS1_14transform_implILb0ES3_S5_NS0_18transform_iteratorINS0_17counting_iteratorImlEEZNS1_24adjacent_difference_implIS3_Lb1ELb0EPKfPfN6thrust23THRUST_200600_302600_NS4plusIfEEEE10hipError_tPvRmT2_T3_mT4_P12ihipStream_tbEUlmE_fEESD_NS0_8identityIvEEEESI_SL_SM_mSN_SP_bEUlT_E_NS1_11comp_targetILNS1_3genE10ELNS1_11target_archE1201ELNS1_3gpuE5ELNS1_3repE0EEENS1_30default_config_static_selectorELNS0_4arch9wavefront6targetE0EEEvT1_,"axG",@progbits,_ZN7rocprim17ROCPRIM_400000_NS6detail17trampoline_kernelINS0_14default_configENS1_25transform_config_selectorIfLb0EEEZNS1_14transform_implILb0ES3_S5_NS0_18transform_iteratorINS0_17counting_iteratorImlEEZNS1_24adjacent_difference_implIS3_Lb1ELb0EPKfPfN6thrust23THRUST_200600_302600_NS4plusIfEEEE10hipError_tPvRmT2_T3_mT4_P12ihipStream_tbEUlmE_fEESD_NS0_8identityIvEEEESI_SL_SM_mSN_SP_bEUlT_E_NS1_11comp_targetILNS1_3genE10ELNS1_11target_archE1201ELNS1_3gpuE5ELNS1_3repE0EEENS1_30default_config_static_selectorELNS0_4arch9wavefront6targetE0EEEvT1_,comdat
.Lfunc_end611:
	.size	_ZN7rocprim17ROCPRIM_400000_NS6detail17trampoline_kernelINS0_14default_configENS1_25transform_config_selectorIfLb0EEEZNS1_14transform_implILb0ES3_S5_NS0_18transform_iteratorINS0_17counting_iteratorImlEEZNS1_24adjacent_difference_implIS3_Lb1ELb0EPKfPfN6thrust23THRUST_200600_302600_NS4plusIfEEEE10hipError_tPvRmT2_T3_mT4_P12ihipStream_tbEUlmE_fEESD_NS0_8identityIvEEEESI_SL_SM_mSN_SP_bEUlT_E_NS1_11comp_targetILNS1_3genE10ELNS1_11target_archE1201ELNS1_3gpuE5ELNS1_3repE0EEENS1_30default_config_static_selectorELNS0_4arch9wavefront6targetE0EEEvT1_, .Lfunc_end611-_ZN7rocprim17ROCPRIM_400000_NS6detail17trampoline_kernelINS0_14default_configENS1_25transform_config_selectorIfLb0EEEZNS1_14transform_implILb0ES3_S5_NS0_18transform_iteratorINS0_17counting_iteratorImlEEZNS1_24adjacent_difference_implIS3_Lb1ELb0EPKfPfN6thrust23THRUST_200600_302600_NS4plusIfEEEE10hipError_tPvRmT2_T3_mT4_P12ihipStream_tbEUlmE_fEESD_NS0_8identityIvEEEESI_SL_SM_mSN_SP_bEUlT_E_NS1_11comp_targetILNS1_3genE10ELNS1_11target_archE1201ELNS1_3gpuE5ELNS1_3repE0EEENS1_30default_config_static_selectorELNS0_4arch9wavefront6targetE0EEEvT1_
                                        ; -- End function
	.section	.AMDGPU.csdata,"",@progbits
; Kernel info:
; codeLenInByte = 0
; NumSgprs: 0
; NumVgprs: 0
; ScratchSize: 0
; MemoryBound: 0
; FloatMode: 240
; IeeeMode: 1
; LDSByteSize: 0 bytes/workgroup (compile time only)
; SGPRBlocks: 0
; VGPRBlocks: 0
; NumSGPRsForWavesPerEU: 1
; NumVGPRsForWavesPerEU: 1
; Occupancy: 16
; WaveLimiterHint : 0
; COMPUTE_PGM_RSRC2:SCRATCH_EN: 0
; COMPUTE_PGM_RSRC2:USER_SGPR: 15
; COMPUTE_PGM_RSRC2:TRAP_HANDLER: 0
; COMPUTE_PGM_RSRC2:TGID_X_EN: 1
; COMPUTE_PGM_RSRC2:TGID_Y_EN: 0
; COMPUTE_PGM_RSRC2:TGID_Z_EN: 0
; COMPUTE_PGM_RSRC2:TIDIG_COMP_CNT: 0
	.section	.text._ZN7rocprim17ROCPRIM_400000_NS6detail17trampoline_kernelINS0_14default_configENS1_25transform_config_selectorIfLb0EEEZNS1_14transform_implILb0ES3_S5_NS0_18transform_iteratorINS0_17counting_iteratorImlEEZNS1_24adjacent_difference_implIS3_Lb1ELb0EPKfPfN6thrust23THRUST_200600_302600_NS4plusIfEEEE10hipError_tPvRmT2_T3_mT4_P12ihipStream_tbEUlmE_fEESD_NS0_8identityIvEEEESI_SL_SM_mSN_SP_bEUlT_E_NS1_11comp_targetILNS1_3genE10ELNS1_11target_archE1200ELNS1_3gpuE4ELNS1_3repE0EEENS1_30default_config_static_selectorELNS0_4arch9wavefront6targetE0EEEvT1_,"axG",@progbits,_ZN7rocprim17ROCPRIM_400000_NS6detail17trampoline_kernelINS0_14default_configENS1_25transform_config_selectorIfLb0EEEZNS1_14transform_implILb0ES3_S5_NS0_18transform_iteratorINS0_17counting_iteratorImlEEZNS1_24adjacent_difference_implIS3_Lb1ELb0EPKfPfN6thrust23THRUST_200600_302600_NS4plusIfEEEE10hipError_tPvRmT2_T3_mT4_P12ihipStream_tbEUlmE_fEESD_NS0_8identityIvEEEESI_SL_SM_mSN_SP_bEUlT_E_NS1_11comp_targetILNS1_3genE10ELNS1_11target_archE1200ELNS1_3gpuE4ELNS1_3repE0EEENS1_30default_config_static_selectorELNS0_4arch9wavefront6targetE0EEEvT1_,comdat
	.protected	_ZN7rocprim17ROCPRIM_400000_NS6detail17trampoline_kernelINS0_14default_configENS1_25transform_config_selectorIfLb0EEEZNS1_14transform_implILb0ES3_S5_NS0_18transform_iteratorINS0_17counting_iteratorImlEEZNS1_24adjacent_difference_implIS3_Lb1ELb0EPKfPfN6thrust23THRUST_200600_302600_NS4plusIfEEEE10hipError_tPvRmT2_T3_mT4_P12ihipStream_tbEUlmE_fEESD_NS0_8identityIvEEEESI_SL_SM_mSN_SP_bEUlT_E_NS1_11comp_targetILNS1_3genE10ELNS1_11target_archE1200ELNS1_3gpuE4ELNS1_3repE0EEENS1_30default_config_static_selectorELNS0_4arch9wavefront6targetE0EEEvT1_ ; -- Begin function _ZN7rocprim17ROCPRIM_400000_NS6detail17trampoline_kernelINS0_14default_configENS1_25transform_config_selectorIfLb0EEEZNS1_14transform_implILb0ES3_S5_NS0_18transform_iteratorINS0_17counting_iteratorImlEEZNS1_24adjacent_difference_implIS3_Lb1ELb0EPKfPfN6thrust23THRUST_200600_302600_NS4plusIfEEEE10hipError_tPvRmT2_T3_mT4_P12ihipStream_tbEUlmE_fEESD_NS0_8identityIvEEEESI_SL_SM_mSN_SP_bEUlT_E_NS1_11comp_targetILNS1_3genE10ELNS1_11target_archE1200ELNS1_3gpuE4ELNS1_3repE0EEENS1_30default_config_static_selectorELNS0_4arch9wavefront6targetE0EEEvT1_
	.globl	_ZN7rocprim17ROCPRIM_400000_NS6detail17trampoline_kernelINS0_14default_configENS1_25transform_config_selectorIfLb0EEEZNS1_14transform_implILb0ES3_S5_NS0_18transform_iteratorINS0_17counting_iteratorImlEEZNS1_24adjacent_difference_implIS3_Lb1ELb0EPKfPfN6thrust23THRUST_200600_302600_NS4plusIfEEEE10hipError_tPvRmT2_T3_mT4_P12ihipStream_tbEUlmE_fEESD_NS0_8identityIvEEEESI_SL_SM_mSN_SP_bEUlT_E_NS1_11comp_targetILNS1_3genE10ELNS1_11target_archE1200ELNS1_3gpuE4ELNS1_3repE0EEENS1_30default_config_static_selectorELNS0_4arch9wavefront6targetE0EEEvT1_
	.p2align	8
	.type	_ZN7rocprim17ROCPRIM_400000_NS6detail17trampoline_kernelINS0_14default_configENS1_25transform_config_selectorIfLb0EEEZNS1_14transform_implILb0ES3_S5_NS0_18transform_iteratorINS0_17counting_iteratorImlEEZNS1_24adjacent_difference_implIS3_Lb1ELb0EPKfPfN6thrust23THRUST_200600_302600_NS4plusIfEEEE10hipError_tPvRmT2_T3_mT4_P12ihipStream_tbEUlmE_fEESD_NS0_8identityIvEEEESI_SL_SM_mSN_SP_bEUlT_E_NS1_11comp_targetILNS1_3genE10ELNS1_11target_archE1200ELNS1_3gpuE4ELNS1_3repE0EEENS1_30default_config_static_selectorELNS0_4arch9wavefront6targetE0EEEvT1_,@function
_ZN7rocprim17ROCPRIM_400000_NS6detail17trampoline_kernelINS0_14default_configENS1_25transform_config_selectorIfLb0EEEZNS1_14transform_implILb0ES3_S5_NS0_18transform_iteratorINS0_17counting_iteratorImlEEZNS1_24adjacent_difference_implIS3_Lb1ELb0EPKfPfN6thrust23THRUST_200600_302600_NS4plusIfEEEE10hipError_tPvRmT2_T3_mT4_P12ihipStream_tbEUlmE_fEESD_NS0_8identityIvEEEESI_SL_SM_mSN_SP_bEUlT_E_NS1_11comp_targetILNS1_3genE10ELNS1_11target_archE1200ELNS1_3gpuE4ELNS1_3repE0EEENS1_30default_config_static_selectorELNS0_4arch9wavefront6targetE0EEEvT1_: ; @_ZN7rocprim17ROCPRIM_400000_NS6detail17trampoline_kernelINS0_14default_configENS1_25transform_config_selectorIfLb0EEEZNS1_14transform_implILb0ES3_S5_NS0_18transform_iteratorINS0_17counting_iteratorImlEEZNS1_24adjacent_difference_implIS3_Lb1ELb0EPKfPfN6thrust23THRUST_200600_302600_NS4plusIfEEEE10hipError_tPvRmT2_T3_mT4_P12ihipStream_tbEUlmE_fEESD_NS0_8identityIvEEEESI_SL_SM_mSN_SP_bEUlT_E_NS1_11comp_targetILNS1_3genE10ELNS1_11target_archE1200ELNS1_3gpuE4ELNS1_3repE0EEENS1_30default_config_static_selectorELNS0_4arch9wavefront6targetE0EEEvT1_
; %bb.0:
	.section	.rodata,"a",@progbits
	.p2align	6, 0x0
	.amdhsa_kernel _ZN7rocprim17ROCPRIM_400000_NS6detail17trampoline_kernelINS0_14default_configENS1_25transform_config_selectorIfLb0EEEZNS1_14transform_implILb0ES3_S5_NS0_18transform_iteratorINS0_17counting_iteratorImlEEZNS1_24adjacent_difference_implIS3_Lb1ELb0EPKfPfN6thrust23THRUST_200600_302600_NS4plusIfEEEE10hipError_tPvRmT2_T3_mT4_P12ihipStream_tbEUlmE_fEESD_NS0_8identityIvEEEESI_SL_SM_mSN_SP_bEUlT_E_NS1_11comp_targetILNS1_3genE10ELNS1_11target_archE1200ELNS1_3gpuE4ELNS1_3repE0EEENS1_30default_config_static_selectorELNS0_4arch9wavefront6targetE0EEEvT1_
		.amdhsa_group_segment_fixed_size 0
		.amdhsa_private_segment_fixed_size 0
		.amdhsa_kernarg_size 56
		.amdhsa_user_sgpr_count 15
		.amdhsa_user_sgpr_dispatch_ptr 0
		.amdhsa_user_sgpr_queue_ptr 0
		.amdhsa_user_sgpr_kernarg_segment_ptr 1
		.amdhsa_user_sgpr_dispatch_id 0
		.amdhsa_user_sgpr_private_segment_size 0
		.amdhsa_wavefront_size32 1
		.amdhsa_uses_dynamic_stack 0
		.amdhsa_enable_private_segment 0
		.amdhsa_system_sgpr_workgroup_id_x 1
		.amdhsa_system_sgpr_workgroup_id_y 0
		.amdhsa_system_sgpr_workgroup_id_z 0
		.amdhsa_system_sgpr_workgroup_info 0
		.amdhsa_system_vgpr_workitem_id 0
		.amdhsa_next_free_vgpr 1
		.amdhsa_next_free_sgpr 1
		.amdhsa_reserve_vcc 0
		.amdhsa_float_round_mode_32 0
		.amdhsa_float_round_mode_16_64 0
		.amdhsa_float_denorm_mode_32 3
		.amdhsa_float_denorm_mode_16_64 3
		.amdhsa_dx10_clamp 1
		.amdhsa_ieee_mode 1
		.amdhsa_fp16_overflow 0
		.amdhsa_workgroup_processor_mode 1
		.amdhsa_memory_ordered 1
		.amdhsa_forward_progress 0
		.amdhsa_shared_vgpr_count 0
		.amdhsa_exception_fp_ieee_invalid_op 0
		.amdhsa_exception_fp_denorm_src 0
		.amdhsa_exception_fp_ieee_div_zero 0
		.amdhsa_exception_fp_ieee_overflow 0
		.amdhsa_exception_fp_ieee_underflow 0
		.amdhsa_exception_fp_ieee_inexact 0
		.amdhsa_exception_int_div_zero 0
	.end_amdhsa_kernel
	.section	.text._ZN7rocprim17ROCPRIM_400000_NS6detail17trampoline_kernelINS0_14default_configENS1_25transform_config_selectorIfLb0EEEZNS1_14transform_implILb0ES3_S5_NS0_18transform_iteratorINS0_17counting_iteratorImlEEZNS1_24adjacent_difference_implIS3_Lb1ELb0EPKfPfN6thrust23THRUST_200600_302600_NS4plusIfEEEE10hipError_tPvRmT2_T3_mT4_P12ihipStream_tbEUlmE_fEESD_NS0_8identityIvEEEESI_SL_SM_mSN_SP_bEUlT_E_NS1_11comp_targetILNS1_3genE10ELNS1_11target_archE1200ELNS1_3gpuE4ELNS1_3repE0EEENS1_30default_config_static_selectorELNS0_4arch9wavefront6targetE0EEEvT1_,"axG",@progbits,_ZN7rocprim17ROCPRIM_400000_NS6detail17trampoline_kernelINS0_14default_configENS1_25transform_config_selectorIfLb0EEEZNS1_14transform_implILb0ES3_S5_NS0_18transform_iteratorINS0_17counting_iteratorImlEEZNS1_24adjacent_difference_implIS3_Lb1ELb0EPKfPfN6thrust23THRUST_200600_302600_NS4plusIfEEEE10hipError_tPvRmT2_T3_mT4_P12ihipStream_tbEUlmE_fEESD_NS0_8identityIvEEEESI_SL_SM_mSN_SP_bEUlT_E_NS1_11comp_targetILNS1_3genE10ELNS1_11target_archE1200ELNS1_3gpuE4ELNS1_3repE0EEENS1_30default_config_static_selectorELNS0_4arch9wavefront6targetE0EEEvT1_,comdat
.Lfunc_end612:
	.size	_ZN7rocprim17ROCPRIM_400000_NS6detail17trampoline_kernelINS0_14default_configENS1_25transform_config_selectorIfLb0EEEZNS1_14transform_implILb0ES3_S5_NS0_18transform_iteratorINS0_17counting_iteratorImlEEZNS1_24adjacent_difference_implIS3_Lb1ELb0EPKfPfN6thrust23THRUST_200600_302600_NS4plusIfEEEE10hipError_tPvRmT2_T3_mT4_P12ihipStream_tbEUlmE_fEESD_NS0_8identityIvEEEESI_SL_SM_mSN_SP_bEUlT_E_NS1_11comp_targetILNS1_3genE10ELNS1_11target_archE1200ELNS1_3gpuE4ELNS1_3repE0EEENS1_30default_config_static_selectorELNS0_4arch9wavefront6targetE0EEEvT1_, .Lfunc_end612-_ZN7rocprim17ROCPRIM_400000_NS6detail17trampoline_kernelINS0_14default_configENS1_25transform_config_selectorIfLb0EEEZNS1_14transform_implILb0ES3_S5_NS0_18transform_iteratorINS0_17counting_iteratorImlEEZNS1_24adjacent_difference_implIS3_Lb1ELb0EPKfPfN6thrust23THRUST_200600_302600_NS4plusIfEEEE10hipError_tPvRmT2_T3_mT4_P12ihipStream_tbEUlmE_fEESD_NS0_8identityIvEEEESI_SL_SM_mSN_SP_bEUlT_E_NS1_11comp_targetILNS1_3genE10ELNS1_11target_archE1200ELNS1_3gpuE4ELNS1_3repE0EEENS1_30default_config_static_selectorELNS0_4arch9wavefront6targetE0EEEvT1_
                                        ; -- End function
	.section	.AMDGPU.csdata,"",@progbits
; Kernel info:
; codeLenInByte = 0
; NumSgprs: 0
; NumVgprs: 0
; ScratchSize: 0
; MemoryBound: 0
; FloatMode: 240
; IeeeMode: 1
; LDSByteSize: 0 bytes/workgroup (compile time only)
; SGPRBlocks: 0
; VGPRBlocks: 0
; NumSGPRsForWavesPerEU: 1
; NumVGPRsForWavesPerEU: 1
; Occupancy: 16
; WaveLimiterHint : 0
; COMPUTE_PGM_RSRC2:SCRATCH_EN: 0
; COMPUTE_PGM_RSRC2:USER_SGPR: 15
; COMPUTE_PGM_RSRC2:TRAP_HANDLER: 0
; COMPUTE_PGM_RSRC2:TGID_X_EN: 1
; COMPUTE_PGM_RSRC2:TGID_Y_EN: 0
; COMPUTE_PGM_RSRC2:TGID_Z_EN: 0
; COMPUTE_PGM_RSRC2:TIDIG_COMP_CNT: 0
	.section	.text._ZN7rocprim17ROCPRIM_400000_NS6detail17trampoline_kernelINS0_14default_configENS1_25transform_config_selectorIfLb0EEEZNS1_14transform_implILb0ES3_S5_NS0_18transform_iteratorINS0_17counting_iteratorImlEEZNS1_24adjacent_difference_implIS3_Lb1ELb0EPKfPfN6thrust23THRUST_200600_302600_NS4plusIfEEEE10hipError_tPvRmT2_T3_mT4_P12ihipStream_tbEUlmE_fEESD_NS0_8identityIvEEEESI_SL_SM_mSN_SP_bEUlT_E_NS1_11comp_targetILNS1_3genE9ELNS1_11target_archE1100ELNS1_3gpuE3ELNS1_3repE0EEENS1_30default_config_static_selectorELNS0_4arch9wavefront6targetE0EEEvT1_,"axG",@progbits,_ZN7rocprim17ROCPRIM_400000_NS6detail17trampoline_kernelINS0_14default_configENS1_25transform_config_selectorIfLb0EEEZNS1_14transform_implILb0ES3_S5_NS0_18transform_iteratorINS0_17counting_iteratorImlEEZNS1_24adjacent_difference_implIS3_Lb1ELb0EPKfPfN6thrust23THRUST_200600_302600_NS4plusIfEEEE10hipError_tPvRmT2_T3_mT4_P12ihipStream_tbEUlmE_fEESD_NS0_8identityIvEEEESI_SL_SM_mSN_SP_bEUlT_E_NS1_11comp_targetILNS1_3genE9ELNS1_11target_archE1100ELNS1_3gpuE3ELNS1_3repE0EEENS1_30default_config_static_selectorELNS0_4arch9wavefront6targetE0EEEvT1_,comdat
	.protected	_ZN7rocprim17ROCPRIM_400000_NS6detail17trampoline_kernelINS0_14default_configENS1_25transform_config_selectorIfLb0EEEZNS1_14transform_implILb0ES3_S5_NS0_18transform_iteratorINS0_17counting_iteratorImlEEZNS1_24adjacent_difference_implIS3_Lb1ELb0EPKfPfN6thrust23THRUST_200600_302600_NS4plusIfEEEE10hipError_tPvRmT2_T3_mT4_P12ihipStream_tbEUlmE_fEESD_NS0_8identityIvEEEESI_SL_SM_mSN_SP_bEUlT_E_NS1_11comp_targetILNS1_3genE9ELNS1_11target_archE1100ELNS1_3gpuE3ELNS1_3repE0EEENS1_30default_config_static_selectorELNS0_4arch9wavefront6targetE0EEEvT1_ ; -- Begin function _ZN7rocprim17ROCPRIM_400000_NS6detail17trampoline_kernelINS0_14default_configENS1_25transform_config_selectorIfLb0EEEZNS1_14transform_implILb0ES3_S5_NS0_18transform_iteratorINS0_17counting_iteratorImlEEZNS1_24adjacent_difference_implIS3_Lb1ELb0EPKfPfN6thrust23THRUST_200600_302600_NS4plusIfEEEE10hipError_tPvRmT2_T3_mT4_P12ihipStream_tbEUlmE_fEESD_NS0_8identityIvEEEESI_SL_SM_mSN_SP_bEUlT_E_NS1_11comp_targetILNS1_3genE9ELNS1_11target_archE1100ELNS1_3gpuE3ELNS1_3repE0EEENS1_30default_config_static_selectorELNS0_4arch9wavefront6targetE0EEEvT1_
	.globl	_ZN7rocprim17ROCPRIM_400000_NS6detail17trampoline_kernelINS0_14default_configENS1_25transform_config_selectorIfLb0EEEZNS1_14transform_implILb0ES3_S5_NS0_18transform_iteratorINS0_17counting_iteratorImlEEZNS1_24adjacent_difference_implIS3_Lb1ELb0EPKfPfN6thrust23THRUST_200600_302600_NS4plusIfEEEE10hipError_tPvRmT2_T3_mT4_P12ihipStream_tbEUlmE_fEESD_NS0_8identityIvEEEESI_SL_SM_mSN_SP_bEUlT_E_NS1_11comp_targetILNS1_3genE9ELNS1_11target_archE1100ELNS1_3gpuE3ELNS1_3repE0EEENS1_30default_config_static_selectorELNS0_4arch9wavefront6targetE0EEEvT1_
	.p2align	8
	.type	_ZN7rocprim17ROCPRIM_400000_NS6detail17trampoline_kernelINS0_14default_configENS1_25transform_config_selectorIfLb0EEEZNS1_14transform_implILb0ES3_S5_NS0_18transform_iteratorINS0_17counting_iteratorImlEEZNS1_24adjacent_difference_implIS3_Lb1ELb0EPKfPfN6thrust23THRUST_200600_302600_NS4plusIfEEEE10hipError_tPvRmT2_T3_mT4_P12ihipStream_tbEUlmE_fEESD_NS0_8identityIvEEEESI_SL_SM_mSN_SP_bEUlT_E_NS1_11comp_targetILNS1_3genE9ELNS1_11target_archE1100ELNS1_3gpuE3ELNS1_3repE0EEENS1_30default_config_static_selectorELNS0_4arch9wavefront6targetE0EEEvT1_,@function
_ZN7rocprim17ROCPRIM_400000_NS6detail17trampoline_kernelINS0_14default_configENS1_25transform_config_selectorIfLb0EEEZNS1_14transform_implILb0ES3_S5_NS0_18transform_iteratorINS0_17counting_iteratorImlEEZNS1_24adjacent_difference_implIS3_Lb1ELb0EPKfPfN6thrust23THRUST_200600_302600_NS4plusIfEEEE10hipError_tPvRmT2_T3_mT4_P12ihipStream_tbEUlmE_fEESD_NS0_8identityIvEEEESI_SL_SM_mSN_SP_bEUlT_E_NS1_11comp_targetILNS1_3genE9ELNS1_11target_archE1100ELNS1_3gpuE3ELNS1_3repE0EEENS1_30default_config_static_selectorELNS0_4arch9wavefront6targetE0EEEvT1_: ; @_ZN7rocprim17ROCPRIM_400000_NS6detail17trampoline_kernelINS0_14default_configENS1_25transform_config_selectorIfLb0EEEZNS1_14transform_implILb0ES3_S5_NS0_18transform_iteratorINS0_17counting_iteratorImlEEZNS1_24adjacent_difference_implIS3_Lb1ELb0EPKfPfN6thrust23THRUST_200600_302600_NS4plusIfEEEE10hipError_tPvRmT2_T3_mT4_P12ihipStream_tbEUlmE_fEESD_NS0_8identityIvEEEESI_SL_SM_mSN_SP_bEUlT_E_NS1_11comp_targetILNS1_3genE9ELNS1_11target_archE1100ELNS1_3gpuE3ELNS1_3repE0EEENS1_30default_config_static_selectorELNS0_4arch9wavefront6targetE0EEEvT1_
; %bb.0:
	s_clause 0x4
	s_load_b128 s[4:7], s[0:1], 0x0
	s_load_b64 s[2:3], s[0:1], 0x18
	s_load_b64 s[12:13], s[0:1], 0x28
	s_load_b32 s11, s[0:1], 0x38
	s_load_b32 s8, s[0:1], 0x10
	s_waitcnt lgkmcnt(0)
	s_add_u32 s9, s2, s4
	s_addc_u32 s10, s3, s5
	s_lshl_b64 s[2:3], s[2:3], 2
	s_delay_alu instid0(SALU_CYCLE_1)
	s_add_u32 s4, s12, s2
	s_addc_u32 s5, s13, s3
	s_add_i32 s11, s11, -1
	s_lshl_b32 s2, s15, 10
	s_mov_b32 s3, 0
	s_cmp_lg_u32 s15, s11
	s_mov_b32 s11, -1
	s_cbranch_scc0 .LBB613_2
; %bb.1:
	s_add_u32 s11, s9, s2
	s_addc_u32 s12, s10, 0
	v_add_co_u32 v3, s11, s11, v0
	s_delay_alu instid0(VALU_DEP_1) | instskip(SKIP_1) | instid1(VALU_DEP_2)
	v_add_co_ci_u32_e64 v5, null, s12, 0, s11
	s_lshl_b64 s[12:13], s[2:3], 2
	v_mad_u64_u32 v[1:2], null, v3, s8, 0
	s_add_u32 s12, s4, s12
	s_addc_u32 s13, s5, s13
	s_mov_b32 s11, s3
	s_delay_alu instid0(VALU_DEP_1) | instskip(NEXT) | instid1(VALU_DEP_1)
	v_mad_u64_u32 v[3:4], null, v5, s8, v[2:3]
	v_mov_b32_e32 v2, v3
	s_delay_alu instid0(VALU_DEP_1) | instskip(NEXT) | instid1(VALU_DEP_1)
	v_lshlrev_b64 v[1:2], 2, v[1:2]
	v_add_co_u32 v1, vcc_lo, s6, v1
	s_delay_alu instid0(VALU_DEP_2)
	v_add_co_ci_u32_e32 v2, vcc_lo, s7, v2, vcc_lo
	global_load_b32 v1, v[1:2], off
	v_lshlrev_b32_e32 v2, 2, v0
	s_waitcnt vmcnt(0)
	global_store_b32 v2, v1, s[12:13]
.LBB613_2:
	s_and_not1_b32 vcc_lo, exec_lo, s11
	s_cbranch_vccnz .LBB613_7
; %bb.3:
	s_load_b32 s0, s[0:1], 0x20
                                        ; implicit-def: $vgpr1
	s_waitcnt lgkmcnt(0)
	s_sub_i32 s0, s0, s2
	s_delay_alu instid0(SALU_CYCLE_1)
	v_cmp_gt_u32_e32 vcc_lo, s0, v0
	s_and_saveexec_b32 s1, vcc_lo
	s_cbranch_execz .LBB613_5
; %bb.4:
	s_add_u32 s0, s9, s2
	s_addc_u32 s9, s10, 0
	v_add_co_u32 v3, s0, s0, v0
	s_delay_alu instid0(VALU_DEP_1) | instskip(NEXT) | instid1(VALU_DEP_2)
	v_add_co_ci_u32_e64 v5, null, s9, 0, s0
	v_mad_u64_u32 v[1:2], null, v3, s8, 0
	s_delay_alu instid0(VALU_DEP_1) | instskip(NEXT) | instid1(VALU_DEP_1)
	v_mad_u64_u32 v[3:4], null, v5, s8, v[2:3]
	v_mov_b32_e32 v2, v3
	s_delay_alu instid0(VALU_DEP_1) | instskip(NEXT) | instid1(VALU_DEP_1)
	v_lshlrev_b64 v[1:2], 2, v[1:2]
	v_add_co_u32 v1, s0, s6, v1
	s_delay_alu instid0(VALU_DEP_1)
	v_add_co_ci_u32_e64 v2, s0, s7, v2, s0
	global_load_b32 v1, v[1:2], off
.LBB613_5:
	s_or_b32 exec_lo, exec_lo, s1
	s_and_saveexec_b32 s0, vcc_lo
	s_cbranch_execz .LBB613_7
; %bb.6:
	s_lshl_b64 s[0:1], s[2:3], 2
	v_lshlrev_b32_e32 v0, 2, v0
	s_add_u32 s0, s4, s0
	s_addc_u32 s1, s5, s1
	s_waitcnt vmcnt(0)
	global_store_b32 v0, v1, s[0:1]
.LBB613_7:
	s_nop 0
	s_sendmsg sendmsg(MSG_DEALLOC_VGPRS)
	s_endpgm
	.section	.rodata,"a",@progbits
	.p2align	6, 0x0
	.amdhsa_kernel _ZN7rocprim17ROCPRIM_400000_NS6detail17trampoline_kernelINS0_14default_configENS1_25transform_config_selectorIfLb0EEEZNS1_14transform_implILb0ES3_S5_NS0_18transform_iteratorINS0_17counting_iteratorImlEEZNS1_24adjacent_difference_implIS3_Lb1ELb0EPKfPfN6thrust23THRUST_200600_302600_NS4plusIfEEEE10hipError_tPvRmT2_T3_mT4_P12ihipStream_tbEUlmE_fEESD_NS0_8identityIvEEEESI_SL_SM_mSN_SP_bEUlT_E_NS1_11comp_targetILNS1_3genE9ELNS1_11target_archE1100ELNS1_3gpuE3ELNS1_3repE0EEENS1_30default_config_static_selectorELNS0_4arch9wavefront6targetE0EEEvT1_
		.amdhsa_group_segment_fixed_size 0
		.amdhsa_private_segment_fixed_size 0
		.amdhsa_kernarg_size 312
		.amdhsa_user_sgpr_count 15
		.amdhsa_user_sgpr_dispatch_ptr 0
		.amdhsa_user_sgpr_queue_ptr 0
		.amdhsa_user_sgpr_kernarg_segment_ptr 1
		.amdhsa_user_sgpr_dispatch_id 0
		.amdhsa_user_sgpr_private_segment_size 0
		.amdhsa_wavefront_size32 1
		.amdhsa_uses_dynamic_stack 0
		.amdhsa_enable_private_segment 0
		.amdhsa_system_sgpr_workgroup_id_x 1
		.amdhsa_system_sgpr_workgroup_id_y 0
		.amdhsa_system_sgpr_workgroup_id_z 0
		.amdhsa_system_sgpr_workgroup_info 0
		.amdhsa_system_vgpr_workitem_id 0
		.amdhsa_next_free_vgpr 6
		.amdhsa_next_free_sgpr 16
		.amdhsa_reserve_vcc 1
		.amdhsa_float_round_mode_32 0
		.amdhsa_float_round_mode_16_64 0
		.amdhsa_float_denorm_mode_32 3
		.amdhsa_float_denorm_mode_16_64 3
		.amdhsa_dx10_clamp 1
		.amdhsa_ieee_mode 1
		.amdhsa_fp16_overflow 0
		.amdhsa_workgroup_processor_mode 1
		.amdhsa_memory_ordered 1
		.amdhsa_forward_progress 0
		.amdhsa_shared_vgpr_count 0
		.amdhsa_exception_fp_ieee_invalid_op 0
		.amdhsa_exception_fp_denorm_src 0
		.amdhsa_exception_fp_ieee_div_zero 0
		.amdhsa_exception_fp_ieee_overflow 0
		.amdhsa_exception_fp_ieee_underflow 0
		.amdhsa_exception_fp_ieee_inexact 0
		.amdhsa_exception_int_div_zero 0
	.end_amdhsa_kernel
	.section	.text._ZN7rocprim17ROCPRIM_400000_NS6detail17trampoline_kernelINS0_14default_configENS1_25transform_config_selectorIfLb0EEEZNS1_14transform_implILb0ES3_S5_NS0_18transform_iteratorINS0_17counting_iteratorImlEEZNS1_24adjacent_difference_implIS3_Lb1ELb0EPKfPfN6thrust23THRUST_200600_302600_NS4plusIfEEEE10hipError_tPvRmT2_T3_mT4_P12ihipStream_tbEUlmE_fEESD_NS0_8identityIvEEEESI_SL_SM_mSN_SP_bEUlT_E_NS1_11comp_targetILNS1_3genE9ELNS1_11target_archE1100ELNS1_3gpuE3ELNS1_3repE0EEENS1_30default_config_static_selectorELNS0_4arch9wavefront6targetE0EEEvT1_,"axG",@progbits,_ZN7rocprim17ROCPRIM_400000_NS6detail17trampoline_kernelINS0_14default_configENS1_25transform_config_selectorIfLb0EEEZNS1_14transform_implILb0ES3_S5_NS0_18transform_iteratorINS0_17counting_iteratorImlEEZNS1_24adjacent_difference_implIS3_Lb1ELb0EPKfPfN6thrust23THRUST_200600_302600_NS4plusIfEEEE10hipError_tPvRmT2_T3_mT4_P12ihipStream_tbEUlmE_fEESD_NS0_8identityIvEEEESI_SL_SM_mSN_SP_bEUlT_E_NS1_11comp_targetILNS1_3genE9ELNS1_11target_archE1100ELNS1_3gpuE3ELNS1_3repE0EEENS1_30default_config_static_selectorELNS0_4arch9wavefront6targetE0EEEvT1_,comdat
.Lfunc_end613:
	.size	_ZN7rocprim17ROCPRIM_400000_NS6detail17trampoline_kernelINS0_14default_configENS1_25transform_config_selectorIfLb0EEEZNS1_14transform_implILb0ES3_S5_NS0_18transform_iteratorINS0_17counting_iteratorImlEEZNS1_24adjacent_difference_implIS3_Lb1ELb0EPKfPfN6thrust23THRUST_200600_302600_NS4plusIfEEEE10hipError_tPvRmT2_T3_mT4_P12ihipStream_tbEUlmE_fEESD_NS0_8identityIvEEEESI_SL_SM_mSN_SP_bEUlT_E_NS1_11comp_targetILNS1_3genE9ELNS1_11target_archE1100ELNS1_3gpuE3ELNS1_3repE0EEENS1_30default_config_static_selectorELNS0_4arch9wavefront6targetE0EEEvT1_, .Lfunc_end613-_ZN7rocprim17ROCPRIM_400000_NS6detail17trampoline_kernelINS0_14default_configENS1_25transform_config_selectorIfLb0EEEZNS1_14transform_implILb0ES3_S5_NS0_18transform_iteratorINS0_17counting_iteratorImlEEZNS1_24adjacent_difference_implIS3_Lb1ELb0EPKfPfN6thrust23THRUST_200600_302600_NS4plusIfEEEE10hipError_tPvRmT2_T3_mT4_P12ihipStream_tbEUlmE_fEESD_NS0_8identityIvEEEESI_SL_SM_mSN_SP_bEUlT_E_NS1_11comp_targetILNS1_3genE9ELNS1_11target_archE1100ELNS1_3gpuE3ELNS1_3repE0EEENS1_30default_config_static_selectorELNS0_4arch9wavefront6targetE0EEEvT1_
                                        ; -- End function
	.section	.AMDGPU.csdata,"",@progbits
; Kernel info:
; codeLenInByte = 400
; NumSgprs: 18
; NumVgprs: 6
; ScratchSize: 0
; MemoryBound: 0
; FloatMode: 240
; IeeeMode: 1
; LDSByteSize: 0 bytes/workgroup (compile time only)
; SGPRBlocks: 2
; VGPRBlocks: 0
; NumSGPRsForWavesPerEU: 18
; NumVGPRsForWavesPerEU: 6
; Occupancy: 16
; WaveLimiterHint : 0
; COMPUTE_PGM_RSRC2:SCRATCH_EN: 0
; COMPUTE_PGM_RSRC2:USER_SGPR: 15
; COMPUTE_PGM_RSRC2:TRAP_HANDLER: 0
; COMPUTE_PGM_RSRC2:TGID_X_EN: 1
; COMPUTE_PGM_RSRC2:TGID_Y_EN: 0
; COMPUTE_PGM_RSRC2:TGID_Z_EN: 0
; COMPUTE_PGM_RSRC2:TIDIG_COMP_CNT: 0
	.section	.text._ZN7rocprim17ROCPRIM_400000_NS6detail17trampoline_kernelINS0_14default_configENS1_25transform_config_selectorIfLb0EEEZNS1_14transform_implILb0ES3_S5_NS0_18transform_iteratorINS0_17counting_iteratorImlEEZNS1_24adjacent_difference_implIS3_Lb1ELb0EPKfPfN6thrust23THRUST_200600_302600_NS4plusIfEEEE10hipError_tPvRmT2_T3_mT4_P12ihipStream_tbEUlmE_fEESD_NS0_8identityIvEEEESI_SL_SM_mSN_SP_bEUlT_E_NS1_11comp_targetILNS1_3genE8ELNS1_11target_archE1030ELNS1_3gpuE2ELNS1_3repE0EEENS1_30default_config_static_selectorELNS0_4arch9wavefront6targetE0EEEvT1_,"axG",@progbits,_ZN7rocprim17ROCPRIM_400000_NS6detail17trampoline_kernelINS0_14default_configENS1_25transform_config_selectorIfLb0EEEZNS1_14transform_implILb0ES3_S5_NS0_18transform_iteratorINS0_17counting_iteratorImlEEZNS1_24adjacent_difference_implIS3_Lb1ELb0EPKfPfN6thrust23THRUST_200600_302600_NS4plusIfEEEE10hipError_tPvRmT2_T3_mT4_P12ihipStream_tbEUlmE_fEESD_NS0_8identityIvEEEESI_SL_SM_mSN_SP_bEUlT_E_NS1_11comp_targetILNS1_3genE8ELNS1_11target_archE1030ELNS1_3gpuE2ELNS1_3repE0EEENS1_30default_config_static_selectorELNS0_4arch9wavefront6targetE0EEEvT1_,comdat
	.protected	_ZN7rocprim17ROCPRIM_400000_NS6detail17trampoline_kernelINS0_14default_configENS1_25transform_config_selectorIfLb0EEEZNS1_14transform_implILb0ES3_S5_NS0_18transform_iteratorINS0_17counting_iteratorImlEEZNS1_24adjacent_difference_implIS3_Lb1ELb0EPKfPfN6thrust23THRUST_200600_302600_NS4plusIfEEEE10hipError_tPvRmT2_T3_mT4_P12ihipStream_tbEUlmE_fEESD_NS0_8identityIvEEEESI_SL_SM_mSN_SP_bEUlT_E_NS1_11comp_targetILNS1_3genE8ELNS1_11target_archE1030ELNS1_3gpuE2ELNS1_3repE0EEENS1_30default_config_static_selectorELNS0_4arch9wavefront6targetE0EEEvT1_ ; -- Begin function _ZN7rocprim17ROCPRIM_400000_NS6detail17trampoline_kernelINS0_14default_configENS1_25transform_config_selectorIfLb0EEEZNS1_14transform_implILb0ES3_S5_NS0_18transform_iteratorINS0_17counting_iteratorImlEEZNS1_24adjacent_difference_implIS3_Lb1ELb0EPKfPfN6thrust23THRUST_200600_302600_NS4plusIfEEEE10hipError_tPvRmT2_T3_mT4_P12ihipStream_tbEUlmE_fEESD_NS0_8identityIvEEEESI_SL_SM_mSN_SP_bEUlT_E_NS1_11comp_targetILNS1_3genE8ELNS1_11target_archE1030ELNS1_3gpuE2ELNS1_3repE0EEENS1_30default_config_static_selectorELNS0_4arch9wavefront6targetE0EEEvT1_
	.globl	_ZN7rocprim17ROCPRIM_400000_NS6detail17trampoline_kernelINS0_14default_configENS1_25transform_config_selectorIfLb0EEEZNS1_14transform_implILb0ES3_S5_NS0_18transform_iteratorINS0_17counting_iteratorImlEEZNS1_24adjacent_difference_implIS3_Lb1ELb0EPKfPfN6thrust23THRUST_200600_302600_NS4plusIfEEEE10hipError_tPvRmT2_T3_mT4_P12ihipStream_tbEUlmE_fEESD_NS0_8identityIvEEEESI_SL_SM_mSN_SP_bEUlT_E_NS1_11comp_targetILNS1_3genE8ELNS1_11target_archE1030ELNS1_3gpuE2ELNS1_3repE0EEENS1_30default_config_static_selectorELNS0_4arch9wavefront6targetE0EEEvT1_
	.p2align	8
	.type	_ZN7rocprim17ROCPRIM_400000_NS6detail17trampoline_kernelINS0_14default_configENS1_25transform_config_selectorIfLb0EEEZNS1_14transform_implILb0ES3_S5_NS0_18transform_iteratorINS0_17counting_iteratorImlEEZNS1_24adjacent_difference_implIS3_Lb1ELb0EPKfPfN6thrust23THRUST_200600_302600_NS4plusIfEEEE10hipError_tPvRmT2_T3_mT4_P12ihipStream_tbEUlmE_fEESD_NS0_8identityIvEEEESI_SL_SM_mSN_SP_bEUlT_E_NS1_11comp_targetILNS1_3genE8ELNS1_11target_archE1030ELNS1_3gpuE2ELNS1_3repE0EEENS1_30default_config_static_selectorELNS0_4arch9wavefront6targetE0EEEvT1_,@function
_ZN7rocprim17ROCPRIM_400000_NS6detail17trampoline_kernelINS0_14default_configENS1_25transform_config_selectorIfLb0EEEZNS1_14transform_implILb0ES3_S5_NS0_18transform_iteratorINS0_17counting_iteratorImlEEZNS1_24adjacent_difference_implIS3_Lb1ELb0EPKfPfN6thrust23THRUST_200600_302600_NS4plusIfEEEE10hipError_tPvRmT2_T3_mT4_P12ihipStream_tbEUlmE_fEESD_NS0_8identityIvEEEESI_SL_SM_mSN_SP_bEUlT_E_NS1_11comp_targetILNS1_3genE8ELNS1_11target_archE1030ELNS1_3gpuE2ELNS1_3repE0EEENS1_30default_config_static_selectorELNS0_4arch9wavefront6targetE0EEEvT1_: ; @_ZN7rocprim17ROCPRIM_400000_NS6detail17trampoline_kernelINS0_14default_configENS1_25transform_config_selectorIfLb0EEEZNS1_14transform_implILb0ES3_S5_NS0_18transform_iteratorINS0_17counting_iteratorImlEEZNS1_24adjacent_difference_implIS3_Lb1ELb0EPKfPfN6thrust23THRUST_200600_302600_NS4plusIfEEEE10hipError_tPvRmT2_T3_mT4_P12ihipStream_tbEUlmE_fEESD_NS0_8identityIvEEEESI_SL_SM_mSN_SP_bEUlT_E_NS1_11comp_targetILNS1_3genE8ELNS1_11target_archE1030ELNS1_3gpuE2ELNS1_3repE0EEENS1_30default_config_static_selectorELNS0_4arch9wavefront6targetE0EEEvT1_
; %bb.0:
	.section	.rodata,"a",@progbits
	.p2align	6, 0x0
	.amdhsa_kernel _ZN7rocprim17ROCPRIM_400000_NS6detail17trampoline_kernelINS0_14default_configENS1_25transform_config_selectorIfLb0EEEZNS1_14transform_implILb0ES3_S5_NS0_18transform_iteratorINS0_17counting_iteratorImlEEZNS1_24adjacent_difference_implIS3_Lb1ELb0EPKfPfN6thrust23THRUST_200600_302600_NS4plusIfEEEE10hipError_tPvRmT2_T3_mT4_P12ihipStream_tbEUlmE_fEESD_NS0_8identityIvEEEESI_SL_SM_mSN_SP_bEUlT_E_NS1_11comp_targetILNS1_3genE8ELNS1_11target_archE1030ELNS1_3gpuE2ELNS1_3repE0EEENS1_30default_config_static_selectorELNS0_4arch9wavefront6targetE0EEEvT1_
		.amdhsa_group_segment_fixed_size 0
		.amdhsa_private_segment_fixed_size 0
		.amdhsa_kernarg_size 56
		.amdhsa_user_sgpr_count 15
		.amdhsa_user_sgpr_dispatch_ptr 0
		.amdhsa_user_sgpr_queue_ptr 0
		.amdhsa_user_sgpr_kernarg_segment_ptr 1
		.amdhsa_user_sgpr_dispatch_id 0
		.amdhsa_user_sgpr_private_segment_size 0
		.amdhsa_wavefront_size32 1
		.amdhsa_uses_dynamic_stack 0
		.amdhsa_enable_private_segment 0
		.amdhsa_system_sgpr_workgroup_id_x 1
		.amdhsa_system_sgpr_workgroup_id_y 0
		.amdhsa_system_sgpr_workgroup_id_z 0
		.amdhsa_system_sgpr_workgroup_info 0
		.amdhsa_system_vgpr_workitem_id 0
		.amdhsa_next_free_vgpr 1
		.amdhsa_next_free_sgpr 1
		.amdhsa_reserve_vcc 0
		.amdhsa_float_round_mode_32 0
		.amdhsa_float_round_mode_16_64 0
		.amdhsa_float_denorm_mode_32 3
		.amdhsa_float_denorm_mode_16_64 3
		.amdhsa_dx10_clamp 1
		.amdhsa_ieee_mode 1
		.amdhsa_fp16_overflow 0
		.amdhsa_workgroup_processor_mode 1
		.amdhsa_memory_ordered 1
		.amdhsa_forward_progress 0
		.amdhsa_shared_vgpr_count 0
		.amdhsa_exception_fp_ieee_invalid_op 0
		.amdhsa_exception_fp_denorm_src 0
		.amdhsa_exception_fp_ieee_div_zero 0
		.amdhsa_exception_fp_ieee_overflow 0
		.amdhsa_exception_fp_ieee_underflow 0
		.amdhsa_exception_fp_ieee_inexact 0
		.amdhsa_exception_int_div_zero 0
	.end_amdhsa_kernel
	.section	.text._ZN7rocprim17ROCPRIM_400000_NS6detail17trampoline_kernelINS0_14default_configENS1_25transform_config_selectorIfLb0EEEZNS1_14transform_implILb0ES3_S5_NS0_18transform_iteratorINS0_17counting_iteratorImlEEZNS1_24adjacent_difference_implIS3_Lb1ELb0EPKfPfN6thrust23THRUST_200600_302600_NS4plusIfEEEE10hipError_tPvRmT2_T3_mT4_P12ihipStream_tbEUlmE_fEESD_NS0_8identityIvEEEESI_SL_SM_mSN_SP_bEUlT_E_NS1_11comp_targetILNS1_3genE8ELNS1_11target_archE1030ELNS1_3gpuE2ELNS1_3repE0EEENS1_30default_config_static_selectorELNS0_4arch9wavefront6targetE0EEEvT1_,"axG",@progbits,_ZN7rocprim17ROCPRIM_400000_NS6detail17trampoline_kernelINS0_14default_configENS1_25transform_config_selectorIfLb0EEEZNS1_14transform_implILb0ES3_S5_NS0_18transform_iteratorINS0_17counting_iteratorImlEEZNS1_24adjacent_difference_implIS3_Lb1ELb0EPKfPfN6thrust23THRUST_200600_302600_NS4plusIfEEEE10hipError_tPvRmT2_T3_mT4_P12ihipStream_tbEUlmE_fEESD_NS0_8identityIvEEEESI_SL_SM_mSN_SP_bEUlT_E_NS1_11comp_targetILNS1_3genE8ELNS1_11target_archE1030ELNS1_3gpuE2ELNS1_3repE0EEENS1_30default_config_static_selectorELNS0_4arch9wavefront6targetE0EEEvT1_,comdat
.Lfunc_end614:
	.size	_ZN7rocprim17ROCPRIM_400000_NS6detail17trampoline_kernelINS0_14default_configENS1_25transform_config_selectorIfLb0EEEZNS1_14transform_implILb0ES3_S5_NS0_18transform_iteratorINS0_17counting_iteratorImlEEZNS1_24adjacent_difference_implIS3_Lb1ELb0EPKfPfN6thrust23THRUST_200600_302600_NS4plusIfEEEE10hipError_tPvRmT2_T3_mT4_P12ihipStream_tbEUlmE_fEESD_NS0_8identityIvEEEESI_SL_SM_mSN_SP_bEUlT_E_NS1_11comp_targetILNS1_3genE8ELNS1_11target_archE1030ELNS1_3gpuE2ELNS1_3repE0EEENS1_30default_config_static_selectorELNS0_4arch9wavefront6targetE0EEEvT1_, .Lfunc_end614-_ZN7rocprim17ROCPRIM_400000_NS6detail17trampoline_kernelINS0_14default_configENS1_25transform_config_selectorIfLb0EEEZNS1_14transform_implILb0ES3_S5_NS0_18transform_iteratorINS0_17counting_iteratorImlEEZNS1_24adjacent_difference_implIS3_Lb1ELb0EPKfPfN6thrust23THRUST_200600_302600_NS4plusIfEEEE10hipError_tPvRmT2_T3_mT4_P12ihipStream_tbEUlmE_fEESD_NS0_8identityIvEEEESI_SL_SM_mSN_SP_bEUlT_E_NS1_11comp_targetILNS1_3genE8ELNS1_11target_archE1030ELNS1_3gpuE2ELNS1_3repE0EEENS1_30default_config_static_selectorELNS0_4arch9wavefront6targetE0EEEvT1_
                                        ; -- End function
	.section	.AMDGPU.csdata,"",@progbits
; Kernel info:
; codeLenInByte = 0
; NumSgprs: 0
; NumVgprs: 0
; ScratchSize: 0
; MemoryBound: 0
; FloatMode: 240
; IeeeMode: 1
; LDSByteSize: 0 bytes/workgroup (compile time only)
; SGPRBlocks: 0
; VGPRBlocks: 0
; NumSGPRsForWavesPerEU: 1
; NumVGPRsForWavesPerEU: 1
; Occupancy: 16
; WaveLimiterHint : 0
; COMPUTE_PGM_RSRC2:SCRATCH_EN: 0
; COMPUTE_PGM_RSRC2:USER_SGPR: 15
; COMPUTE_PGM_RSRC2:TRAP_HANDLER: 0
; COMPUTE_PGM_RSRC2:TGID_X_EN: 1
; COMPUTE_PGM_RSRC2:TGID_Y_EN: 0
; COMPUTE_PGM_RSRC2:TGID_Z_EN: 0
; COMPUTE_PGM_RSRC2:TIDIG_COMP_CNT: 0
	.section	.text._ZN7rocprim17ROCPRIM_400000_NS6detail17trampoline_kernelINS0_14default_configENS1_35adjacent_difference_config_selectorILb1EfEEZNS1_24adjacent_difference_implIS3_Lb1ELb0EPKfPfN6thrust23THRUST_200600_302600_NS4plusIfEEEE10hipError_tPvRmT2_T3_mT4_P12ihipStream_tbEUlT_E_NS1_11comp_targetILNS1_3genE0ELNS1_11target_archE4294967295ELNS1_3gpuE0ELNS1_3repE0EEENS1_30default_config_static_selectorELNS0_4arch9wavefront6targetE0EEEvT1_,"axG",@progbits,_ZN7rocprim17ROCPRIM_400000_NS6detail17trampoline_kernelINS0_14default_configENS1_35adjacent_difference_config_selectorILb1EfEEZNS1_24adjacent_difference_implIS3_Lb1ELb0EPKfPfN6thrust23THRUST_200600_302600_NS4plusIfEEEE10hipError_tPvRmT2_T3_mT4_P12ihipStream_tbEUlT_E_NS1_11comp_targetILNS1_3genE0ELNS1_11target_archE4294967295ELNS1_3gpuE0ELNS1_3repE0EEENS1_30default_config_static_selectorELNS0_4arch9wavefront6targetE0EEEvT1_,comdat
	.protected	_ZN7rocprim17ROCPRIM_400000_NS6detail17trampoline_kernelINS0_14default_configENS1_35adjacent_difference_config_selectorILb1EfEEZNS1_24adjacent_difference_implIS3_Lb1ELb0EPKfPfN6thrust23THRUST_200600_302600_NS4plusIfEEEE10hipError_tPvRmT2_T3_mT4_P12ihipStream_tbEUlT_E_NS1_11comp_targetILNS1_3genE0ELNS1_11target_archE4294967295ELNS1_3gpuE0ELNS1_3repE0EEENS1_30default_config_static_selectorELNS0_4arch9wavefront6targetE0EEEvT1_ ; -- Begin function _ZN7rocprim17ROCPRIM_400000_NS6detail17trampoline_kernelINS0_14default_configENS1_35adjacent_difference_config_selectorILb1EfEEZNS1_24adjacent_difference_implIS3_Lb1ELb0EPKfPfN6thrust23THRUST_200600_302600_NS4plusIfEEEE10hipError_tPvRmT2_T3_mT4_P12ihipStream_tbEUlT_E_NS1_11comp_targetILNS1_3genE0ELNS1_11target_archE4294967295ELNS1_3gpuE0ELNS1_3repE0EEENS1_30default_config_static_selectorELNS0_4arch9wavefront6targetE0EEEvT1_
	.globl	_ZN7rocprim17ROCPRIM_400000_NS6detail17trampoline_kernelINS0_14default_configENS1_35adjacent_difference_config_selectorILb1EfEEZNS1_24adjacent_difference_implIS3_Lb1ELb0EPKfPfN6thrust23THRUST_200600_302600_NS4plusIfEEEE10hipError_tPvRmT2_T3_mT4_P12ihipStream_tbEUlT_E_NS1_11comp_targetILNS1_3genE0ELNS1_11target_archE4294967295ELNS1_3gpuE0ELNS1_3repE0EEENS1_30default_config_static_selectorELNS0_4arch9wavefront6targetE0EEEvT1_
	.p2align	8
	.type	_ZN7rocprim17ROCPRIM_400000_NS6detail17trampoline_kernelINS0_14default_configENS1_35adjacent_difference_config_selectorILb1EfEEZNS1_24adjacent_difference_implIS3_Lb1ELb0EPKfPfN6thrust23THRUST_200600_302600_NS4plusIfEEEE10hipError_tPvRmT2_T3_mT4_P12ihipStream_tbEUlT_E_NS1_11comp_targetILNS1_3genE0ELNS1_11target_archE4294967295ELNS1_3gpuE0ELNS1_3repE0EEENS1_30default_config_static_selectorELNS0_4arch9wavefront6targetE0EEEvT1_,@function
_ZN7rocprim17ROCPRIM_400000_NS6detail17trampoline_kernelINS0_14default_configENS1_35adjacent_difference_config_selectorILb1EfEEZNS1_24adjacent_difference_implIS3_Lb1ELb0EPKfPfN6thrust23THRUST_200600_302600_NS4plusIfEEEE10hipError_tPvRmT2_T3_mT4_P12ihipStream_tbEUlT_E_NS1_11comp_targetILNS1_3genE0ELNS1_11target_archE4294967295ELNS1_3gpuE0ELNS1_3repE0EEENS1_30default_config_static_selectorELNS0_4arch9wavefront6targetE0EEEvT1_: ; @_ZN7rocprim17ROCPRIM_400000_NS6detail17trampoline_kernelINS0_14default_configENS1_35adjacent_difference_config_selectorILb1EfEEZNS1_24adjacent_difference_implIS3_Lb1ELb0EPKfPfN6thrust23THRUST_200600_302600_NS4plusIfEEEE10hipError_tPvRmT2_T3_mT4_P12ihipStream_tbEUlT_E_NS1_11comp_targetILNS1_3genE0ELNS1_11target_archE4294967295ELNS1_3gpuE0ELNS1_3repE0EEENS1_30default_config_static_selectorELNS0_4arch9wavefront6targetE0EEEvT1_
; %bb.0:
	.section	.rodata,"a",@progbits
	.p2align	6, 0x0
	.amdhsa_kernel _ZN7rocprim17ROCPRIM_400000_NS6detail17trampoline_kernelINS0_14default_configENS1_35adjacent_difference_config_selectorILb1EfEEZNS1_24adjacent_difference_implIS3_Lb1ELb0EPKfPfN6thrust23THRUST_200600_302600_NS4plusIfEEEE10hipError_tPvRmT2_T3_mT4_P12ihipStream_tbEUlT_E_NS1_11comp_targetILNS1_3genE0ELNS1_11target_archE4294967295ELNS1_3gpuE0ELNS1_3repE0EEENS1_30default_config_static_selectorELNS0_4arch9wavefront6targetE0EEEvT1_
		.amdhsa_group_segment_fixed_size 0
		.amdhsa_private_segment_fixed_size 0
		.amdhsa_kernarg_size 56
		.amdhsa_user_sgpr_count 15
		.amdhsa_user_sgpr_dispatch_ptr 0
		.amdhsa_user_sgpr_queue_ptr 0
		.amdhsa_user_sgpr_kernarg_segment_ptr 1
		.amdhsa_user_sgpr_dispatch_id 0
		.amdhsa_user_sgpr_private_segment_size 0
		.amdhsa_wavefront_size32 1
		.amdhsa_uses_dynamic_stack 0
		.amdhsa_enable_private_segment 0
		.amdhsa_system_sgpr_workgroup_id_x 1
		.amdhsa_system_sgpr_workgroup_id_y 0
		.amdhsa_system_sgpr_workgroup_id_z 0
		.amdhsa_system_sgpr_workgroup_info 0
		.amdhsa_system_vgpr_workitem_id 0
		.amdhsa_next_free_vgpr 1
		.amdhsa_next_free_sgpr 1
		.amdhsa_reserve_vcc 0
		.amdhsa_float_round_mode_32 0
		.amdhsa_float_round_mode_16_64 0
		.amdhsa_float_denorm_mode_32 3
		.amdhsa_float_denorm_mode_16_64 3
		.amdhsa_dx10_clamp 1
		.amdhsa_ieee_mode 1
		.amdhsa_fp16_overflow 0
		.amdhsa_workgroup_processor_mode 1
		.amdhsa_memory_ordered 1
		.amdhsa_forward_progress 0
		.amdhsa_shared_vgpr_count 0
		.amdhsa_exception_fp_ieee_invalid_op 0
		.amdhsa_exception_fp_denorm_src 0
		.amdhsa_exception_fp_ieee_div_zero 0
		.amdhsa_exception_fp_ieee_overflow 0
		.amdhsa_exception_fp_ieee_underflow 0
		.amdhsa_exception_fp_ieee_inexact 0
		.amdhsa_exception_int_div_zero 0
	.end_amdhsa_kernel
	.section	.text._ZN7rocprim17ROCPRIM_400000_NS6detail17trampoline_kernelINS0_14default_configENS1_35adjacent_difference_config_selectorILb1EfEEZNS1_24adjacent_difference_implIS3_Lb1ELb0EPKfPfN6thrust23THRUST_200600_302600_NS4plusIfEEEE10hipError_tPvRmT2_T3_mT4_P12ihipStream_tbEUlT_E_NS1_11comp_targetILNS1_3genE0ELNS1_11target_archE4294967295ELNS1_3gpuE0ELNS1_3repE0EEENS1_30default_config_static_selectorELNS0_4arch9wavefront6targetE0EEEvT1_,"axG",@progbits,_ZN7rocprim17ROCPRIM_400000_NS6detail17trampoline_kernelINS0_14default_configENS1_35adjacent_difference_config_selectorILb1EfEEZNS1_24adjacent_difference_implIS3_Lb1ELb0EPKfPfN6thrust23THRUST_200600_302600_NS4plusIfEEEE10hipError_tPvRmT2_T3_mT4_P12ihipStream_tbEUlT_E_NS1_11comp_targetILNS1_3genE0ELNS1_11target_archE4294967295ELNS1_3gpuE0ELNS1_3repE0EEENS1_30default_config_static_selectorELNS0_4arch9wavefront6targetE0EEEvT1_,comdat
.Lfunc_end615:
	.size	_ZN7rocprim17ROCPRIM_400000_NS6detail17trampoline_kernelINS0_14default_configENS1_35adjacent_difference_config_selectorILb1EfEEZNS1_24adjacent_difference_implIS3_Lb1ELb0EPKfPfN6thrust23THRUST_200600_302600_NS4plusIfEEEE10hipError_tPvRmT2_T3_mT4_P12ihipStream_tbEUlT_E_NS1_11comp_targetILNS1_3genE0ELNS1_11target_archE4294967295ELNS1_3gpuE0ELNS1_3repE0EEENS1_30default_config_static_selectorELNS0_4arch9wavefront6targetE0EEEvT1_, .Lfunc_end615-_ZN7rocprim17ROCPRIM_400000_NS6detail17trampoline_kernelINS0_14default_configENS1_35adjacent_difference_config_selectorILb1EfEEZNS1_24adjacent_difference_implIS3_Lb1ELb0EPKfPfN6thrust23THRUST_200600_302600_NS4plusIfEEEE10hipError_tPvRmT2_T3_mT4_P12ihipStream_tbEUlT_E_NS1_11comp_targetILNS1_3genE0ELNS1_11target_archE4294967295ELNS1_3gpuE0ELNS1_3repE0EEENS1_30default_config_static_selectorELNS0_4arch9wavefront6targetE0EEEvT1_
                                        ; -- End function
	.section	.AMDGPU.csdata,"",@progbits
; Kernel info:
; codeLenInByte = 0
; NumSgprs: 0
; NumVgprs: 0
; ScratchSize: 0
; MemoryBound: 0
; FloatMode: 240
; IeeeMode: 1
; LDSByteSize: 0 bytes/workgroup (compile time only)
; SGPRBlocks: 0
; VGPRBlocks: 0
; NumSGPRsForWavesPerEU: 1
; NumVGPRsForWavesPerEU: 1
; Occupancy: 16
; WaveLimiterHint : 0
; COMPUTE_PGM_RSRC2:SCRATCH_EN: 0
; COMPUTE_PGM_RSRC2:USER_SGPR: 15
; COMPUTE_PGM_RSRC2:TRAP_HANDLER: 0
; COMPUTE_PGM_RSRC2:TGID_X_EN: 1
; COMPUTE_PGM_RSRC2:TGID_Y_EN: 0
; COMPUTE_PGM_RSRC2:TGID_Z_EN: 0
; COMPUTE_PGM_RSRC2:TIDIG_COMP_CNT: 0
	.section	.text._ZN7rocprim17ROCPRIM_400000_NS6detail17trampoline_kernelINS0_14default_configENS1_35adjacent_difference_config_selectorILb1EfEEZNS1_24adjacent_difference_implIS3_Lb1ELb0EPKfPfN6thrust23THRUST_200600_302600_NS4plusIfEEEE10hipError_tPvRmT2_T3_mT4_P12ihipStream_tbEUlT_E_NS1_11comp_targetILNS1_3genE10ELNS1_11target_archE1201ELNS1_3gpuE5ELNS1_3repE0EEENS1_30default_config_static_selectorELNS0_4arch9wavefront6targetE0EEEvT1_,"axG",@progbits,_ZN7rocprim17ROCPRIM_400000_NS6detail17trampoline_kernelINS0_14default_configENS1_35adjacent_difference_config_selectorILb1EfEEZNS1_24adjacent_difference_implIS3_Lb1ELb0EPKfPfN6thrust23THRUST_200600_302600_NS4plusIfEEEE10hipError_tPvRmT2_T3_mT4_P12ihipStream_tbEUlT_E_NS1_11comp_targetILNS1_3genE10ELNS1_11target_archE1201ELNS1_3gpuE5ELNS1_3repE0EEENS1_30default_config_static_selectorELNS0_4arch9wavefront6targetE0EEEvT1_,comdat
	.protected	_ZN7rocprim17ROCPRIM_400000_NS6detail17trampoline_kernelINS0_14default_configENS1_35adjacent_difference_config_selectorILb1EfEEZNS1_24adjacent_difference_implIS3_Lb1ELb0EPKfPfN6thrust23THRUST_200600_302600_NS4plusIfEEEE10hipError_tPvRmT2_T3_mT4_P12ihipStream_tbEUlT_E_NS1_11comp_targetILNS1_3genE10ELNS1_11target_archE1201ELNS1_3gpuE5ELNS1_3repE0EEENS1_30default_config_static_selectorELNS0_4arch9wavefront6targetE0EEEvT1_ ; -- Begin function _ZN7rocprim17ROCPRIM_400000_NS6detail17trampoline_kernelINS0_14default_configENS1_35adjacent_difference_config_selectorILb1EfEEZNS1_24adjacent_difference_implIS3_Lb1ELb0EPKfPfN6thrust23THRUST_200600_302600_NS4plusIfEEEE10hipError_tPvRmT2_T3_mT4_P12ihipStream_tbEUlT_E_NS1_11comp_targetILNS1_3genE10ELNS1_11target_archE1201ELNS1_3gpuE5ELNS1_3repE0EEENS1_30default_config_static_selectorELNS0_4arch9wavefront6targetE0EEEvT1_
	.globl	_ZN7rocprim17ROCPRIM_400000_NS6detail17trampoline_kernelINS0_14default_configENS1_35adjacent_difference_config_selectorILb1EfEEZNS1_24adjacent_difference_implIS3_Lb1ELb0EPKfPfN6thrust23THRUST_200600_302600_NS4plusIfEEEE10hipError_tPvRmT2_T3_mT4_P12ihipStream_tbEUlT_E_NS1_11comp_targetILNS1_3genE10ELNS1_11target_archE1201ELNS1_3gpuE5ELNS1_3repE0EEENS1_30default_config_static_selectorELNS0_4arch9wavefront6targetE0EEEvT1_
	.p2align	8
	.type	_ZN7rocprim17ROCPRIM_400000_NS6detail17trampoline_kernelINS0_14default_configENS1_35adjacent_difference_config_selectorILb1EfEEZNS1_24adjacent_difference_implIS3_Lb1ELb0EPKfPfN6thrust23THRUST_200600_302600_NS4plusIfEEEE10hipError_tPvRmT2_T3_mT4_P12ihipStream_tbEUlT_E_NS1_11comp_targetILNS1_3genE10ELNS1_11target_archE1201ELNS1_3gpuE5ELNS1_3repE0EEENS1_30default_config_static_selectorELNS0_4arch9wavefront6targetE0EEEvT1_,@function
_ZN7rocprim17ROCPRIM_400000_NS6detail17trampoline_kernelINS0_14default_configENS1_35adjacent_difference_config_selectorILb1EfEEZNS1_24adjacent_difference_implIS3_Lb1ELb0EPKfPfN6thrust23THRUST_200600_302600_NS4plusIfEEEE10hipError_tPvRmT2_T3_mT4_P12ihipStream_tbEUlT_E_NS1_11comp_targetILNS1_3genE10ELNS1_11target_archE1201ELNS1_3gpuE5ELNS1_3repE0EEENS1_30default_config_static_selectorELNS0_4arch9wavefront6targetE0EEEvT1_: ; @_ZN7rocprim17ROCPRIM_400000_NS6detail17trampoline_kernelINS0_14default_configENS1_35adjacent_difference_config_selectorILb1EfEEZNS1_24adjacent_difference_implIS3_Lb1ELb0EPKfPfN6thrust23THRUST_200600_302600_NS4plusIfEEEE10hipError_tPvRmT2_T3_mT4_P12ihipStream_tbEUlT_E_NS1_11comp_targetILNS1_3genE10ELNS1_11target_archE1201ELNS1_3gpuE5ELNS1_3repE0EEENS1_30default_config_static_selectorELNS0_4arch9wavefront6targetE0EEEvT1_
; %bb.0:
	.section	.rodata,"a",@progbits
	.p2align	6, 0x0
	.amdhsa_kernel _ZN7rocprim17ROCPRIM_400000_NS6detail17trampoline_kernelINS0_14default_configENS1_35adjacent_difference_config_selectorILb1EfEEZNS1_24adjacent_difference_implIS3_Lb1ELb0EPKfPfN6thrust23THRUST_200600_302600_NS4plusIfEEEE10hipError_tPvRmT2_T3_mT4_P12ihipStream_tbEUlT_E_NS1_11comp_targetILNS1_3genE10ELNS1_11target_archE1201ELNS1_3gpuE5ELNS1_3repE0EEENS1_30default_config_static_selectorELNS0_4arch9wavefront6targetE0EEEvT1_
		.amdhsa_group_segment_fixed_size 0
		.amdhsa_private_segment_fixed_size 0
		.amdhsa_kernarg_size 56
		.amdhsa_user_sgpr_count 15
		.amdhsa_user_sgpr_dispatch_ptr 0
		.amdhsa_user_sgpr_queue_ptr 0
		.amdhsa_user_sgpr_kernarg_segment_ptr 1
		.amdhsa_user_sgpr_dispatch_id 0
		.amdhsa_user_sgpr_private_segment_size 0
		.amdhsa_wavefront_size32 1
		.amdhsa_uses_dynamic_stack 0
		.amdhsa_enable_private_segment 0
		.amdhsa_system_sgpr_workgroup_id_x 1
		.amdhsa_system_sgpr_workgroup_id_y 0
		.amdhsa_system_sgpr_workgroup_id_z 0
		.amdhsa_system_sgpr_workgroup_info 0
		.amdhsa_system_vgpr_workitem_id 0
		.amdhsa_next_free_vgpr 1
		.amdhsa_next_free_sgpr 1
		.amdhsa_reserve_vcc 0
		.amdhsa_float_round_mode_32 0
		.amdhsa_float_round_mode_16_64 0
		.amdhsa_float_denorm_mode_32 3
		.amdhsa_float_denorm_mode_16_64 3
		.amdhsa_dx10_clamp 1
		.amdhsa_ieee_mode 1
		.amdhsa_fp16_overflow 0
		.amdhsa_workgroup_processor_mode 1
		.amdhsa_memory_ordered 1
		.amdhsa_forward_progress 0
		.amdhsa_shared_vgpr_count 0
		.amdhsa_exception_fp_ieee_invalid_op 0
		.amdhsa_exception_fp_denorm_src 0
		.amdhsa_exception_fp_ieee_div_zero 0
		.amdhsa_exception_fp_ieee_overflow 0
		.amdhsa_exception_fp_ieee_underflow 0
		.amdhsa_exception_fp_ieee_inexact 0
		.amdhsa_exception_int_div_zero 0
	.end_amdhsa_kernel
	.section	.text._ZN7rocprim17ROCPRIM_400000_NS6detail17trampoline_kernelINS0_14default_configENS1_35adjacent_difference_config_selectorILb1EfEEZNS1_24adjacent_difference_implIS3_Lb1ELb0EPKfPfN6thrust23THRUST_200600_302600_NS4plusIfEEEE10hipError_tPvRmT2_T3_mT4_P12ihipStream_tbEUlT_E_NS1_11comp_targetILNS1_3genE10ELNS1_11target_archE1201ELNS1_3gpuE5ELNS1_3repE0EEENS1_30default_config_static_selectorELNS0_4arch9wavefront6targetE0EEEvT1_,"axG",@progbits,_ZN7rocprim17ROCPRIM_400000_NS6detail17trampoline_kernelINS0_14default_configENS1_35adjacent_difference_config_selectorILb1EfEEZNS1_24adjacent_difference_implIS3_Lb1ELb0EPKfPfN6thrust23THRUST_200600_302600_NS4plusIfEEEE10hipError_tPvRmT2_T3_mT4_P12ihipStream_tbEUlT_E_NS1_11comp_targetILNS1_3genE10ELNS1_11target_archE1201ELNS1_3gpuE5ELNS1_3repE0EEENS1_30default_config_static_selectorELNS0_4arch9wavefront6targetE0EEEvT1_,comdat
.Lfunc_end616:
	.size	_ZN7rocprim17ROCPRIM_400000_NS6detail17trampoline_kernelINS0_14default_configENS1_35adjacent_difference_config_selectorILb1EfEEZNS1_24adjacent_difference_implIS3_Lb1ELb0EPKfPfN6thrust23THRUST_200600_302600_NS4plusIfEEEE10hipError_tPvRmT2_T3_mT4_P12ihipStream_tbEUlT_E_NS1_11comp_targetILNS1_3genE10ELNS1_11target_archE1201ELNS1_3gpuE5ELNS1_3repE0EEENS1_30default_config_static_selectorELNS0_4arch9wavefront6targetE0EEEvT1_, .Lfunc_end616-_ZN7rocprim17ROCPRIM_400000_NS6detail17trampoline_kernelINS0_14default_configENS1_35adjacent_difference_config_selectorILb1EfEEZNS1_24adjacent_difference_implIS3_Lb1ELb0EPKfPfN6thrust23THRUST_200600_302600_NS4plusIfEEEE10hipError_tPvRmT2_T3_mT4_P12ihipStream_tbEUlT_E_NS1_11comp_targetILNS1_3genE10ELNS1_11target_archE1201ELNS1_3gpuE5ELNS1_3repE0EEENS1_30default_config_static_selectorELNS0_4arch9wavefront6targetE0EEEvT1_
                                        ; -- End function
	.section	.AMDGPU.csdata,"",@progbits
; Kernel info:
; codeLenInByte = 0
; NumSgprs: 0
; NumVgprs: 0
; ScratchSize: 0
; MemoryBound: 0
; FloatMode: 240
; IeeeMode: 1
; LDSByteSize: 0 bytes/workgroup (compile time only)
; SGPRBlocks: 0
; VGPRBlocks: 0
; NumSGPRsForWavesPerEU: 1
; NumVGPRsForWavesPerEU: 1
; Occupancy: 16
; WaveLimiterHint : 0
; COMPUTE_PGM_RSRC2:SCRATCH_EN: 0
; COMPUTE_PGM_RSRC2:USER_SGPR: 15
; COMPUTE_PGM_RSRC2:TRAP_HANDLER: 0
; COMPUTE_PGM_RSRC2:TGID_X_EN: 1
; COMPUTE_PGM_RSRC2:TGID_Y_EN: 0
; COMPUTE_PGM_RSRC2:TGID_Z_EN: 0
; COMPUTE_PGM_RSRC2:TIDIG_COMP_CNT: 0
	.section	.text._ZN7rocprim17ROCPRIM_400000_NS6detail17trampoline_kernelINS0_14default_configENS1_35adjacent_difference_config_selectorILb1EfEEZNS1_24adjacent_difference_implIS3_Lb1ELb0EPKfPfN6thrust23THRUST_200600_302600_NS4plusIfEEEE10hipError_tPvRmT2_T3_mT4_P12ihipStream_tbEUlT_E_NS1_11comp_targetILNS1_3genE5ELNS1_11target_archE942ELNS1_3gpuE9ELNS1_3repE0EEENS1_30default_config_static_selectorELNS0_4arch9wavefront6targetE0EEEvT1_,"axG",@progbits,_ZN7rocprim17ROCPRIM_400000_NS6detail17trampoline_kernelINS0_14default_configENS1_35adjacent_difference_config_selectorILb1EfEEZNS1_24adjacent_difference_implIS3_Lb1ELb0EPKfPfN6thrust23THRUST_200600_302600_NS4plusIfEEEE10hipError_tPvRmT2_T3_mT4_P12ihipStream_tbEUlT_E_NS1_11comp_targetILNS1_3genE5ELNS1_11target_archE942ELNS1_3gpuE9ELNS1_3repE0EEENS1_30default_config_static_selectorELNS0_4arch9wavefront6targetE0EEEvT1_,comdat
	.protected	_ZN7rocprim17ROCPRIM_400000_NS6detail17trampoline_kernelINS0_14default_configENS1_35adjacent_difference_config_selectorILb1EfEEZNS1_24adjacent_difference_implIS3_Lb1ELb0EPKfPfN6thrust23THRUST_200600_302600_NS4plusIfEEEE10hipError_tPvRmT2_T3_mT4_P12ihipStream_tbEUlT_E_NS1_11comp_targetILNS1_3genE5ELNS1_11target_archE942ELNS1_3gpuE9ELNS1_3repE0EEENS1_30default_config_static_selectorELNS0_4arch9wavefront6targetE0EEEvT1_ ; -- Begin function _ZN7rocprim17ROCPRIM_400000_NS6detail17trampoline_kernelINS0_14default_configENS1_35adjacent_difference_config_selectorILb1EfEEZNS1_24adjacent_difference_implIS3_Lb1ELb0EPKfPfN6thrust23THRUST_200600_302600_NS4plusIfEEEE10hipError_tPvRmT2_T3_mT4_P12ihipStream_tbEUlT_E_NS1_11comp_targetILNS1_3genE5ELNS1_11target_archE942ELNS1_3gpuE9ELNS1_3repE0EEENS1_30default_config_static_selectorELNS0_4arch9wavefront6targetE0EEEvT1_
	.globl	_ZN7rocprim17ROCPRIM_400000_NS6detail17trampoline_kernelINS0_14default_configENS1_35adjacent_difference_config_selectorILb1EfEEZNS1_24adjacent_difference_implIS3_Lb1ELb0EPKfPfN6thrust23THRUST_200600_302600_NS4plusIfEEEE10hipError_tPvRmT2_T3_mT4_P12ihipStream_tbEUlT_E_NS1_11comp_targetILNS1_3genE5ELNS1_11target_archE942ELNS1_3gpuE9ELNS1_3repE0EEENS1_30default_config_static_selectorELNS0_4arch9wavefront6targetE0EEEvT1_
	.p2align	8
	.type	_ZN7rocprim17ROCPRIM_400000_NS6detail17trampoline_kernelINS0_14default_configENS1_35adjacent_difference_config_selectorILb1EfEEZNS1_24adjacent_difference_implIS3_Lb1ELb0EPKfPfN6thrust23THRUST_200600_302600_NS4plusIfEEEE10hipError_tPvRmT2_T3_mT4_P12ihipStream_tbEUlT_E_NS1_11comp_targetILNS1_3genE5ELNS1_11target_archE942ELNS1_3gpuE9ELNS1_3repE0EEENS1_30default_config_static_selectorELNS0_4arch9wavefront6targetE0EEEvT1_,@function
_ZN7rocprim17ROCPRIM_400000_NS6detail17trampoline_kernelINS0_14default_configENS1_35adjacent_difference_config_selectorILb1EfEEZNS1_24adjacent_difference_implIS3_Lb1ELb0EPKfPfN6thrust23THRUST_200600_302600_NS4plusIfEEEE10hipError_tPvRmT2_T3_mT4_P12ihipStream_tbEUlT_E_NS1_11comp_targetILNS1_3genE5ELNS1_11target_archE942ELNS1_3gpuE9ELNS1_3repE0EEENS1_30default_config_static_selectorELNS0_4arch9wavefront6targetE0EEEvT1_: ; @_ZN7rocprim17ROCPRIM_400000_NS6detail17trampoline_kernelINS0_14default_configENS1_35adjacent_difference_config_selectorILb1EfEEZNS1_24adjacent_difference_implIS3_Lb1ELb0EPKfPfN6thrust23THRUST_200600_302600_NS4plusIfEEEE10hipError_tPvRmT2_T3_mT4_P12ihipStream_tbEUlT_E_NS1_11comp_targetILNS1_3genE5ELNS1_11target_archE942ELNS1_3gpuE9ELNS1_3repE0EEENS1_30default_config_static_selectorELNS0_4arch9wavefront6targetE0EEEvT1_
; %bb.0:
	.section	.rodata,"a",@progbits
	.p2align	6, 0x0
	.amdhsa_kernel _ZN7rocprim17ROCPRIM_400000_NS6detail17trampoline_kernelINS0_14default_configENS1_35adjacent_difference_config_selectorILb1EfEEZNS1_24adjacent_difference_implIS3_Lb1ELb0EPKfPfN6thrust23THRUST_200600_302600_NS4plusIfEEEE10hipError_tPvRmT2_T3_mT4_P12ihipStream_tbEUlT_E_NS1_11comp_targetILNS1_3genE5ELNS1_11target_archE942ELNS1_3gpuE9ELNS1_3repE0EEENS1_30default_config_static_selectorELNS0_4arch9wavefront6targetE0EEEvT1_
		.amdhsa_group_segment_fixed_size 0
		.amdhsa_private_segment_fixed_size 0
		.amdhsa_kernarg_size 56
		.amdhsa_user_sgpr_count 15
		.amdhsa_user_sgpr_dispatch_ptr 0
		.amdhsa_user_sgpr_queue_ptr 0
		.amdhsa_user_sgpr_kernarg_segment_ptr 1
		.amdhsa_user_sgpr_dispatch_id 0
		.amdhsa_user_sgpr_private_segment_size 0
		.amdhsa_wavefront_size32 1
		.amdhsa_uses_dynamic_stack 0
		.amdhsa_enable_private_segment 0
		.amdhsa_system_sgpr_workgroup_id_x 1
		.amdhsa_system_sgpr_workgroup_id_y 0
		.amdhsa_system_sgpr_workgroup_id_z 0
		.amdhsa_system_sgpr_workgroup_info 0
		.amdhsa_system_vgpr_workitem_id 0
		.amdhsa_next_free_vgpr 1
		.amdhsa_next_free_sgpr 1
		.amdhsa_reserve_vcc 0
		.amdhsa_float_round_mode_32 0
		.amdhsa_float_round_mode_16_64 0
		.amdhsa_float_denorm_mode_32 3
		.amdhsa_float_denorm_mode_16_64 3
		.amdhsa_dx10_clamp 1
		.amdhsa_ieee_mode 1
		.amdhsa_fp16_overflow 0
		.amdhsa_workgroup_processor_mode 1
		.amdhsa_memory_ordered 1
		.amdhsa_forward_progress 0
		.amdhsa_shared_vgpr_count 0
		.amdhsa_exception_fp_ieee_invalid_op 0
		.amdhsa_exception_fp_denorm_src 0
		.amdhsa_exception_fp_ieee_div_zero 0
		.amdhsa_exception_fp_ieee_overflow 0
		.amdhsa_exception_fp_ieee_underflow 0
		.amdhsa_exception_fp_ieee_inexact 0
		.amdhsa_exception_int_div_zero 0
	.end_amdhsa_kernel
	.section	.text._ZN7rocprim17ROCPRIM_400000_NS6detail17trampoline_kernelINS0_14default_configENS1_35adjacent_difference_config_selectorILb1EfEEZNS1_24adjacent_difference_implIS3_Lb1ELb0EPKfPfN6thrust23THRUST_200600_302600_NS4plusIfEEEE10hipError_tPvRmT2_T3_mT4_P12ihipStream_tbEUlT_E_NS1_11comp_targetILNS1_3genE5ELNS1_11target_archE942ELNS1_3gpuE9ELNS1_3repE0EEENS1_30default_config_static_selectorELNS0_4arch9wavefront6targetE0EEEvT1_,"axG",@progbits,_ZN7rocprim17ROCPRIM_400000_NS6detail17trampoline_kernelINS0_14default_configENS1_35adjacent_difference_config_selectorILb1EfEEZNS1_24adjacent_difference_implIS3_Lb1ELb0EPKfPfN6thrust23THRUST_200600_302600_NS4plusIfEEEE10hipError_tPvRmT2_T3_mT4_P12ihipStream_tbEUlT_E_NS1_11comp_targetILNS1_3genE5ELNS1_11target_archE942ELNS1_3gpuE9ELNS1_3repE0EEENS1_30default_config_static_selectorELNS0_4arch9wavefront6targetE0EEEvT1_,comdat
.Lfunc_end617:
	.size	_ZN7rocprim17ROCPRIM_400000_NS6detail17trampoline_kernelINS0_14default_configENS1_35adjacent_difference_config_selectorILb1EfEEZNS1_24adjacent_difference_implIS3_Lb1ELb0EPKfPfN6thrust23THRUST_200600_302600_NS4plusIfEEEE10hipError_tPvRmT2_T3_mT4_P12ihipStream_tbEUlT_E_NS1_11comp_targetILNS1_3genE5ELNS1_11target_archE942ELNS1_3gpuE9ELNS1_3repE0EEENS1_30default_config_static_selectorELNS0_4arch9wavefront6targetE0EEEvT1_, .Lfunc_end617-_ZN7rocprim17ROCPRIM_400000_NS6detail17trampoline_kernelINS0_14default_configENS1_35adjacent_difference_config_selectorILb1EfEEZNS1_24adjacent_difference_implIS3_Lb1ELb0EPKfPfN6thrust23THRUST_200600_302600_NS4plusIfEEEE10hipError_tPvRmT2_T3_mT4_P12ihipStream_tbEUlT_E_NS1_11comp_targetILNS1_3genE5ELNS1_11target_archE942ELNS1_3gpuE9ELNS1_3repE0EEENS1_30default_config_static_selectorELNS0_4arch9wavefront6targetE0EEEvT1_
                                        ; -- End function
	.section	.AMDGPU.csdata,"",@progbits
; Kernel info:
; codeLenInByte = 0
; NumSgprs: 0
; NumVgprs: 0
; ScratchSize: 0
; MemoryBound: 0
; FloatMode: 240
; IeeeMode: 1
; LDSByteSize: 0 bytes/workgroup (compile time only)
; SGPRBlocks: 0
; VGPRBlocks: 0
; NumSGPRsForWavesPerEU: 1
; NumVGPRsForWavesPerEU: 1
; Occupancy: 16
; WaveLimiterHint : 0
; COMPUTE_PGM_RSRC2:SCRATCH_EN: 0
; COMPUTE_PGM_RSRC2:USER_SGPR: 15
; COMPUTE_PGM_RSRC2:TRAP_HANDLER: 0
; COMPUTE_PGM_RSRC2:TGID_X_EN: 1
; COMPUTE_PGM_RSRC2:TGID_Y_EN: 0
; COMPUTE_PGM_RSRC2:TGID_Z_EN: 0
; COMPUTE_PGM_RSRC2:TIDIG_COMP_CNT: 0
	.section	.text._ZN7rocprim17ROCPRIM_400000_NS6detail17trampoline_kernelINS0_14default_configENS1_35adjacent_difference_config_selectorILb1EfEEZNS1_24adjacent_difference_implIS3_Lb1ELb0EPKfPfN6thrust23THRUST_200600_302600_NS4plusIfEEEE10hipError_tPvRmT2_T3_mT4_P12ihipStream_tbEUlT_E_NS1_11comp_targetILNS1_3genE4ELNS1_11target_archE910ELNS1_3gpuE8ELNS1_3repE0EEENS1_30default_config_static_selectorELNS0_4arch9wavefront6targetE0EEEvT1_,"axG",@progbits,_ZN7rocprim17ROCPRIM_400000_NS6detail17trampoline_kernelINS0_14default_configENS1_35adjacent_difference_config_selectorILb1EfEEZNS1_24adjacent_difference_implIS3_Lb1ELb0EPKfPfN6thrust23THRUST_200600_302600_NS4plusIfEEEE10hipError_tPvRmT2_T3_mT4_P12ihipStream_tbEUlT_E_NS1_11comp_targetILNS1_3genE4ELNS1_11target_archE910ELNS1_3gpuE8ELNS1_3repE0EEENS1_30default_config_static_selectorELNS0_4arch9wavefront6targetE0EEEvT1_,comdat
	.protected	_ZN7rocprim17ROCPRIM_400000_NS6detail17trampoline_kernelINS0_14default_configENS1_35adjacent_difference_config_selectorILb1EfEEZNS1_24adjacent_difference_implIS3_Lb1ELb0EPKfPfN6thrust23THRUST_200600_302600_NS4plusIfEEEE10hipError_tPvRmT2_T3_mT4_P12ihipStream_tbEUlT_E_NS1_11comp_targetILNS1_3genE4ELNS1_11target_archE910ELNS1_3gpuE8ELNS1_3repE0EEENS1_30default_config_static_selectorELNS0_4arch9wavefront6targetE0EEEvT1_ ; -- Begin function _ZN7rocprim17ROCPRIM_400000_NS6detail17trampoline_kernelINS0_14default_configENS1_35adjacent_difference_config_selectorILb1EfEEZNS1_24adjacent_difference_implIS3_Lb1ELb0EPKfPfN6thrust23THRUST_200600_302600_NS4plusIfEEEE10hipError_tPvRmT2_T3_mT4_P12ihipStream_tbEUlT_E_NS1_11comp_targetILNS1_3genE4ELNS1_11target_archE910ELNS1_3gpuE8ELNS1_3repE0EEENS1_30default_config_static_selectorELNS0_4arch9wavefront6targetE0EEEvT1_
	.globl	_ZN7rocprim17ROCPRIM_400000_NS6detail17trampoline_kernelINS0_14default_configENS1_35adjacent_difference_config_selectorILb1EfEEZNS1_24adjacent_difference_implIS3_Lb1ELb0EPKfPfN6thrust23THRUST_200600_302600_NS4plusIfEEEE10hipError_tPvRmT2_T3_mT4_P12ihipStream_tbEUlT_E_NS1_11comp_targetILNS1_3genE4ELNS1_11target_archE910ELNS1_3gpuE8ELNS1_3repE0EEENS1_30default_config_static_selectorELNS0_4arch9wavefront6targetE0EEEvT1_
	.p2align	8
	.type	_ZN7rocprim17ROCPRIM_400000_NS6detail17trampoline_kernelINS0_14default_configENS1_35adjacent_difference_config_selectorILb1EfEEZNS1_24adjacent_difference_implIS3_Lb1ELb0EPKfPfN6thrust23THRUST_200600_302600_NS4plusIfEEEE10hipError_tPvRmT2_T3_mT4_P12ihipStream_tbEUlT_E_NS1_11comp_targetILNS1_3genE4ELNS1_11target_archE910ELNS1_3gpuE8ELNS1_3repE0EEENS1_30default_config_static_selectorELNS0_4arch9wavefront6targetE0EEEvT1_,@function
_ZN7rocprim17ROCPRIM_400000_NS6detail17trampoline_kernelINS0_14default_configENS1_35adjacent_difference_config_selectorILb1EfEEZNS1_24adjacent_difference_implIS3_Lb1ELb0EPKfPfN6thrust23THRUST_200600_302600_NS4plusIfEEEE10hipError_tPvRmT2_T3_mT4_P12ihipStream_tbEUlT_E_NS1_11comp_targetILNS1_3genE4ELNS1_11target_archE910ELNS1_3gpuE8ELNS1_3repE0EEENS1_30default_config_static_selectorELNS0_4arch9wavefront6targetE0EEEvT1_: ; @_ZN7rocprim17ROCPRIM_400000_NS6detail17trampoline_kernelINS0_14default_configENS1_35adjacent_difference_config_selectorILb1EfEEZNS1_24adjacent_difference_implIS3_Lb1ELb0EPKfPfN6thrust23THRUST_200600_302600_NS4plusIfEEEE10hipError_tPvRmT2_T3_mT4_P12ihipStream_tbEUlT_E_NS1_11comp_targetILNS1_3genE4ELNS1_11target_archE910ELNS1_3gpuE8ELNS1_3repE0EEENS1_30default_config_static_selectorELNS0_4arch9wavefront6targetE0EEEvT1_
; %bb.0:
	.section	.rodata,"a",@progbits
	.p2align	6, 0x0
	.amdhsa_kernel _ZN7rocprim17ROCPRIM_400000_NS6detail17trampoline_kernelINS0_14default_configENS1_35adjacent_difference_config_selectorILb1EfEEZNS1_24adjacent_difference_implIS3_Lb1ELb0EPKfPfN6thrust23THRUST_200600_302600_NS4plusIfEEEE10hipError_tPvRmT2_T3_mT4_P12ihipStream_tbEUlT_E_NS1_11comp_targetILNS1_3genE4ELNS1_11target_archE910ELNS1_3gpuE8ELNS1_3repE0EEENS1_30default_config_static_selectorELNS0_4arch9wavefront6targetE0EEEvT1_
		.amdhsa_group_segment_fixed_size 0
		.amdhsa_private_segment_fixed_size 0
		.amdhsa_kernarg_size 56
		.amdhsa_user_sgpr_count 15
		.amdhsa_user_sgpr_dispatch_ptr 0
		.amdhsa_user_sgpr_queue_ptr 0
		.amdhsa_user_sgpr_kernarg_segment_ptr 1
		.amdhsa_user_sgpr_dispatch_id 0
		.amdhsa_user_sgpr_private_segment_size 0
		.amdhsa_wavefront_size32 1
		.amdhsa_uses_dynamic_stack 0
		.amdhsa_enable_private_segment 0
		.amdhsa_system_sgpr_workgroup_id_x 1
		.amdhsa_system_sgpr_workgroup_id_y 0
		.amdhsa_system_sgpr_workgroup_id_z 0
		.amdhsa_system_sgpr_workgroup_info 0
		.amdhsa_system_vgpr_workitem_id 0
		.amdhsa_next_free_vgpr 1
		.amdhsa_next_free_sgpr 1
		.amdhsa_reserve_vcc 0
		.amdhsa_float_round_mode_32 0
		.amdhsa_float_round_mode_16_64 0
		.amdhsa_float_denorm_mode_32 3
		.amdhsa_float_denorm_mode_16_64 3
		.amdhsa_dx10_clamp 1
		.amdhsa_ieee_mode 1
		.amdhsa_fp16_overflow 0
		.amdhsa_workgroup_processor_mode 1
		.amdhsa_memory_ordered 1
		.amdhsa_forward_progress 0
		.amdhsa_shared_vgpr_count 0
		.amdhsa_exception_fp_ieee_invalid_op 0
		.amdhsa_exception_fp_denorm_src 0
		.amdhsa_exception_fp_ieee_div_zero 0
		.amdhsa_exception_fp_ieee_overflow 0
		.amdhsa_exception_fp_ieee_underflow 0
		.amdhsa_exception_fp_ieee_inexact 0
		.amdhsa_exception_int_div_zero 0
	.end_amdhsa_kernel
	.section	.text._ZN7rocprim17ROCPRIM_400000_NS6detail17trampoline_kernelINS0_14default_configENS1_35adjacent_difference_config_selectorILb1EfEEZNS1_24adjacent_difference_implIS3_Lb1ELb0EPKfPfN6thrust23THRUST_200600_302600_NS4plusIfEEEE10hipError_tPvRmT2_T3_mT4_P12ihipStream_tbEUlT_E_NS1_11comp_targetILNS1_3genE4ELNS1_11target_archE910ELNS1_3gpuE8ELNS1_3repE0EEENS1_30default_config_static_selectorELNS0_4arch9wavefront6targetE0EEEvT1_,"axG",@progbits,_ZN7rocprim17ROCPRIM_400000_NS6detail17trampoline_kernelINS0_14default_configENS1_35adjacent_difference_config_selectorILb1EfEEZNS1_24adjacent_difference_implIS3_Lb1ELb0EPKfPfN6thrust23THRUST_200600_302600_NS4plusIfEEEE10hipError_tPvRmT2_T3_mT4_P12ihipStream_tbEUlT_E_NS1_11comp_targetILNS1_3genE4ELNS1_11target_archE910ELNS1_3gpuE8ELNS1_3repE0EEENS1_30default_config_static_selectorELNS0_4arch9wavefront6targetE0EEEvT1_,comdat
.Lfunc_end618:
	.size	_ZN7rocprim17ROCPRIM_400000_NS6detail17trampoline_kernelINS0_14default_configENS1_35adjacent_difference_config_selectorILb1EfEEZNS1_24adjacent_difference_implIS3_Lb1ELb0EPKfPfN6thrust23THRUST_200600_302600_NS4plusIfEEEE10hipError_tPvRmT2_T3_mT4_P12ihipStream_tbEUlT_E_NS1_11comp_targetILNS1_3genE4ELNS1_11target_archE910ELNS1_3gpuE8ELNS1_3repE0EEENS1_30default_config_static_selectorELNS0_4arch9wavefront6targetE0EEEvT1_, .Lfunc_end618-_ZN7rocprim17ROCPRIM_400000_NS6detail17trampoline_kernelINS0_14default_configENS1_35adjacent_difference_config_selectorILb1EfEEZNS1_24adjacent_difference_implIS3_Lb1ELb0EPKfPfN6thrust23THRUST_200600_302600_NS4plusIfEEEE10hipError_tPvRmT2_T3_mT4_P12ihipStream_tbEUlT_E_NS1_11comp_targetILNS1_3genE4ELNS1_11target_archE910ELNS1_3gpuE8ELNS1_3repE0EEENS1_30default_config_static_selectorELNS0_4arch9wavefront6targetE0EEEvT1_
                                        ; -- End function
	.section	.AMDGPU.csdata,"",@progbits
; Kernel info:
; codeLenInByte = 0
; NumSgprs: 0
; NumVgprs: 0
; ScratchSize: 0
; MemoryBound: 0
; FloatMode: 240
; IeeeMode: 1
; LDSByteSize: 0 bytes/workgroup (compile time only)
; SGPRBlocks: 0
; VGPRBlocks: 0
; NumSGPRsForWavesPerEU: 1
; NumVGPRsForWavesPerEU: 1
; Occupancy: 16
; WaveLimiterHint : 0
; COMPUTE_PGM_RSRC2:SCRATCH_EN: 0
; COMPUTE_PGM_RSRC2:USER_SGPR: 15
; COMPUTE_PGM_RSRC2:TRAP_HANDLER: 0
; COMPUTE_PGM_RSRC2:TGID_X_EN: 1
; COMPUTE_PGM_RSRC2:TGID_Y_EN: 0
; COMPUTE_PGM_RSRC2:TGID_Z_EN: 0
; COMPUTE_PGM_RSRC2:TIDIG_COMP_CNT: 0
	.section	.text._ZN7rocprim17ROCPRIM_400000_NS6detail17trampoline_kernelINS0_14default_configENS1_35adjacent_difference_config_selectorILb1EfEEZNS1_24adjacent_difference_implIS3_Lb1ELb0EPKfPfN6thrust23THRUST_200600_302600_NS4plusIfEEEE10hipError_tPvRmT2_T3_mT4_P12ihipStream_tbEUlT_E_NS1_11comp_targetILNS1_3genE3ELNS1_11target_archE908ELNS1_3gpuE7ELNS1_3repE0EEENS1_30default_config_static_selectorELNS0_4arch9wavefront6targetE0EEEvT1_,"axG",@progbits,_ZN7rocprim17ROCPRIM_400000_NS6detail17trampoline_kernelINS0_14default_configENS1_35adjacent_difference_config_selectorILb1EfEEZNS1_24adjacent_difference_implIS3_Lb1ELb0EPKfPfN6thrust23THRUST_200600_302600_NS4plusIfEEEE10hipError_tPvRmT2_T3_mT4_P12ihipStream_tbEUlT_E_NS1_11comp_targetILNS1_3genE3ELNS1_11target_archE908ELNS1_3gpuE7ELNS1_3repE0EEENS1_30default_config_static_selectorELNS0_4arch9wavefront6targetE0EEEvT1_,comdat
	.protected	_ZN7rocprim17ROCPRIM_400000_NS6detail17trampoline_kernelINS0_14default_configENS1_35adjacent_difference_config_selectorILb1EfEEZNS1_24adjacent_difference_implIS3_Lb1ELb0EPKfPfN6thrust23THRUST_200600_302600_NS4plusIfEEEE10hipError_tPvRmT2_T3_mT4_P12ihipStream_tbEUlT_E_NS1_11comp_targetILNS1_3genE3ELNS1_11target_archE908ELNS1_3gpuE7ELNS1_3repE0EEENS1_30default_config_static_selectorELNS0_4arch9wavefront6targetE0EEEvT1_ ; -- Begin function _ZN7rocprim17ROCPRIM_400000_NS6detail17trampoline_kernelINS0_14default_configENS1_35adjacent_difference_config_selectorILb1EfEEZNS1_24adjacent_difference_implIS3_Lb1ELb0EPKfPfN6thrust23THRUST_200600_302600_NS4plusIfEEEE10hipError_tPvRmT2_T3_mT4_P12ihipStream_tbEUlT_E_NS1_11comp_targetILNS1_3genE3ELNS1_11target_archE908ELNS1_3gpuE7ELNS1_3repE0EEENS1_30default_config_static_selectorELNS0_4arch9wavefront6targetE0EEEvT1_
	.globl	_ZN7rocprim17ROCPRIM_400000_NS6detail17trampoline_kernelINS0_14default_configENS1_35adjacent_difference_config_selectorILb1EfEEZNS1_24adjacent_difference_implIS3_Lb1ELb0EPKfPfN6thrust23THRUST_200600_302600_NS4plusIfEEEE10hipError_tPvRmT2_T3_mT4_P12ihipStream_tbEUlT_E_NS1_11comp_targetILNS1_3genE3ELNS1_11target_archE908ELNS1_3gpuE7ELNS1_3repE0EEENS1_30default_config_static_selectorELNS0_4arch9wavefront6targetE0EEEvT1_
	.p2align	8
	.type	_ZN7rocprim17ROCPRIM_400000_NS6detail17trampoline_kernelINS0_14default_configENS1_35adjacent_difference_config_selectorILb1EfEEZNS1_24adjacent_difference_implIS3_Lb1ELb0EPKfPfN6thrust23THRUST_200600_302600_NS4plusIfEEEE10hipError_tPvRmT2_T3_mT4_P12ihipStream_tbEUlT_E_NS1_11comp_targetILNS1_3genE3ELNS1_11target_archE908ELNS1_3gpuE7ELNS1_3repE0EEENS1_30default_config_static_selectorELNS0_4arch9wavefront6targetE0EEEvT1_,@function
_ZN7rocprim17ROCPRIM_400000_NS6detail17trampoline_kernelINS0_14default_configENS1_35adjacent_difference_config_selectorILb1EfEEZNS1_24adjacent_difference_implIS3_Lb1ELb0EPKfPfN6thrust23THRUST_200600_302600_NS4plusIfEEEE10hipError_tPvRmT2_T3_mT4_P12ihipStream_tbEUlT_E_NS1_11comp_targetILNS1_3genE3ELNS1_11target_archE908ELNS1_3gpuE7ELNS1_3repE0EEENS1_30default_config_static_selectorELNS0_4arch9wavefront6targetE0EEEvT1_: ; @_ZN7rocprim17ROCPRIM_400000_NS6detail17trampoline_kernelINS0_14default_configENS1_35adjacent_difference_config_selectorILb1EfEEZNS1_24adjacent_difference_implIS3_Lb1ELb0EPKfPfN6thrust23THRUST_200600_302600_NS4plusIfEEEE10hipError_tPvRmT2_T3_mT4_P12ihipStream_tbEUlT_E_NS1_11comp_targetILNS1_3genE3ELNS1_11target_archE908ELNS1_3gpuE7ELNS1_3repE0EEENS1_30default_config_static_selectorELNS0_4arch9wavefront6targetE0EEEvT1_
; %bb.0:
	.section	.rodata,"a",@progbits
	.p2align	6, 0x0
	.amdhsa_kernel _ZN7rocprim17ROCPRIM_400000_NS6detail17trampoline_kernelINS0_14default_configENS1_35adjacent_difference_config_selectorILb1EfEEZNS1_24adjacent_difference_implIS3_Lb1ELb0EPKfPfN6thrust23THRUST_200600_302600_NS4plusIfEEEE10hipError_tPvRmT2_T3_mT4_P12ihipStream_tbEUlT_E_NS1_11comp_targetILNS1_3genE3ELNS1_11target_archE908ELNS1_3gpuE7ELNS1_3repE0EEENS1_30default_config_static_selectorELNS0_4arch9wavefront6targetE0EEEvT1_
		.amdhsa_group_segment_fixed_size 0
		.amdhsa_private_segment_fixed_size 0
		.amdhsa_kernarg_size 56
		.amdhsa_user_sgpr_count 15
		.amdhsa_user_sgpr_dispatch_ptr 0
		.amdhsa_user_sgpr_queue_ptr 0
		.amdhsa_user_sgpr_kernarg_segment_ptr 1
		.amdhsa_user_sgpr_dispatch_id 0
		.amdhsa_user_sgpr_private_segment_size 0
		.amdhsa_wavefront_size32 1
		.amdhsa_uses_dynamic_stack 0
		.amdhsa_enable_private_segment 0
		.amdhsa_system_sgpr_workgroup_id_x 1
		.amdhsa_system_sgpr_workgroup_id_y 0
		.amdhsa_system_sgpr_workgroup_id_z 0
		.amdhsa_system_sgpr_workgroup_info 0
		.amdhsa_system_vgpr_workitem_id 0
		.amdhsa_next_free_vgpr 1
		.amdhsa_next_free_sgpr 1
		.amdhsa_reserve_vcc 0
		.amdhsa_float_round_mode_32 0
		.amdhsa_float_round_mode_16_64 0
		.amdhsa_float_denorm_mode_32 3
		.amdhsa_float_denorm_mode_16_64 3
		.amdhsa_dx10_clamp 1
		.amdhsa_ieee_mode 1
		.amdhsa_fp16_overflow 0
		.amdhsa_workgroup_processor_mode 1
		.amdhsa_memory_ordered 1
		.amdhsa_forward_progress 0
		.amdhsa_shared_vgpr_count 0
		.amdhsa_exception_fp_ieee_invalid_op 0
		.amdhsa_exception_fp_denorm_src 0
		.amdhsa_exception_fp_ieee_div_zero 0
		.amdhsa_exception_fp_ieee_overflow 0
		.amdhsa_exception_fp_ieee_underflow 0
		.amdhsa_exception_fp_ieee_inexact 0
		.amdhsa_exception_int_div_zero 0
	.end_amdhsa_kernel
	.section	.text._ZN7rocprim17ROCPRIM_400000_NS6detail17trampoline_kernelINS0_14default_configENS1_35adjacent_difference_config_selectorILb1EfEEZNS1_24adjacent_difference_implIS3_Lb1ELb0EPKfPfN6thrust23THRUST_200600_302600_NS4plusIfEEEE10hipError_tPvRmT2_T3_mT4_P12ihipStream_tbEUlT_E_NS1_11comp_targetILNS1_3genE3ELNS1_11target_archE908ELNS1_3gpuE7ELNS1_3repE0EEENS1_30default_config_static_selectorELNS0_4arch9wavefront6targetE0EEEvT1_,"axG",@progbits,_ZN7rocprim17ROCPRIM_400000_NS6detail17trampoline_kernelINS0_14default_configENS1_35adjacent_difference_config_selectorILb1EfEEZNS1_24adjacent_difference_implIS3_Lb1ELb0EPKfPfN6thrust23THRUST_200600_302600_NS4plusIfEEEE10hipError_tPvRmT2_T3_mT4_P12ihipStream_tbEUlT_E_NS1_11comp_targetILNS1_3genE3ELNS1_11target_archE908ELNS1_3gpuE7ELNS1_3repE0EEENS1_30default_config_static_selectorELNS0_4arch9wavefront6targetE0EEEvT1_,comdat
.Lfunc_end619:
	.size	_ZN7rocprim17ROCPRIM_400000_NS6detail17trampoline_kernelINS0_14default_configENS1_35adjacent_difference_config_selectorILb1EfEEZNS1_24adjacent_difference_implIS3_Lb1ELb0EPKfPfN6thrust23THRUST_200600_302600_NS4plusIfEEEE10hipError_tPvRmT2_T3_mT4_P12ihipStream_tbEUlT_E_NS1_11comp_targetILNS1_3genE3ELNS1_11target_archE908ELNS1_3gpuE7ELNS1_3repE0EEENS1_30default_config_static_selectorELNS0_4arch9wavefront6targetE0EEEvT1_, .Lfunc_end619-_ZN7rocprim17ROCPRIM_400000_NS6detail17trampoline_kernelINS0_14default_configENS1_35adjacent_difference_config_selectorILb1EfEEZNS1_24adjacent_difference_implIS3_Lb1ELb0EPKfPfN6thrust23THRUST_200600_302600_NS4plusIfEEEE10hipError_tPvRmT2_T3_mT4_P12ihipStream_tbEUlT_E_NS1_11comp_targetILNS1_3genE3ELNS1_11target_archE908ELNS1_3gpuE7ELNS1_3repE0EEENS1_30default_config_static_selectorELNS0_4arch9wavefront6targetE0EEEvT1_
                                        ; -- End function
	.section	.AMDGPU.csdata,"",@progbits
; Kernel info:
; codeLenInByte = 0
; NumSgprs: 0
; NumVgprs: 0
; ScratchSize: 0
; MemoryBound: 0
; FloatMode: 240
; IeeeMode: 1
; LDSByteSize: 0 bytes/workgroup (compile time only)
; SGPRBlocks: 0
; VGPRBlocks: 0
; NumSGPRsForWavesPerEU: 1
; NumVGPRsForWavesPerEU: 1
; Occupancy: 16
; WaveLimiterHint : 0
; COMPUTE_PGM_RSRC2:SCRATCH_EN: 0
; COMPUTE_PGM_RSRC2:USER_SGPR: 15
; COMPUTE_PGM_RSRC2:TRAP_HANDLER: 0
; COMPUTE_PGM_RSRC2:TGID_X_EN: 1
; COMPUTE_PGM_RSRC2:TGID_Y_EN: 0
; COMPUTE_PGM_RSRC2:TGID_Z_EN: 0
; COMPUTE_PGM_RSRC2:TIDIG_COMP_CNT: 0
	.section	.text._ZN7rocprim17ROCPRIM_400000_NS6detail17trampoline_kernelINS0_14default_configENS1_35adjacent_difference_config_selectorILb1EfEEZNS1_24adjacent_difference_implIS3_Lb1ELb0EPKfPfN6thrust23THRUST_200600_302600_NS4plusIfEEEE10hipError_tPvRmT2_T3_mT4_P12ihipStream_tbEUlT_E_NS1_11comp_targetILNS1_3genE2ELNS1_11target_archE906ELNS1_3gpuE6ELNS1_3repE0EEENS1_30default_config_static_selectorELNS0_4arch9wavefront6targetE0EEEvT1_,"axG",@progbits,_ZN7rocprim17ROCPRIM_400000_NS6detail17trampoline_kernelINS0_14default_configENS1_35adjacent_difference_config_selectorILb1EfEEZNS1_24adjacent_difference_implIS3_Lb1ELb0EPKfPfN6thrust23THRUST_200600_302600_NS4plusIfEEEE10hipError_tPvRmT2_T3_mT4_P12ihipStream_tbEUlT_E_NS1_11comp_targetILNS1_3genE2ELNS1_11target_archE906ELNS1_3gpuE6ELNS1_3repE0EEENS1_30default_config_static_selectorELNS0_4arch9wavefront6targetE0EEEvT1_,comdat
	.protected	_ZN7rocprim17ROCPRIM_400000_NS6detail17trampoline_kernelINS0_14default_configENS1_35adjacent_difference_config_selectorILb1EfEEZNS1_24adjacent_difference_implIS3_Lb1ELb0EPKfPfN6thrust23THRUST_200600_302600_NS4plusIfEEEE10hipError_tPvRmT2_T3_mT4_P12ihipStream_tbEUlT_E_NS1_11comp_targetILNS1_3genE2ELNS1_11target_archE906ELNS1_3gpuE6ELNS1_3repE0EEENS1_30default_config_static_selectorELNS0_4arch9wavefront6targetE0EEEvT1_ ; -- Begin function _ZN7rocprim17ROCPRIM_400000_NS6detail17trampoline_kernelINS0_14default_configENS1_35adjacent_difference_config_selectorILb1EfEEZNS1_24adjacent_difference_implIS3_Lb1ELb0EPKfPfN6thrust23THRUST_200600_302600_NS4plusIfEEEE10hipError_tPvRmT2_T3_mT4_P12ihipStream_tbEUlT_E_NS1_11comp_targetILNS1_3genE2ELNS1_11target_archE906ELNS1_3gpuE6ELNS1_3repE0EEENS1_30default_config_static_selectorELNS0_4arch9wavefront6targetE0EEEvT1_
	.globl	_ZN7rocprim17ROCPRIM_400000_NS6detail17trampoline_kernelINS0_14default_configENS1_35adjacent_difference_config_selectorILb1EfEEZNS1_24adjacent_difference_implIS3_Lb1ELb0EPKfPfN6thrust23THRUST_200600_302600_NS4plusIfEEEE10hipError_tPvRmT2_T3_mT4_P12ihipStream_tbEUlT_E_NS1_11comp_targetILNS1_3genE2ELNS1_11target_archE906ELNS1_3gpuE6ELNS1_3repE0EEENS1_30default_config_static_selectorELNS0_4arch9wavefront6targetE0EEEvT1_
	.p2align	8
	.type	_ZN7rocprim17ROCPRIM_400000_NS6detail17trampoline_kernelINS0_14default_configENS1_35adjacent_difference_config_selectorILb1EfEEZNS1_24adjacent_difference_implIS3_Lb1ELb0EPKfPfN6thrust23THRUST_200600_302600_NS4plusIfEEEE10hipError_tPvRmT2_T3_mT4_P12ihipStream_tbEUlT_E_NS1_11comp_targetILNS1_3genE2ELNS1_11target_archE906ELNS1_3gpuE6ELNS1_3repE0EEENS1_30default_config_static_selectorELNS0_4arch9wavefront6targetE0EEEvT1_,@function
_ZN7rocprim17ROCPRIM_400000_NS6detail17trampoline_kernelINS0_14default_configENS1_35adjacent_difference_config_selectorILb1EfEEZNS1_24adjacent_difference_implIS3_Lb1ELb0EPKfPfN6thrust23THRUST_200600_302600_NS4plusIfEEEE10hipError_tPvRmT2_T3_mT4_P12ihipStream_tbEUlT_E_NS1_11comp_targetILNS1_3genE2ELNS1_11target_archE906ELNS1_3gpuE6ELNS1_3repE0EEENS1_30default_config_static_selectorELNS0_4arch9wavefront6targetE0EEEvT1_: ; @_ZN7rocprim17ROCPRIM_400000_NS6detail17trampoline_kernelINS0_14default_configENS1_35adjacent_difference_config_selectorILb1EfEEZNS1_24adjacent_difference_implIS3_Lb1ELb0EPKfPfN6thrust23THRUST_200600_302600_NS4plusIfEEEE10hipError_tPvRmT2_T3_mT4_P12ihipStream_tbEUlT_E_NS1_11comp_targetILNS1_3genE2ELNS1_11target_archE906ELNS1_3gpuE6ELNS1_3repE0EEENS1_30default_config_static_selectorELNS0_4arch9wavefront6targetE0EEEvT1_
; %bb.0:
	.section	.rodata,"a",@progbits
	.p2align	6, 0x0
	.amdhsa_kernel _ZN7rocprim17ROCPRIM_400000_NS6detail17trampoline_kernelINS0_14default_configENS1_35adjacent_difference_config_selectorILb1EfEEZNS1_24adjacent_difference_implIS3_Lb1ELb0EPKfPfN6thrust23THRUST_200600_302600_NS4plusIfEEEE10hipError_tPvRmT2_T3_mT4_P12ihipStream_tbEUlT_E_NS1_11comp_targetILNS1_3genE2ELNS1_11target_archE906ELNS1_3gpuE6ELNS1_3repE0EEENS1_30default_config_static_selectorELNS0_4arch9wavefront6targetE0EEEvT1_
		.amdhsa_group_segment_fixed_size 0
		.amdhsa_private_segment_fixed_size 0
		.amdhsa_kernarg_size 56
		.amdhsa_user_sgpr_count 15
		.amdhsa_user_sgpr_dispatch_ptr 0
		.amdhsa_user_sgpr_queue_ptr 0
		.amdhsa_user_sgpr_kernarg_segment_ptr 1
		.amdhsa_user_sgpr_dispatch_id 0
		.amdhsa_user_sgpr_private_segment_size 0
		.amdhsa_wavefront_size32 1
		.amdhsa_uses_dynamic_stack 0
		.amdhsa_enable_private_segment 0
		.amdhsa_system_sgpr_workgroup_id_x 1
		.amdhsa_system_sgpr_workgroup_id_y 0
		.amdhsa_system_sgpr_workgroup_id_z 0
		.amdhsa_system_sgpr_workgroup_info 0
		.amdhsa_system_vgpr_workitem_id 0
		.amdhsa_next_free_vgpr 1
		.amdhsa_next_free_sgpr 1
		.amdhsa_reserve_vcc 0
		.amdhsa_float_round_mode_32 0
		.amdhsa_float_round_mode_16_64 0
		.amdhsa_float_denorm_mode_32 3
		.amdhsa_float_denorm_mode_16_64 3
		.amdhsa_dx10_clamp 1
		.amdhsa_ieee_mode 1
		.amdhsa_fp16_overflow 0
		.amdhsa_workgroup_processor_mode 1
		.amdhsa_memory_ordered 1
		.amdhsa_forward_progress 0
		.amdhsa_shared_vgpr_count 0
		.amdhsa_exception_fp_ieee_invalid_op 0
		.amdhsa_exception_fp_denorm_src 0
		.amdhsa_exception_fp_ieee_div_zero 0
		.amdhsa_exception_fp_ieee_overflow 0
		.amdhsa_exception_fp_ieee_underflow 0
		.amdhsa_exception_fp_ieee_inexact 0
		.amdhsa_exception_int_div_zero 0
	.end_amdhsa_kernel
	.section	.text._ZN7rocprim17ROCPRIM_400000_NS6detail17trampoline_kernelINS0_14default_configENS1_35adjacent_difference_config_selectorILb1EfEEZNS1_24adjacent_difference_implIS3_Lb1ELb0EPKfPfN6thrust23THRUST_200600_302600_NS4plusIfEEEE10hipError_tPvRmT2_T3_mT4_P12ihipStream_tbEUlT_E_NS1_11comp_targetILNS1_3genE2ELNS1_11target_archE906ELNS1_3gpuE6ELNS1_3repE0EEENS1_30default_config_static_selectorELNS0_4arch9wavefront6targetE0EEEvT1_,"axG",@progbits,_ZN7rocprim17ROCPRIM_400000_NS6detail17trampoline_kernelINS0_14default_configENS1_35adjacent_difference_config_selectorILb1EfEEZNS1_24adjacent_difference_implIS3_Lb1ELb0EPKfPfN6thrust23THRUST_200600_302600_NS4plusIfEEEE10hipError_tPvRmT2_T3_mT4_P12ihipStream_tbEUlT_E_NS1_11comp_targetILNS1_3genE2ELNS1_11target_archE906ELNS1_3gpuE6ELNS1_3repE0EEENS1_30default_config_static_selectorELNS0_4arch9wavefront6targetE0EEEvT1_,comdat
.Lfunc_end620:
	.size	_ZN7rocprim17ROCPRIM_400000_NS6detail17trampoline_kernelINS0_14default_configENS1_35adjacent_difference_config_selectorILb1EfEEZNS1_24adjacent_difference_implIS3_Lb1ELb0EPKfPfN6thrust23THRUST_200600_302600_NS4plusIfEEEE10hipError_tPvRmT2_T3_mT4_P12ihipStream_tbEUlT_E_NS1_11comp_targetILNS1_3genE2ELNS1_11target_archE906ELNS1_3gpuE6ELNS1_3repE0EEENS1_30default_config_static_selectorELNS0_4arch9wavefront6targetE0EEEvT1_, .Lfunc_end620-_ZN7rocprim17ROCPRIM_400000_NS6detail17trampoline_kernelINS0_14default_configENS1_35adjacent_difference_config_selectorILb1EfEEZNS1_24adjacent_difference_implIS3_Lb1ELb0EPKfPfN6thrust23THRUST_200600_302600_NS4plusIfEEEE10hipError_tPvRmT2_T3_mT4_P12ihipStream_tbEUlT_E_NS1_11comp_targetILNS1_3genE2ELNS1_11target_archE906ELNS1_3gpuE6ELNS1_3repE0EEENS1_30default_config_static_selectorELNS0_4arch9wavefront6targetE0EEEvT1_
                                        ; -- End function
	.section	.AMDGPU.csdata,"",@progbits
; Kernel info:
; codeLenInByte = 0
; NumSgprs: 0
; NumVgprs: 0
; ScratchSize: 0
; MemoryBound: 0
; FloatMode: 240
; IeeeMode: 1
; LDSByteSize: 0 bytes/workgroup (compile time only)
; SGPRBlocks: 0
; VGPRBlocks: 0
; NumSGPRsForWavesPerEU: 1
; NumVGPRsForWavesPerEU: 1
; Occupancy: 16
; WaveLimiterHint : 0
; COMPUTE_PGM_RSRC2:SCRATCH_EN: 0
; COMPUTE_PGM_RSRC2:USER_SGPR: 15
; COMPUTE_PGM_RSRC2:TRAP_HANDLER: 0
; COMPUTE_PGM_RSRC2:TGID_X_EN: 1
; COMPUTE_PGM_RSRC2:TGID_Y_EN: 0
; COMPUTE_PGM_RSRC2:TGID_Z_EN: 0
; COMPUTE_PGM_RSRC2:TIDIG_COMP_CNT: 0
	.section	.text._ZN7rocprim17ROCPRIM_400000_NS6detail17trampoline_kernelINS0_14default_configENS1_35adjacent_difference_config_selectorILb1EfEEZNS1_24adjacent_difference_implIS3_Lb1ELb0EPKfPfN6thrust23THRUST_200600_302600_NS4plusIfEEEE10hipError_tPvRmT2_T3_mT4_P12ihipStream_tbEUlT_E_NS1_11comp_targetILNS1_3genE9ELNS1_11target_archE1100ELNS1_3gpuE3ELNS1_3repE0EEENS1_30default_config_static_selectorELNS0_4arch9wavefront6targetE0EEEvT1_,"axG",@progbits,_ZN7rocprim17ROCPRIM_400000_NS6detail17trampoline_kernelINS0_14default_configENS1_35adjacent_difference_config_selectorILb1EfEEZNS1_24adjacent_difference_implIS3_Lb1ELb0EPKfPfN6thrust23THRUST_200600_302600_NS4plusIfEEEE10hipError_tPvRmT2_T3_mT4_P12ihipStream_tbEUlT_E_NS1_11comp_targetILNS1_3genE9ELNS1_11target_archE1100ELNS1_3gpuE3ELNS1_3repE0EEENS1_30default_config_static_selectorELNS0_4arch9wavefront6targetE0EEEvT1_,comdat
	.protected	_ZN7rocprim17ROCPRIM_400000_NS6detail17trampoline_kernelINS0_14default_configENS1_35adjacent_difference_config_selectorILb1EfEEZNS1_24adjacent_difference_implIS3_Lb1ELb0EPKfPfN6thrust23THRUST_200600_302600_NS4plusIfEEEE10hipError_tPvRmT2_T3_mT4_P12ihipStream_tbEUlT_E_NS1_11comp_targetILNS1_3genE9ELNS1_11target_archE1100ELNS1_3gpuE3ELNS1_3repE0EEENS1_30default_config_static_selectorELNS0_4arch9wavefront6targetE0EEEvT1_ ; -- Begin function _ZN7rocprim17ROCPRIM_400000_NS6detail17trampoline_kernelINS0_14default_configENS1_35adjacent_difference_config_selectorILb1EfEEZNS1_24adjacent_difference_implIS3_Lb1ELb0EPKfPfN6thrust23THRUST_200600_302600_NS4plusIfEEEE10hipError_tPvRmT2_T3_mT4_P12ihipStream_tbEUlT_E_NS1_11comp_targetILNS1_3genE9ELNS1_11target_archE1100ELNS1_3gpuE3ELNS1_3repE0EEENS1_30default_config_static_selectorELNS0_4arch9wavefront6targetE0EEEvT1_
	.globl	_ZN7rocprim17ROCPRIM_400000_NS6detail17trampoline_kernelINS0_14default_configENS1_35adjacent_difference_config_selectorILb1EfEEZNS1_24adjacent_difference_implIS3_Lb1ELb0EPKfPfN6thrust23THRUST_200600_302600_NS4plusIfEEEE10hipError_tPvRmT2_T3_mT4_P12ihipStream_tbEUlT_E_NS1_11comp_targetILNS1_3genE9ELNS1_11target_archE1100ELNS1_3gpuE3ELNS1_3repE0EEENS1_30default_config_static_selectorELNS0_4arch9wavefront6targetE0EEEvT1_
	.p2align	8
	.type	_ZN7rocprim17ROCPRIM_400000_NS6detail17trampoline_kernelINS0_14default_configENS1_35adjacent_difference_config_selectorILb1EfEEZNS1_24adjacent_difference_implIS3_Lb1ELb0EPKfPfN6thrust23THRUST_200600_302600_NS4plusIfEEEE10hipError_tPvRmT2_T3_mT4_P12ihipStream_tbEUlT_E_NS1_11comp_targetILNS1_3genE9ELNS1_11target_archE1100ELNS1_3gpuE3ELNS1_3repE0EEENS1_30default_config_static_selectorELNS0_4arch9wavefront6targetE0EEEvT1_,@function
_ZN7rocprim17ROCPRIM_400000_NS6detail17trampoline_kernelINS0_14default_configENS1_35adjacent_difference_config_selectorILb1EfEEZNS1_24adjacent_difference_implIS3_Lb1ELb0EPKfPfN6thrust23THRUST_200600_302600_NS4plusIfEEEE10hipError_tPvRmT2_T3_mT4_P12ihipStream_tbEUlT_E_NS1_11comp_targetILNS1_3genE9ELNS1_11target_archE1100ELNS1_3gpuE3ELNS1_3repE0EEENS1_30default_config_static_selectorELNS0_4arch9wavefront6targetE0EEEvT1_: ; @_ZN7rocprim17ROCPRIM_400000_NS6detail17trampoline_kernelINS0_14default_configENS1_35adjacent_difference_config_selectorILb1EfEEZNS1_24adjacent_difference_implIS3_Lb1ELb0EPKfPfN6thrust23THRUST_200600_302600_NS4plusIfEEEE10hipError_tPvRmT2_T3_mT4_P12ihipStream_tbEUlT_E_NS1_11comp_targetILNS1_3genE9ELNS1_11target_archE1100ELNS1_3gpuE3ELNS1_3repE0EEENS1_30default_config_static_selectorELNS0_4arch9wavefront6targetE0EEEvT1_
; %bb.0:
	s_load_b256 s[36:43], s[0:1], 0x0
	s_mov_b32 s2, 0x411a7a30
	s_mov_b32 s8, s15
	s_delay_alu instid0(SALU_CYCLE_1) | instskip(SKIP_2) | instid1(SALU_CYCLE_1)
	s_mul_i32 s30, s8, 0xe80
	s_waitcnt lgkmcnt(0)
	s_lshl_b64 s[34:35], s[38:39], 2
	s_add_u32 s14, s36, s34
	s_addc_u32 s15, s37, s35
	s_add_u32 s2, 0x76, s2
	s_addc_u32 s3, 0, 0
	v_add_co_u32 v1, s2, 0x20000000, s2
	s_delay_alu instid0(VALU_DEP_1) | instskip(SKIP_1) | instid1(VALU_DEP_1)
	s_cmp_lg_u32 s2, 0
	s_addc_u32 s3, s3, 0x11a7b9
	v_readfirstlane_b32 s2, v1
	s_mul_i32 s4, s3, 0xfffff180
	s_delay_alu instid0(VALU_DEP_1)
	s_mul_hi_u32 s5, s2, 0xfffff180
	s_mul_i32 s6, s2, 0xfffff180
	s_sub_i32 s5, s5, s2
	s_mul_hi_u32 s7, s2, s6
	s_add_i32 s5, s5, s4
	s_mul_hi_u32 s9, s3, s6
	s_mul_i32 s4, s3, s6
	s_mul_hi_u32 s6, s2, s5
	s_mul_i32 s2, s2, s5
	s_mul_hi_u32 s10, s3, s5
	s_add_u32 s2, s7, s2
	s_addc_u32 s6, 0, s6
	s_add_u32 s2, s2, s4
	s_mul_i32 s5, s3, s5
	s_addc_u32 s2, s6, s9
	s_addc_u32 s4, s10, 0
	s_add_u32 s2, s2, s5
	s_addc_u32 s4, 0, s4
	v_add_co_u32 v1, s2, v1, s2
	s_delay_alu instid0(VALU_DEP_1) | instskip(SKIP_1) | instid1(VALU_DEP_1)
	s_cmp_lg_u32 s2, 0
	s_addc_u32 s2, s3, s4
	v_readfirstlane_b32 s3, v1
	s_mul_i32 s5, s42, s2
	s_mul_hi_u32 s4, s42, s2
	s_mul_hi_u32 s6, s43, s2
	s_mul_i32 s2, s43, s2
	s_mul_hi_u32 s7, s42, s3
	s_mul_hi_u32 s9, s43, s3
	s_mul_i32 s3, s43, s3
	s_add_u32 s5, s7, s5
	s_addc_u32 s4, 0, s4
	s_add_u32 s3, s5, s3
	s_addc_u32 s3, s4, s9
	s_addc_u32 s4, s6, 0
	s_add_u32 s5, s3, s2
	s_addc_u32 s4, 0, s4
	s_mul_i32 s3, s5, 0xe80
	s_add_u32 s2, s5, 1
	v_sub_co_u32 v1, s3, s42, s3
	s_mul_hi_u32 s6, s5, 0xe80
	s_addc_u32 s7, s4, 0
	s_mul_i32 s9, s4, 0xe80
	s_delay_alu instid0(VALU_DEP_1)
	v_subrev_co_u32 v2, s10, 0xe80, v1
	s_add_u32 s11, s5, 2
	s_addc_u32 s12, s4, 0
	s_add_i32 s6, s6, s9
	s_cmp_lg_u32 s3, 0
	v_readfirstlane_b32 s3, v2
	s_subb_u32 s6, s43, s6
	s_cmp_lg_u32 s10, 0
	s_subb_u32 s9, s6, 0
	s_delay_alu instid0(VALU_DEP_1) | instskip(SKIP_4) | instid1(SALU_CYCLE_1)
	s_cmpk_gt_u32 s3, 0xe7f
	s_cselect_b32 s3, -1, 0
	s_cmp_eq_u32 s9, 0
	v_readfirstlane_b32 s9, v1
	s_cselect_b32 s3, s3, -1
	s_cmp_lg_u32 s3, 0
	s_cselect_b32 s10, s11, s2
	s_cselect_b32 s7, s12, s7
	s_cmpk_gt_u32 s9, 0xe7f
	s_mov_b32 s12, -1
	s_cselect_b32 s2, -1, 0
	s_cmp_eq_u32 s6, 0
	s_cselect_b32 s2, s2, -1
	s_delay_alu instid0(SALU_CYCLE_1)
	s_cmp_lg_u32 s2, 0
	s_load_b128 s[0:3], s[0:1], 0x28
	s_cselect_b32 s6, s7, s4
	s_cselect_b32 s7, s10, s5
	s_mul_i32 s4, s6, 0xe80
	s_mul_hi_u32 s5, s7, 0xe80
	s_mul_i32 s9, s7, 0xe80
	s_add_i32 s5, s5, s4
	s_sub_u32 s4, s42, s9
	s_subb_u32 s5, s43, s5
	s_mov_b32 s9, 0
	s_cmp_lg_u64 s[4:5], 0
	s_cselect_b32 s4, -1, 0
	s_delay_alu instid0(SALU_CYCLE_1) | instskip(NEXT) | instid1(VALU_DEP_1)
	v_cndmask_b32_e64 v1, 0, 1, s4
	v_readfirstlane_b32 s4, v1
	s_delay_alu instid0(VALU_DEP_1)
	s_add_u32 s4, s7, s4
	s_addc_u32 s5, s6, 0
	s_waitcnt lgkmcnt(0)
	s_add_u32 s6, s2, s8
	s_addc_u32 s7, s3, 0
	s_add_u32 s10, s4, -1
	s_addc_u32 s11, s5, -1
	s_mul_i32 s29, s10, 0xfffff180
	v_cmp_ge_u64_e64 s33, s[6:7], s[10:11]
	s_delay_alu instid0(VALU_DEP_1)
	s_and_b32 vcc_lo, exec_lo, s33
	s_cbranch_vccz .LBB621_60
; %bb.1:
	s_mov_b32 s31, s9
	s_add_i32 s16, s29, s42
	s_lshl_b64 s[12:13], s[30:31], 2
	s_mov_b32 s17, exec_lo
	s_add_u32 s12, s14, s12
	s_addc_u32 s13, s15, s13
                                        ; implicit-def: $vgpr1
	v_cmpx_gt_u32_e64 s16, v0
	s_cbranch_execz .LBB621_3
; %bb.2:
	v_lshlrev_b32_e32 v1, 2, v0
	global_load_b32 v1, v1, s[12:13]
.LBB621_3:
	s_or_b32 exec_lo, exec_lo, s17
	v_or_b32_e32 v2, 0x80, v0
	s_delay_alu instid0(VALU_DEP_1)
	v_cmp_gt_u32_e32 vcc_lo, s16, v2
                                        ; implicit-def: $vgpr2
	s_and_saveexec_b32 s17, vcc_lo
	s_cbranch_execz .LBB621_5
; %bb.4:
	v_lshlrev_b32_e32 v2, 2, v0
	global_load_b32 v2, v2, s[12:13] offset:512
.LBB621_5:
	s_or_b32 exec_lo, exec_lo, s17
	v_or_b32_e32 v3, 0x100, v0
	s_delay_alu instid0(VALU_DEP_1)
	v_cmp_gt_u32_e32 vcc_lo, s16, v3
                                        ; implicit-def: $vgpr3
	s_and_saveexec_b32 s17, vcc_lo
	s_cbranch_execz .LBB621_7
; %bb.6:
	v_lshlrev_b32_e32 v3, 2, v0
	global_load_b32 v3, v3, s[12:13] offset:1024
.LBB621_7:
	s_or_b32 exec_lo, exec_lo, s17
	v_or_b32_e32 v4, 0x180, v0
	s_delay_alu instid0(VALU_DEP_1)
	v_cmp_gt_u32_e32 vcc_lo, s16, v4
                                        ; implicit-def: $vgpr4
	s_and_saveexec_b32 s17, vcc_lo
	s_cbranch_execz .LBB621_9
; %bb.8:
	v_lshlrev_b32_e32 v4, 2, v0
	global_load_b32 v4, v4, s[12:13] offset:1536
.LBB621_9:
	s_or_b32 exec_lo, exec_lo, s17
	v_or_b32_e32 v5, 0x200, v0
	s_delay_alu instid0(VALU_DEP_1)
	v_cmp_gt_u32_e32 vcc_lo, s16, v5
                                        ; implicit-def: $vgpr5
	s_and_saveexec_b32 s17, vcc_lo
	s_cbranch_execz .LBB621_11
; %bb.10:
	v_lshlrev_b32_e32 v5, 2, v0
	global_load_b32 v5, v5, s[12:13] offset:2048
.LBB621_11:
	s_or_b32 exec_lo, exec_lo, s17
	v_or_b32_e32 v6, 0x280, v0
	s_delay_alu instid0(VALU_DEP_1)
	v_cmp_gt_u32_e32 vcc_lo, s16, v6
                                        ; implicit-def: $vgpr6
	s_and_saveexec_b32 s17, vcc_lo
	s_cbranch_execz .LBB621_13
; %bb.12:
	v_lshlrev_b32_e32 v6, 2, v0
	global_load_b32 v6, v6, s[12:13] offset:2560
.LBB621_13:
	s_or_b32 exec_lo, exec_lo, s17
	v_or_b32_e32 v7, 0x300, v0
	s_delay_alu instid0(VALU_DEP_1)
	v_cmp_gt_u32_e32 vcc_lo, s16, v7
                                        ; implicit-def: $vgpr7
	s_and_saveexec_b32 s17, vcc_lo
	s_cbranch_execz .LBB621_15
; %bb.14:
	v_lshlrev_b32_e32 v7, 2, v0
	global_load_b32 v7, v7, s[12:13] offset:3072
.LBB621_15:
	s_or_b32 exec_lo, exec_lo, s17
	v_or_b32_e32 v8, 0x380, v0
	s_delay_alu instid0(VALU_DEP_1)
	v_cmp_gt_u32_e32 vcc_lo, s16, v8
                                        ; implicit-def: $vgpr8
	s_and_saveexec_b32 s17, vcc_lo
	s_cbranch_execz .LBB621_17
; %bb.16:
	v_lshlrev_b32_e32 v8, 2, v0
	global_load_b32 v8, v8, s[12:13] offset:3584
.LBB621_17:
	s_or_b32 exec_lo, exec_lo, s17
	v_or_b32_e32 v10, 0x400, v0
	s_mov_b32 s17, exec_lo
                                        ; implicit-def: $vgpr9
	s_delay_alu instid0(VALU_DEP_1)
	v_cmpx_gt_u32_e64 s16, v10
	s_cbranch_execz .LBB621_19
; %bb.18:
	v_lshlrev_b32_e32 v9, 2, v10
	global_load_b32 v9, v9, s[12:13]
.LBB621_19:
	s_or_b32 exec_lo, exec_lo, s17
	v_or_b32_e32 v11, 0x480, v0
	s_mov_b32 s17, exec_lo
                                        ; implicit-def: $vgpr10
	s_delay_alu instid0(VALU_DEP_1)
	v_cmpx_gt_u32_e64 s16, v11
	s_cbranch_execz .LBB621_21
; %bb.20:
	v_lshlrev_b32_e32 v10, 2, v11
	global_load_b32 v10, v10, s[12:13]
.LBB621_21:
	s_or_b32 exec_lo, exec_lo, s17
	v_or_b32_e32 v12, 0x500, v0
	s_mov_b32 s17, exec_lo
                                        ; implicit-def: $vgpr11
	s_delay_alu instid0(VALU_DEP_1)
	v_cmpx_gt_u32_e64 s16, v12
	s_cbranch_execz .LBB621_23
; %bb.22:
	v_lshlrev_b32_e32 v11, 2, v12
	global_load_b32 v11, v11, s[12:13]
.LBB621_23:
	s_or_b32 exec_lo, exec_lo, s17
	v_or_b32_e32 v13, 0x580, v0
	s_mov_b32 s17, exec_lo
                                        ; implicit-def: $vgpr12
	s_delay_alu instid0(VALU_DEP_1)
	v_cmpx_gt_u32_e64 s16, v13
	s_cbranch_execz .LBB621_25
; %bb.24:
	v_lshlrev_b32_e32 v12, 2, v13
	global_load_b32 v12, v12, s[12:13]
.LBB621_25:
	s_or_b32 exec_lo, exec_lo, s17
	v_or_b32_e32 v14, 0x600, v0
	s_mov_b32 s17, exec_lo
                                        ; implicit-def: $vgpr13
	s_delay_alu instid0(VALU_DEP_1)
	v_cmpx_gt_u32_e64 s16, v14
	s_cbranch_execz .LBB621_27
; %bb.26:
	v_lshlrev_b32_e32 v13, 2, v14
	global_load_b32 v13, v13, s[12:13]
.LBB621_27:
	s_or_b32 exec_lo, exec_lo, s17
	v_or_b32_e32 v15, 0x680, v0
	s_mov_b32 s17, exec_lo
                                        ; implicit-def: $vgpr14
	s_delay_alu instid0(VALU_DEP_1)
	v_cmpx_gt_u32_e64 s16, v15
	s_cbranch_execz .LBB621_29
; %bb.28:
	v_lshlrev_b32_e32 v14, 2, v15
	global_load_b32 v14, v14, s[12:13]
.LBB621_29:
	s_or_b32 exec_lo, exec_lo, s17
	v_or_b32_e32 v16, 0x700, v0
	s_mov_b32 s17, exec_lo
                                        ; implicit-def: $vgpr15
	s_delay_alu instid0(VALU_DEP_1)
	v_cmpx_gt_u32_e64 s16, v16
	s_cbranch_execz .LBB621_31
; %bb.30:
	v_lshlrev_b32_e32 v15, 2, v16
	global_load_b32 v15, v15, s[12:13]
.LBB621_31:
	s_or_b32 exec_lo, exec_lo, s17
	v_or_b32_e32 v17, 0x780, v0
	s_mov_b32 s17, exec_lo
                                        ; implicit-def: $vgpr16
	s_delay_alu instid0(VALU_DEP_1)
	v_cmpx_gt_u32_e64 s16, v17
	s_cbranch_execz .LBB621_33
; %bb.32:
	v_lshlrev_b32_e32 v16, 2, v17
	global_load_b32 v16, v16, s[12:13]
.LBB621_33:
	s_or_b32 exec_lo, exec_lo, s17
	v_or_b32_e32 v18, 0x800, v0
	s_mov_b32 s17, exec_lo
                                        ; implicit-def: $vgpr17
	s_delay_alu instid0(VALU_DEP_1)
	v_cmpx_gt_u32_e64 s16, v18
	s_cbranch_execz .LBB621_35
; %bb.34:
	v_lshlrev_b32_e32 v17, 2, v18
	global_load_b32 v17, v17, s[12:13]
.LBB621_35:
	s_or_b32 exec_lo, exec_lo, s17
	v_or_b32_e32 v19, 0x880, v0
	s_mov_b32 s17, exec_lo
                                        ; implicit-def: $vgpr18
	s_delay_alu instid0(VALU_DEP_1)
	v_cmpx_gt_u32_e64 s16, v19
	s_cbranch_execz .LBB621_37
; %bb.36:
	v_lshlrev_b32_e32 v18, 2, v19
	global_load_b32 v18, v18, s[12:13]
.LBB621_37:
	s_or_b32 exec_lo, exec_lo, s17
	v_or_b32_e32 v20, 0x900, v0
	s_mov_b32 s17, exec_lo
                                        ; implicit-def: $vgpr19
	s_delay_alu instid0(VALU_DEP_1)
	v_cmpx_gt_u32_e64 s16, v20
	s_cbranch_execz .LBB621_39
; %bb.38:
	v_lshlrev_b32_e32 v19, 2, v20
	global_load_b32 v19, v19, s[12:13]
.LBB621_39:
	s_or_b32 exec_lo, exec_lo, s17
	v_or_b32_e32 v21, 0x980, v0
	s_mov_b32 s17, exec_lo
                                        ; implicit-def: $vgpr20
	s_delay_alu instid0(VALU_DEP_1)
	v_cmpx_gt_u32_e64 s16, v21
	s_cbranch_execz .LBB621_41
; %bb.40:
	v_lshlrev_b32_e32 v20, 2, v21
	global_load_b32 v20, v20, s[12:13]
.LBB621_41:
	s_or_b32 exec_lo, exec_lo, s17
	v_or_b32_e32 v22, 0xa00, v0
	s_mov_b32 s17, exec_lo
                                        ; implicit-def: $vgpr21
	s_delay_alu instid0(VALU_DEP_1)
	v_cmpx_gt_u32_e64 s16, v22
	s_cbranch_execz .LBB621_43
; %bb.42:
	v_lshlrev_b32_e32 v21, 2, v22
	global_load_b32 v21, v21, s[12:13]
.LBB621_43:
	s_or_b32 exec_lo, exec_lo, s17
	v_or_b32_e32 v23, 0xa80, v0
	s_mov_b32 s17, exec_lo
                                        ; implicit-def: $vgpr22
	s_delay_alu instid0(VALU_DEP_1)
	v_cmpx_gt_u32_e64 s16, v23
	s_cbranch_execz .LBB621_45
; %bb.44:
	v_lshlrev_b32_e32 v22, 2, v23
	global_load_b32 v22, v22, s[12:13]
.LBB621_45:
	s_or_b32 exec_lo, exec_lo, s17
	v_or_b32_e32 v24, 0xb00, v0
	s_mov_b32 s17, exec_lo
                                        ; implicit-def: $vgpr23
	s_delay_alu instid0(VALU_DEP_1)
	v_cmpx_gt_u32_e64 s16, v24
	s_cbranch_execz .LBB621_47
; %bb.46:
	v_lshlrev_b32_e32 v23, 2, v24
	global_load_b32 v23, v23, s[12:13]
.LBB621_47:
	s_or_b32 exec_lo, exec_lo, s17
	v_or_b32_e32 v25, 0xb80, v0
	s_mov_b32 s17, exec_lo
                                        ; implicit-def: $vgpr24
	s_delay_alu instid0(VALU_DEP_1)
	v_cmpx_gt_u32_e64 s16, v25
	s_cbranch_execz .LBB621_49
; %bb.48:
	v_lshlrev_b32_e32 v24, 2, v25
	global_load_b32 v24, v24, s[12:13]
.LBB621_49:
	s_or_b32 exec_lo, exec_lo, s17
	v_or_b32_e32 v26, 0xc00, v0
	s_mov_b32 s17, exec_lo
                                        ; implicit-def: $vgpr25
	s_delay_alu instid0(VALU_DEP_1)
	v_cmpx_gt_u32_e64 s16, v26
	s_cbranch_execz .LBB621_51
; %bb.50:
	v_lshlrev_b32_e32 v25, 2, v26
	global_load_b32 v25, v25, s[12:13]
.LBB621_51:
	s_or_b32 exec_lo, exec_lo, s17
	v_or_b32_e32 v27, 0xc80, v0
	s_mov_b32 s17, exec_lo
                                        ; implicit-def: $vgpr26
	s_delay_alu instid0(VALU_DEP_1)
	v_cmpx_gt_u32_e64 s16, v27
	s_cbranch_execz .LBB621_53
; %bb.52:
	v_lshlrev_b32_e32 v26, 2, v27
	global_load_b32 v26, v26, s[12:13]
.LBB621_53:
	s_or_b32 exec_lo, exec_lo, s17
	v_or_b32_e32 v28, 0xd00, v0
	s_mov_b32 s17, exec_lo
                                        ; implicit-def: $vgpr27
	s_delay_alu instid0(VALU_DEP_1)
	v_cmpx_gt_u32_e64 s16, v28
	s_cbranch_execz .LBB621_55
; %bb.54:
	v_lshlrev_b32_e32 v27, 2, v28
	global_load_b32 v27, v27, s[12:13]
.LBB621_55:
	s_or_b32 exec_lo, exec_lo, s17
	v_or_b32_e32 v29, 0xd80, v0
	s_mov_b32 s17, exec_lo
                                        ; implicit-def: $vgpr28
	s_delay_alu instid0(VALU_DEP_1)
	v_cmpx_gt_u32_e64 s16, v29
	s_cbranch_execz .LBB621_57
; %bb.56:
	v_lshlrev_b32_e32 v28, 2, v29
	global_load_b32 v28, v28, s[12:13]
.LBB621_57:
	s_or_b32 exec_lo, exec_lo, s17
	v_or_b32_e32 v30, 0xe00, v0
                                        ; implicit-def: $vgpr29
	s_delay_alu instid0(VALU_DEP_1)
	v_cmp_gt_u32_e32 vcc_lo, s16, v30
	s_and_saveexec_b32 s16, vcc_lo
	s_cbranch_execz .LBB621_59
; %bb.58:
	v_lshlrev_b32_e32 v29, 2, v30
	global_load_b32 v29, v29, s[12:13]
.LBB621_59:
	s_or_b32 exec_lo, exec_lo, s16
	v_lshlrev_b32_e32 v30, 2, v0
	s_mov_b32 s12, 0
	s_waitcnt vmcnt(0)
	ds_store_2addr_stride64_b32 v30, v1, v2 offset1:2
	ds_store_2addr_stride64_b32 v30, v3, v4 offset0:4 offset1:6
	ds_store_2addr_stride64_b32 v30, v5, v6 offset0:8 offset1:10
	;; [unrolled: 1-line block ×13, first 2 shown]
	ds_store_b32 v30, v29 offset:14336
	s_waitcnt lgkmcnt(0)
	s_barrier
.LBB621_60:
	v_lshlrev_b32_e32 v31, 2, v0
	s_and_b32 vcc_lo, exec_lo, s12
	s_cbranch_vccz .LBB621_62
; %bb.61:
	s_mov_b32 s31, 0
	s_delay_alu instid0(SALU_CYCLE_1) | instskip(NEXT) | instid1(SALU_CYCLE_1)
	s_lshl_b64 s[12:13], s[30:31], 2
	s_add_u32 s12, s14, s12
	s_addc_u32 s13, s15, s13
	v_add_co_u32 v7, s14, s12, v31
	s_delay_alu instid0(VALU_DEP_1)
	v_add_co_ci_u32_e64 v8, null, s13, 0, s14
	s_clause 0x6
	global_load_b32 v9, v31, s[12:13] offset:512
	global_load_b32 v10, v31, s[12:13] offset:1024
	;; [unrolled: 1-line block ×7, first 2 shown]
	v_add_co_u32 v1, vcc_lo, v7, 0x2000
	v_add_co_ci_u32_e32 v2, vcc_lo, 0, v8, vcc_lo
	v_add_co_u32 v3, vcc_lo, 0x1000, v7
	v_add_co_ci_u32_e32 v4, vcc_lo, 0, v8, vcc_lo
	;; [unrolled: 2-line block ×3, first 2 shown]
	s_clause 0xa
	global_load_b32 v16, v[1:2], off offset:-4096
	global_load_b32 v17, v31, s[12:13]
	global_load_b32 v18, v[1:2], off
	global_load_b32 v19, v[3:4], off offset:512
	global_load_b32 v20, v[3:4], off offset:1024
	;; [unrolled: 1-line block ×8, first 2 shown]
	v_add_co_u32 v1, vcc_lo, 0x3000, v7
	v_add_co_ci_u32_e32 v2, vcc_lo, 0, v8, vcc_lo
	s_clause 0xa
	global_load_b32 v7, v[5:6], off offset:1024
	global_load_b32 v8, v[5:6], off offset:1536
	;; [unrolled: 1-line block ×6, first 2 shown]
	global_load_b32 v6, v[1:2], off
	global_load_b32 v28, v[1:2], off offset:512
	global_load_b32 v29, v[1:2], off offset:1024
	global_load_b32 v30, v[1:2], off offset:1536
	global_load_b32 v1, v[1:2], off offset:2048
	s_waitcnt vmcnt(20)
	ds_store_2addr_stride64_b32 v31, v17, v9 offset1:2
	ds_store_2addr_stride64_b32 v31, v10, v11 offset0:4 offset1:6
	ds_store_2addr_stride64_b32 v31, v12, v13 offset0:8 offset1:10
	;; [unrolled: 1-line block ×3, first 2 shown]
	s_waitcnt vmcnt(18)
	ds_store_2addr_stride64_b32 v31, v16, v19 offset0:16 offset1:18
	s_waitcnt vmcnt(16)
	ds_store_2addr_stride64_b32 v31, v20, v21 offset0:20 offset1:22
	;; [unrolled: 2-line block ×10, first 2 shown]
	s_waitcnt vmcnt(0)
	ds_store_b32 v31, v1 offset:14336
	s_waitcnt lgkmcnt(0)
	s_barrier
.LBB621_62:
	v_mul_u32_u24_e32 v1, 29, v0
	buffer_gl0_inv
	s_cmp_eq_u64 s[6:7], 0
	v_lshlrev_b32_e32 v27, 2, v1
	ds_load_b32 v29, v27 offset:112
	ds_load_2addr_b32 v[19:20], v27 offset0:26 offset1:27
	ds_load_2addr_b32 v[17:18], v27 offset0:24 offset1:25
	ds_load_2addr_b32 v[1:2], v27 offset1:1
	ds_load_2addr_b32 v[3:4], v27 offset0:2 offset1:3
	ds_load_2addr_b32 v[5:6], v27 offset0:4 offset1:5
	;; [unrolled: 1-line block ×11, first 2 shown]
	s_waitcnt lgkmcnt(0)
	s_barrier
	buffer_gl0_inv
	s_cbranch_scc1 .LBB621_67
; %bb.63:
	s_lshl_b64 s[2:3], s[2:3], 2
	s_delay_alu instid0(SALU_CYCLE_1) | instskip(SKIP_2) | instid1(SALU_CYCLE_1)
	s_add_u32 s2, s0, s2
	s_addc_u32 s3, s1, s3
	s_lshl_b64 s[0:1], s[8:9], 2
	s_add_u32 s0, s2, s0
	s_addc_u32 s1, s3, s1
	s_add_u32 s0, s0, -4
	s_addc_u32 s1, s1, -1
	s_cmp_eq_u64 s[6:7], s[10:11]
	s_load_b32 s0, s[0:1], 0x0
	s_cbranch_scc1 .LBB621_68
; %bb.64:
	s_waitcnt lgkmcnt(0)
	v_mov_b32_e32 v30, s0
	s_mov_b32 s1, 0
	s_mov_b32 s2, exec_lo
	ds_store_b32 v31, v29
	s_waitcnt lgkmcnt(0)
	s_barrier
	buffer_gl0_inv
	v_cmpx_ne_u32_e32 0, v0
	s_cbranch_execz .LBB621_66
; %bb.65:
	v_add_nc_u32_e32 v30, -4, v31
	ds_load_b32 v30, v30
.LBB621_66:
	s_or_b32 exec_lo, exec_lo, s2
	v_dual_add_f32 v32, v29, v20 :: v_dual_add_f32 v33, v20, v19
	v_dual_add_f32 v34, v19, v18 :: v_dual_add_f32 v35, v18, v17
	v_add_f32_e32 v36, v17, v28
	v_dual_add_f32 v37, v27, v28 :: v_dual_add_f32 v38, v26, v27
	v_dual_add_f32 v39, v25, v26 :: v_dual_add_f32 v40, v24, v25
	;; [unrolled: 1-line block ×11, first 2 shown]
	v_add_f32_e32 v59, v1, v2
	s_waitcnt lgkmcnt(0)
	v_add_f32_e32 v60, v1, v30
	s_and_b32 vcc_lo, exec_lo, s1
	s_cbranch_vccnz .LBB621_69
	s_branch .LBB621_72
.LBB621_67:
                                        ; implicit-def: $vgpr60
                                        ; implicit-def: $vgpr59
                                        ; implicit-def: $vgpr58
                                        ; implicit-def: $vgpr57
                                        ; implicit-def: $vgpr56
                                        ; implicit-def: $vgpr55
                                        ; implicit-def: $vgpr54
                                        ; implicit-def: $vgpr53
                                        ; implicit-def: $vgpr52
                                        ; implicit-def: $vgpr51
                                        ; implicit-def: $vgpr50
                                        ; implicit-def: $vgpr49
                                        ; implicit-def: $vgpr48
                                        ; implicit-def: $vgpr47
                                        ; implicit-def: $vgpr46
                                        ; implicit-def: $vgpr45
                                        ; implicit-def: $vgpr44
                                        ; implicit-def: $vgpr43
                                        ; implicit-def: $vgpr42
                                        ; implicit-def: $vgpr41
                                        ; implicit-def: $vgpr40
                                        ; implicit-def: $vgpr39
                                        ; implicit-def: $vgpr38
                                        ; implicit-def: $vgpr37
                                        ; implicit-def: $vgpr36
                                        ; implicit-def: $vgpr35
                                        ; implicit-def: $vgpr34
                                        ; implicit-def: $vgpr33
                                        ; implicit-def: $vgpr32
	s_branch .LBB621_73
.LBB621_68:
                                        ; implicit-def: $vgpr60
                                        ; implicit-def: $vgpr59
                                        ; implicit-def: $vgpr58
                                        ; implicit-def: $vgpr57
                                        ; implicit-def: $vgpr56
                                        ; implicit-def: $vgpr55
                                        ; implicit-def: $vgpr54
                                        ; implicit-def: $vgpr53
                                        ; implicit-def: $vgpr52
                                        ; implicit-def: $vgpr51
                                        ; implicit-def: $vgpr50
                                        ; implicit-def: $vgpr49
                                        ; implicit-def: $vgpr48
                                        ; implicit-def: $vgpr47
                                        ; implicit-def: $vgpr46
                                        ; implicit-def: $vgpr45
                                        ; implicit-def: $vgpr44
                                        ; implicit-def: $vgpr43
                                        ; implicit-def: $vgpr42
                                        ; implicit-def: $vgpr41
                                        ; implicit-def: $vgpr40
                                        ; implicit-def: $vgpr39
                                        ; implicit-def: $vgpr38
                                        ; implicit-def: $vgpr37
                                        ; implicit-def: $vgpr36
                                        ; implicit-def: $vgpr35
                                        ; implicit-def: $vgpr34
                                        ; implicit-def: $vgpr33
                                        ; implicit-def: $vgpr32
	s_cbranch_execz .LBB621_72
.LBB621_69:
	v_mul_u32_u24_e32 v30, 29, v0
	s_waitcnt lgkmcnt(0)
	v_mov_b32_e32 v58, s0
	s_mov_b32 s0, exec_lo
	ds_store_b32 v31, v29
	s_waitcnt lgkmcnt(0)
	s_barrier
	buffer_gl0_inv
	v_cmpx_ne_u32_e32 0, v0
	s_cbranch_execz .LBB621_71
; %bb.70:
	v_add_nc_u32_e32 v32, -4, v31
	ds_load_b32 v58, v32
.LBB621_71:
	s_or_b32 exec_lo, exec_lo, s0
	v_dual_add_f32 v33, v29, v20 :: v_dual_add_nc_u32 v32, 28, v30
	s_mul_i32 s0, s6, 0xfffff180
	v_dual_add_f32 v35, v20, v19 :: v_dual_add_nc_u32 v34, 27, v30
	s_add_i32 s0, s0, s42
	v_dual_add_f32 v39, v17, v28 :: v_dual_add_nc_u32 v36, 25, v30
	v_cmp_gt_u32_e32 vcc_lo, s0, v32
	v_dual_add_f32 v40, v26, v27 :: v_dual_add_nc_u32 v41, 21, v30
	v_dual_add_f32 v37, v18, v17 :: v_dual_add_f32 v42, v25, v26
	v_cndmask_b32_e32 v32, v29, v33, vcc_lo
	v_cmp_gt_u32_e32 vcc_lo, s0, v34
	v_add_nc_u32_e32 v34, 26, v30
	v_dual_add_f32 v48, v15, v16 :: v_dual_add_nc_u32 v47, 15, v30
	v_dual_add_f32 v52, v10, v11 :: v_dual_add_nc_u32 v53, 9, v30
	v_cndmask_b32_e32 v33, v20, v35, vcc_lo
	v_add_f32_e32 v35, v19, v18
	v_cmp_gt_u32_e32 vcc_lo, s0, v34
	v_add_f32_e32 v54, v9, v10
	v_dual_add_f32 v61, v3, v4 :: v_dual_add_nc_u32 v60, 3, v30
	s_waitcnt lgkmcnt(0)
	v_dual_add_f32 v63, v1, v58 :: v_dual_cndmask_b32 v34, v19, v35
	v_cmp_gt_u32_e32 vcc_lo, s0, v36
	v_dual_add_f32 v43, v23, v24 :: v_dual_add_nc_u32 v38, 24, v30
	v_dual_add_f32 v45, v22, v23 :: v_dual_add_f32 v46, v16, v21
	v_cndmask_b32_e32 v35, v18, v37, vcc_lo
	s_delay_alu instid0(VALU_DEP_3) | instskip(SKIP_4) | instid1(VALU_DEP_4)
	v_cmp_gt_u32_e32 vcc_lo, s0, v38
	v_dual_add_f32 v38, v27, v28 :: v_dual_add_nc_u32 v37, 23, v30
	v_add_f32_e32 v51, v12, v13
	v_dual_add_f32 v55, v7, v8 :: v_dual_cndmask_b32 v36, v17, v39
	v_add_nc_u32_e32 v39, 22, v30
	v_cmp_gt_u32_e32 vcc_lo, s0, v37
	v_add_f32_e32 v57, v6, v7
	v_dual_add_f32 v59, v4, v5 :: v_dual_add_f32 v62, v1, v2
	v_cndmask_b32_e32 v37, v28, v38, vcc_lo
	v_cmp_gt_u32_e32 vcc_lo, s0, v39
	v_cndmask_b32_e32 v38, v27, v40, vcc_lo
	v_cmp_gt_u32_e32 vcc_lo, s0, v41
	v_dual_add_f32 v41, v24, v25 :: v_dual_add_nc_u32 v40, 20, v30
	v_cndmask_b32_e32 v39, v26, v42, vcc_lo
	v_add_nc_u32_e32 v42, 19, v30
	s_delay_alu instid0(VALU_DEP_3) | instskip(NEXT) | instid1(VALU_DEP_4)
	v_cmp_gt_u32_e32 vcc_lo, s0, v40
	v_cndmask_b32_e32 v40, v25, v41, vcc_lo
	s_delay_alu instid0(VALU_DEP_3) | instskip(SKIP_1) | instid1(VALU_DEP_1)
	v_cmp_gt_u32_e32 vcc_lo, s0, v42
	v_dual_cndmask_b32 v41, v24, v43 :: v_dual_add_nc_u32 v44, 18, v30
	v_cmp_gt_u32_e32 vcc_lo, s0, v44
	v_add_nc_u32_e32 v43, 17, v30
	v_add_f32_e32 v44, v21, v22
	v_dual_cndmask_b32 v42, v23, v45 :: v_dual_add_nc_u32 v45, 16, v30
	s_delay_alu instid0(VALU_DEP_3) | instskip(NEXT) | instid1(VALU_DEP_3)
	v_cmp_gt_u32_e32 vcc_lo, s0, v43
	v_cndmask_b32_e32 v43, v22, v44, vcc_lo
	s_delay_alu instid0(VALU_DEP_3) | instskip(SKIP_4) | instid1(VALU_DEP_2)
	v_cmp_gt_u32_e32 vcc_lo, s0, v45
	v_cndmask_b32_e32 v44, v21, v46, vcc_lo
	v_cmp_gt_u32_e32 vcc_lo, s0, v47
	v_dual_add_f32 v47, v14, v15 :: v_dual_add_nc_u32 v46, 14, v30
	v_dual_cndmask_b32 v45, v16, v48 :: v_dual_add_nc_u32 v48, 13, v30
	v_cmp_gt_u32_e32 vcc_lo, s0, v46
	s_delay_alu instid0(VALU_DEP_3) | instskip(NEXT) | instid1(VALU_DEP_3)
	v_dual_add_f32 v49, v13, v14 :: v_dual_cndmask_b32 v46, v15, v47
	v_cmp_gt_u32_e32 vcc_lo, s0, v48
	s_delay_alu instid0(VALU_DEP_2) | instskip(NEXT) | instid1(VALU_DEP_1)
	v_dual_cndmask_b32 v47, v14, v49 :: v_dual_add_nc_u32 v50, 12, v30
	v_cmp_gt_u32_e32 vcc_lo, s0, v50
	v_dual_add_f32 v50, v11, v12 :: v_dual_add_nc_u32 v49, 11, v30
	v_dual_cndmask_b32 v48, v13, v51 :: v_dual_add_nc_u32 v51, 10, v30
	s_delay_alu instid0(VALU_DEP_2) | instskip(NEXT) | instid1(VALU_DEP_3)
	v_cmp_gt_u32_e32 vcc_lo, s0, v49
	v_cndmask_b32_e32 v49, v12, v50, vcc_lo
	s_delay_alu instid0(VALU_DEP_3)
	v_cmp_gt_u32_e32 vcc_lo, s0, v51
	v_cndmask_b32_e32 v50, v11, v52, vcc_lo
	v_cmp_gt_u32_e32 vcc_lo, s0, v53
	v_dual_add_f32 v53, v8, v9 :: v_dual_add_nc_u32 v52, 8, v30
	v_cndmask_b32_e32 v51, v10, v54, vcc_lo
	v_add_nc_u32_e32 v54, 7, v30
	s_delay_alu instid0(VALU_DEP_3) | instskip(NEXT) | instid1(VALU_DEP_4)
	v_cmp_gt_u32_e32 vcc_lo, s0, v52
	v_cndmask_b32_e32 v52, v9, v53, vcc_lo
	s_delay_alu instid0(VALU_DEP_3) | instskip(SKIP_1) | instid1(VALU_DEP_1)
	v_cmp_gt_u32_e32 vcc_lo, s0, v54
	v_dual_cndmask_b32 v53, v8, v55 :: v_dual_add_nc_u32 v56, 6, v30
	v_cmp_gt_u32_e32 vcc_lo, s0, v56
	v_add_nc_u32_e32 v55, 5, v30
	v_add_f32_e32 v56, v5, v6
	v_dual_cndmask_b32 v54, v7, v57 :: v_dual_add_nc_u32 v57, 4, v30
	s_delay_alu instid0(VALU_DEP_3) | instskip(NEXT) | instid1(VALU_DEP_3)
	v_cmp_gt_u32_e32 vcc_lo, s0, v55
	v_cndmask_b32_e32 v55, v6, v56, vcc_lo
	s_delay_alu instid0(VALU_DEP_3)
	v_cmp_gt_u32_e32 vcc_lo, s0, v57
	v_cndmask_b32_e32 v56, v5, v59, vcc_lo
	v_cmp_gt_u32_e32 vcc_lo, s0, v60
	v_dual_add_f32 v60, v2, v3 :: v_dual_add_nc_u32 v59, 2, v30
	v_cndmask_b32_e32 v57, v4, v61, vcc_lo
	v_add_nc_u32_e32 v61, 1, v30
	s_delay_alu instid0(VALU_DEP_3) | instskip(NEXT) | instid1(VALU_DEP_4)
	v_cmp_gt_u32_e32 vcc_lo, s0, v59
	v_cndmask_b32_e32 v58, v3, v60, vcc_lo
	s_delay_alu instid0(VALU_DEP_3)
	v_cmp_gt_u32_e32 vcc_lo, s0, v61
	v_cndmask_b32_e32 v59, v2, v62, vcc_lo
	v_cmp_gt_u32_e32 vcc_lo, s0, v30
	v_cndmask_b32_e32 v60, v1, v63, vcc_lo
.LBB621_72:
	s_waitcnt lgkmcnt(0)
	s_cbranch_execnz .LBB621_81
.LBB621_73:
	v_dual_add_f32 v32, v29, v20 :: v_dual_add_f32 v33, v20, v19
	v_dual_add_f32 v34, v19, v18 :: v_dual_add_f32 v35, v18, v17
	v_add_f32_e32 v36, v17, v28
	v_dual_add_f32 v37, v27, v28 :: v_dual_add_f32 v38, v26, v27
	v_dual_add_f32 v39, v25, v26 :: v_dual_add_f32 v40, v24, v25
	;; [unrolled: 1-line block ×11, first 2 shown]
	v_add_f32_e32 v59, v1, v2
	v_cmp_ne_u32_e32 vcc_lo, 0, v0
	s_cmp_eq_u64 s[4:5], 1
	s_cbranch_scc1 .LBB621_77
; %bb.74:
	v_mov_b32_e32 v60, v1
	s_mov_b32 s0, 0
	ds_store_b32 v31, v29
	s_waitcnt lgkmcnt(0)
	s_barrier
	buffer_gl0_inv
	s_and_saveexec_b32 s1, vcc_lo
	s_cbranch_execz .LBB621_76
; %bb.75:
	v_add_nc_u32_e32 v30, -4, v31
	ds_load_b32 v30, v30
	s_waitcnt lgkmcnt(0)
	v_add_f32_e32 v60, v1, v30
.LBB621_76:
	s_or_b32 exec_lo, exec_lo, s1
	s_delay_alu instid0(SALU_CYCLE_1)
	s_and_not1_b32 vcc_lo, exec_lo, s0
	s_cbranch_vccz .LBB621_78
	s_branch .LBB621_81
.LBB621_77:
                                        ; implicit-def: $vgpr60
.LBB621_78:
	v_mad_u32_u24 v30, v0, 29, 28
	v_mad_u32_u24 v61, v0, 29, 27
	;; [unrolled: 1-line block ×4, first 2 shown]
	v_mul_u32_u24_e32 v60, 29, v0
	v_cmp_gt_u32_e32 vcc_lo, s42, v30
	v_mad_u32_u24 v30, v0, 29, 25
	v_cmp_gt_u32_e64 s0, s42, v61
	v_mad_u32_u24 v61, v0, 29, 23
	v_cmp_gt_u32_e64 s1, s42, v62
	v_mad_u32_u24 v62, v0, 29, 21
	v_cmp_gt_u32_e64 s2, s42, v30
	v_mad_u32_u24 v30, v0, 29, 22
	v_cmp_gt_u32_e64 s4, s42, v61
	v_mad_u32_u24 v61, v0, 29, 20
	v_cmp_gt_u32_e64 s3, s42, v63
	v_mad_u32_u24 v63, v0, 29, 19
	v_cmp_gt_u32_e64 s5, s42, v30
	v_mad_u32_u24 v30, v0, 29, 18
	v_cmp_gt_u32_e64 s7, s42, v61
	v_mad_u32_u24 v61, v0, 29, 17
	v_cmp_gt_u32_e64 s6, s42, v62
	v_mad_u32_u24 v62, v0, 29, 16
	v_cmp_gt_u32_e64 s9, s42, v30
	v_mad_u32_u24 v30, v0, 29, 15
	v_cmp_gt_u32_e64 s10, s42, v61
	v_mad_u32_u24 v61, v0, 29, 13
	v_cmp_gt_u32_e64 s8, s42, v63
	v_mad_u32_u24 v63, v0, 29, 14
	v_cmp_gt_u32_e64 s12, s42, v30
	v_mad_u32_u24 v30, v0, 29, 12
	v_cmp_gt_u32_e64 s11, s42, v62
	v_mad_u32_u24 v62, v0, 29, 11
	v_cmp_gt_u32_e64 s14, s42, v61
	v_mad_u32_u24 v61, v0, 29, 10
	v_cmp_gt_u32_e64 s15, s42, v30
	v_mad_u32_u24 v30, v0, 29, 8
	v_cmp_gt_u32_e64 s13, s42, v63
	v_mad_u32_u24 v63, v0, 29, 9
	v_cmp_gt_u32_e64 s16, s42, v62
	v_cmp_gt_u32_e64 s17, s42, v61
	v_mad_u32_u24 v61, v0, 29, 7
	v_mad_u32_u24 v62, v0, 29, 6
	v_cmp_gt_u32_e64 s19, s42, v30
	v_mad_u32_u24 v30, v0, 29, 5
	v_cmp_gt_u32_e64 s18, s42, v63
	;; [unrolled: 2-line block ×3, first 2 shown]
	v_cmp_gt_u32_e64 s21, s42, v62
	v_mad_u32_u24 v61, v0, 29, 3
	v_cmp_gt_u32_e64 s22, s42, v30
	v_mad_u32_u24 v30, v0, 29, 2
	v_mad_u32_u24 v62, v0, 29, 1
	v_cmp_ne_u32_e64 s27, 0, v0
	v_cmp_gt_u32_e64 s28, s42, v60
	v_cmp_gt_u32_e64 s23, s42, v63
	;; [unrolled: 1-line block ×5, first 2 shown]
	s_and_b32 s28, s27, s28
	ds_store_b32 v31, v29
	s_waitcnt lgkmcnt(0)
	s_barrier
	buffer_gl0_inv
	s_and_saveexec_b32 s27, s28
	s_cbranch_execz .LBB621_80
; %bb.79:
	v_add_nc_u32_e32 v30, -4, v31
	ds_load_b32 v30, v30
	s_waitcnt lgkmcnt(0)
	v_add_f32_e32 v1, v1, v30
.LBB621_80:
	s_or_b32 exec_lo, exec_lo, s27
	v_cndmask_b32_e32 v32, v29, v32, vcc_lo
	v_cndmask_b32_e64 v33, v20, v33, s0
	v_cndmask_b32_e64 v34, v19, v34, s1
	;; [unrolled: 1-line block ×27, first 2 shown]
	v_mov_b32_e32 v60, v1
.LBB621_81:
	v_mul_u32_u24_e32 v61, 0x74, v0
	v_mul_i32_i24_e32 v62, 0xffffff90, v0
	s_add_u32 s1, s40, s34
	s_addc_u32 s0, s41, s35
	s_and_b32 vcc_lo, exec_lo, s33
	s_barrier
	buffer_gl0_inv
	s_cbranch_vccz .LBB621_139
; %bb.82:
	v_mad_u32_u24 v1, 0x74, v0, v62
	ds_store_2addr_b32 v61, v60, v59 offset1:1
	ds_store_2addr_b32 v61, v58, v57 offset0:2 offset1:3
	ds_store_2addr_b32 v61, v56, v55 offset0:4 offset1:5
	ds_store_2addr_b32 v61, v54, v53 offset0:6 offset1:7
	ds_store_2addr_b32 v61, v52, v51 offset0:8 offset1:9
	ds_store_2addr_b32 v61, v50, v49 offset0:10 offset1:11
	ds_store_2addr_b32 v61, v48, v47 offset0:12 offset1:13
	ds_store_2addr_b32 v61, v46, v45 offset0:14 offset1:15
	ds_store_2addr_b32 v61, v44, v43 offset0:16 offset1:17
	ds_store_2addr_b32 v61, v42, v41 offset0:18 offset1:19
	ds_store_2addr_b32 v61, v40, v39 offset0:20 offset1:21
	ds_store_2addr_b32 v61, v38, v37 offset0:22 offset1:23
	ds_store_2addr_b32 v61, v36, v35 offset0:24 offset1:25
	ds_store_2addr_b32 v61, v34, v33 offset0:26 offset1:27
	ds_store_b32 v61, v32 offset:112
	s_waitcnt lgkmcnt(0)
	s_barrier
	buffer_gl0_inv
	ds_load_2addr_stride64_b32 v[29:30], v1 offset0:2 offset1:4
	ds_load_2addr_stride64_b32 v[27:28], v1 offset0:6 offset1:8
	;; [unrolled: 1-line block ×14, first 2 shown]
	s_mov_b32 s31, 0
	s_add_i32 s29, s29, s42
	s_lshl_b64 s[2:3], s[30:31], 2
	s_delay_alu instid0(SALU_CYCLE_1) | instskip(SKIP_2) | instid1(VALU_DEP_1)
	s_add_u32 s2, s1, s2
	s_addc_u32 s3, s0, s3
	v_add_co_u32 v3, s2, s2, v31
	v_add_co_ci_u32_e64 v4, null, s3, 0, s2
	s_mov_b32 s2, exec_lo
	v_cmpx_gt_u32_e64 s29, v0
	s_cbranch_execz .LBB621_84
; %bb.83:
	v_add_nc_u32_e32 v63, v61, v62
	ds_load_b32 v63, v63
	s_waitcnt lgkmcnt(0)
	global_store_b32 v[3:4], v63, off
.LBB621_84:
	s_or_b32 exec_lo, exec_lo, s2
	v_or_b32_e32 v63, 0x80, v0
	s_mov_b32 s2, exec_lo
	s_delay_alu instid0(VALU_DEP_1)
	v_cmpx_gt_u32_e64 s29, v63
	s_cbranch_execz .LBB621_86
; %bb.85:
	s_waitcnt lgkmcnt(13)
	global_store_b32 v[3:4], v29, off offset:512
.LBB621_86:
	s_or_b32 exec_lo, exec_lo, s2
	s_waitcnt lgkmcnt(13)
	v_or_b32_e32 v29, 0x100, v0
	s_mov_b32 s2, exec_lo
	s_delay_alu instid0(VALU_DEP_1)
	v_cmpx_gt_u32_e64 s29, v29
	s_cbranch_execz .LBB621_88
; %bb.87:
	global_store_b32 v[3:4], v30, off offset:1024
.LBB621_88:
	s_or_b32 exec_lo, exec_lo, s2
	v_or_b32_e32 v29, 0x180, v0
	s_mov_b32 s2, exec_lo
	s_delay_alu instid0(VALU_DEP_1)
	v_cmpx_gt_u32_e64 s29, v29
	s_cbranch_execz .LBB621_90
; %bb.89:
	s_waitcnt lgkmcnt(12)
	global_store_b32 v[3:4], v27, off offset:1536
.LBB621_90:
	s_or_b32 exec_lo, exec_lo, s2
	s_waitcnt lgkmcnt(12)
	v_or_b32_e32 v27, 0x200, v0
	s_mov_b32 s2, exec_lo
	s_delay_alu instid0(VALU_DEP_1)
	v_cmpx_gt_u32_e64 s29, v27
	s_cbranch_execz .LBB621_92
; %bb.91:
	global_store_b32 v[3:4], v28, off offset:2048
.LBB621_92:
	;; [unrolled: 20-line block ×3, first 2 shown]
	s_or_b32 exec_lo, exec_lo, s2
	v_or_b32_e32 v25, 0x380, v0
	s_mov_b32 s2, exec_lo
	s_delay_alu instid0(VALU_DEP_1)
	v_cmpx_gt_u32_e64 s29, v25
	s_cbranch_execz .LBB621_98
; %bb.97:
	s_waitcnt lgkmcnt(10)
	global_store_b32 v[3:4], v23, off offset:3584
.LBB621_98:
	s_or_b32 exec_lo, exec_lo, s2
	s_waitcnt lgkmcnt(10)
	v_or_b32_e32 v23, 0x400, v0
	s_mov_b32 s2, exec_lo
	s_delay_alu instid0(VALU_DEP_1)
	v_cmpx_gt_u32_e64 s29, v23
	s_cbranch_execz .LBB621_100
; %bb.99:
	v_add_co_u32 v25, vcc_lo, 0x1000, v3
	v_add_co_ci_u32_e32 v26, vcc_lo, 0, v4, vcc_lo
	global_store_b32 v[25:26], v24, off
.LBB621_100:
	s_or_b32 exec_lo, exec_lo, s2
	v_or_b32_e32 v23, 0x480, v0
	s_mov_b32 s2, exec_lo
	s_delay_alu instid0(VALU_DEP_1)
	v_cmpx_gt_u32_e64 s29, v23
	s_cbranch_execz .LBB621_102
; %bb.101:
	v_add_co_u32 v23, vcc_lo, 0x1000, v3
	v_add_co_ci_u32_e32 v24, vcc_lo, 0, v4, vcc_lo
	s_waitcnt lgkmcnt(9)
	global_store_b32 v[23:24], v21, off offset:512
.LBB621_102:
	s_or_b32 exec_lo, exec_lo, s2
	s_waitcnt lgkmcnt(9)
	v_or_b32_e32 v21, 0x500, v0
	s_mov_b32 s2, exec_lo
	s_delay_alu instid0(VALU_DEP_1)
	v_cmpx_gt_u32_e64 s29, v21
	s_cbranch_execz .LBB621_104
; %bb.103:
	v_add_co_u32 v23, vcc_lo, 0x1000, v3
	v_add_co_ci_u32_e32 v24, vcc_lo, 0, v4, vcc_lo
	global_store_b32 v[23:24], v22, off offset:1024
.LBB621_104:
	s_or_b32 exec_lo, exec_lo, s2
	v_or_b32_e32 v21, 0x580, v0
	s_mov_b32 s2, exec_lo
	s_delay_alu instid0(VALU_DEP_1)
	v_cmpx_gt_u32_e64 s29, v21
	s_cbranch_execz .LBB621_106
; %bb.105:
	v_add_co_u32 v21, vcc_lo, 0x1000, v3
	v_add_co_ci_u32_e32 v22, vcc_lo, 0, v4, vcc_lo
	s_waitcnt lgkmcnt(8)
	global_store_b32 v[21:22], v19, off offset:1536
.LBB621_106:
	s_or_b32 exec_lo, exec_lo, s2
	s_waitcnt lgkmcnt(8)
	v_or_b32_e32 v19, 0x600, v0
	s_mov_b32 s2, exec_lo
	s_delay_alu instid0(VALU_DEP_1)
	v_cmpx_gt_u32_e64 s29, v19
	s_cbranch_execz .LBB621_108
; %bb.107:
	v_add_co_u32 v21, vcc_lo, 0x1000, v3
	v_add_co_ci_u32_e32 v22, vcc_lo, 0, v4, vcc_lo
	global_store_b32 v[21:22], v20, off offset:2048
.LBB621_108:
	s_or_b32 exec_lo, exec_lo, s2
	v_or_b32_e32 v19, 0x680, v0
	s_mov_b32 s2, exec_lo
	s_delay_alu instid0(VALU_DEP_1)
	v_cmpx_gt_u32_e64 s29, v19
	s_cbranch_execz .LBB621_110
; %bb.109:
	v_add_co_u32 v19, vcc_lo, 0x1000, v3
	v_add_co_ci_u32_e32 v20, vcc_lo, 0, v4, vcc_lo
	s_waitcnt lgkmcnt(7)
	global_store_b32 v[19:20], v17, off offset:2560
.LBB621_110:
	s_or_b32 exec_lo, exec_lo, s2
	s_waitcnt lgkmcnt(7)
	v_or_b32_e32 v17, 0x700, v0
	s_mov_b32 s2, exec_lo
	s_delay_alu instid0(VALU_DEP_1)
	v_cmpx_gt_u32_e64 s29, v17
	s_cbranch_execz .LBB621_112
; %bb.111:
	v_add_co_u32 v19, vcc_lo, 0x1000, v3
	v_add_co_ci_u32_e32 v20, vcc_lo, 0, v4, vcc_lo
	global_store_b32 v[19:20], v18, off offset:3072
.LBB621_112:
	s_or_b32 exec_lo, exec_lo, s2
	v_or_b32_e32 v17, 0x780, v0
	s_mov_b32 s2, exec_lo
	s_delay_alu instid0(VALU_DEP_1)
	v_cmpx_gt_u32_e64 s29, v17
	s_cbranch_execz .LBB621_114
; %bb.113:
	v_add_co_u32 v17, vcc_lo, 0x1000, v3
	v_add_co_ci_u32_e32 v18, vcc_lo, 0, v4, vcc_lo
	s_waitcnt lgkmcnt(6)
	global_store_b32 v[17:18], v15, off offset:3584
.LBB621_114:
	s_or_b32 exec_lo, exec_lo, s2
	s_waitcnt lgkmcnt(6)
	v_or_b32_e32 v15, 0x800, v0
	s_mov_b32 s2, exec_lo
	s_delay_alu instid0(VALU_DEP_1)
	v_cmpx_gt_u32_e64 s29, v15
	s_cbranch_execz .LBB621_116
; %bb.115:
	v_add_co_u32 v17, vcc_lo, 0x2000, v3
	v_add_co_ci_u32_e32 v18, vcc_lo, 0, v4, vcc_lo
	global_store_b32 v[17:18], v16, off
.LBB621_116:
	s_or_b32 exec_lo, exec_lo, s2
	v_or_b32_e32 v15, 0x880, v0
	s_mov_b32 s2, exec_lo
	s_delay_alu instid0(VALU_DEP_1)
	v_cmpx_gt_u32_e64 s29, v15
	s_cbranch_execz .LBB621_118
; %bb.117:
	v_add_co_u32 v15, vcc_lo, 0x2000, v3
	v_add_co_ci_u32_e32 v16, vcc_lo, 0, v4, vcc_lo
	s_waitcnt lgkmcnt(5)
	global_store_b32 v[15:16], v13, off offset:512
.LBB621_118:
	s_or_b32 exec_lo, exec_lo, s2
	s_waitcnt lgkmcnt(5)
	v_or_b32_e32 v13, 0x900, v0
	s_mov_b32 s2, exec_lo
	s_delay_alu instid0(VALU_DEP_1)
	v_cmpx_gt_u32_e64 s29, v13
	s_cbranch_execz .LBB621_120
; %bb.119:
	v_add_co_u32 v15, vcc_lo, 0x2000, v3
	v_add_co_ci_u32_e32 v16, vcc_lo, 0, v4, vcc_lo
	global_store_b32 v[15:16], v14, off offset:1024
.LBB621_120:
	s_or_b32 exec_lo, exec_lo, s2
	v_or_b32_e32 v13, 0x980, v0
	s_mov_b32 s2, exec_lo
	s_delay_alu instid0(VALU_DEP_1)
	v_cmpx_gt_u32_e64 s29, v13
	s_cbranch_execz .LBB621_122
; %bb.121:
	v_add_co_u32 v13, vcc_lo, 0x2000, v3
	v_add_co_ci_u32_e32 v14, vcc_lo, 0, v4, vcc_lo
	s_waitcnt lgkmcnt(4)
	global_store_b32 v[13:14], v11, off offset:1536
.LBB621_122:
	s_or_b32 exec_lo, exec_lo, s2
	s_waitcnt lgkmcnt(4)
	v_or_b32_e32 v11, 0xa00, v0
	s_mov_b32 s2, exec_lo
	s_delay_alu instid0(VALU_DEP_1)
	v_cmpx_gt_u32_e64 s29, v11
	s_cbranch_execz .LBB621_124
; %bb.123:
	v_add_co_u32 v13, vcc_lo, 0x2000, v3
	v_add_co_ci_u32_e32 v14, vcc_lo, 0, v4, vcc_lo
	global_store_b32 v[13:14], v12, off offset:2048
.LBB621_124:
	;; [unrolled: 24-line block ×3, first 2 shown]
	s_or_b32 exec_lo, exec_lo, s2
	v_or_b32_e32 v9, 0xb80, v0
	s_mov_b32 s2, exec_lo
	s_delay_alu instid0(VALU_DEP_1)
	v_cmpx_gt_u32_e64 s29, v9
	s_cbranch_execz .LBB621_130
; %bb.129:
	v_add_co_u32 v9, vcc_lo, 0x2000, v3
	v_add_co_ci_u32_e32 v10, vcc_lo, 0, v4, vcc_lo
	s_waitcnt lgkmcnt(2)
	global_store_b32 v[9:10], v7, off offset:3584
.LBB621_130:
	s_or_b32 exec_lo, exec_lo, s2
	s_waitcnt lgkmcnt(2)
	v_or_b32_e32 v7, 0xc00, v0
	s_mov_b32 s2, exec_lo
	s_delay_alu instid0(VALU_DEP_1)
	v_cmpx_gt_u32_e64 s29, v7
	s_cbranch_execz .LBB621_132
; %bb.131:
	v_add_co_u32 v9, vcc_lo, 0x3000, v3
	v_add_co_ci_u32_e32 v10, vcc_lo, 0, v4, vcc_lo
	global_store_b32 v[9:10], v8, off
.LBB621_132:
	s_or_b32 exec_lo, exec_lo, s2
	v_or_b32_e32 v7, 0xc80, v0
	s_mov_b32 s2, exec_lo
	s_delay_alu instid0(VALU_DEP_1)
	v_cmpx_gt_u32_e64 s29, v7
	s_cbranch_execz .LBB621_134
; %bb.133:
	v_add_co_u32 v7, vcc_lo, 0x3000, v3
	v_add_co_ci_u32_e32 v8, vcc_lo, 0, v4, vcc_lo
	s_waitcnt lgkmcnt(1)
	global_store_b32 v[7:8], v5, off offset:512
.LBB621_134:
	s_or_b32 exec_lo, exec_lo, s2
	s_waitcnt lgkmcnt(1)
	v_or_b32_e32 v5, 0xd00, v0
	s_mov_b32 s2, exec_lo
	s_delay_alu instid0(VALU_DEP_1)
	v_cmpx_gt_u32_e64 s29, v5
	s_cbranch_execz .LBB621_136
; %bb.135:
	v_add_co_u32 v7, vcc_lo, 0x3000, v3
	v_add_co_ci_u32_e32 v8, vcc_lo, 0, v4, vcc_lo
	global_store_b32 v[7:8], v6, off offset:1024
.LBB621_136:
	s_or_b32 exec_lo, exec_lo, s2
	v_or_b32_e32 v5, 0xd80, v0
	s_mov_b32 s2, exec_lo
	s_delay_alu instid0(VALU_DEP_1)
	v_cmpx_gt_u32_e64 s29, v5
	s_cbranch_execz .LBB621_138
; %bb.137:
	v_add_co_u32 v5, vcc_lo, 0x3000, v3
	v_add_co_ci_u32_e32 v6, vcc_lo, 0, v4, vcc_lo
	s_waitcnt lgkmcnt(0)
	global_store_b32 v[5:6], v1, off offset:1536
.LBB621_138:
	s_or_b32 exec_lo, exec_lo, s2
	s_waitcnt lgkmcnt(0)
	v_or_b32_e32 v1, 0xe00, v0
	s_delay_alu instid0(VALU_DEP_1)
	v_cmp_gt_u32_e64 s2, s29, v1
	s_branch .LBB621_141
.LBB621_139:
	s_mov_b32 s2, 0
                                        ; implicit-def: $vgpr2
                                        ; implicit-def: $vgpr3_vgpr4
	s_cbranch_execz .LBB621_141
; %bb.140:
	v_mad_u32_u24 v2, 0x74, v0, v62
	ds_store_2addr_b32 v61, v60, v59 offset1:1
	ds_store_2addr_b32 v61, v58, v57 offset0:2 offset1:3
	ds_store_2addr_b32 v61, v56, v55 offset0:4 offset1:5
	;; [unrolled: 1-line block ×13, first 2 shown]
	ds_store_b32 v61, v32 offset:112
	s_waitcnt lgkmcnt(0)
	s_waitcnt_vscnt null, 0x0
	s_barrier
	buffer_gl0_inv
	ds_load_2addr_stride64_b32 v[0:1], v2 offset1:2
	ds_load_2addr_stride64_b32 v[5:6], v2 offset0:4 offset1:6
	s_mov_b32 s31, 0
	ds_load_2addr_stride64_b32 v[7:8], v2 offset0:8 offset1:10
	ds_load_2addr_stride64_b32 v[9:10], v2 offset0:12 offset1:14
	ds_load_2addr_stride64_b32 v[11:12], v2 offset0:16 offset1:18
	ds_load_2addr_stride64_b32 v[13:14], v2 offset0:20 offset1:22
	ds_load_2addr_stride64_b32 v[15:16], v2 offset0:24 offset1:26
	ds_load_2addr_stride64_b32 v[17:18], v2 offset0:28 offset1:30
	ds_load_2addr_stride64_b32 v[19:20], v2 offset0:32 offset1:34
	ds_load_2addr_stride64_b32 v[21:22], v2 offset0:36 offset1:38
	ds_load_2addr_stride64_b32 v[23:24], v2 offset0:40 offset1:42
	ds_load_2addr_stride64_b32 v[25:26], v2 offset0:44 offset1:46
	ds_load_2addr_stride64_b32 v[27:28], v2 offset0:48 offset1:50
	ds_load_2addr_stride64_b32 v[29:30], v2 offset0:52 offset1:54
	ds_load_b32 v2, v2 offset:14336
	s_lshl_b64 s[4:5], s[30:31], 2
	s_delay_alu instid0(SALU_CYCLE_1) | instskip(SKIP_2) | instid1(VALU_DEP_1)
	s_add_u32 s4, s1, s4
	s_addc_u32 s5, s0, s5
	v_add_co_u32 v3, s0, s4, v31
	v_add_co_ci_u32_e64 v4, null, s5, 0, s0
	s_or_b32 s2, s2, exec_lo
	s_waitcnt lgkmcnt(14)
	global_store_b32 v31, v1, s[4:5] offset:512
	s_waitcnt lgkmcnt(13)
	s_clause 0x1
	global_store_b32 v31, v5, s[4:5] offset:1024
	global_store_b32 v31, v6, s[4:5] offset:1536
	s_waitcnt lgkmcnt(12)
	s_clause 0x1
	global_store_b32 v31, v7, s[4:5] offset:2048
	;; [unrolled: 4-line block ×3, first 2 shown]
	global_store_b32 v31, v10, s[4:5] offset:3584
	v_add_co_u32 v5, vcc_lo, v3, 0x2000
	v_add_co_ci_u32_e32 v6, vcc_lo, 0, v4, vcc_lo
	v_add_co_u32 v7, vcc_lo, 0x3000, v3
	v_add_co_ci_u32_e32 v8, vcc_lo, 0, v4, vcc_lo
	;; [unrolled: 2-line block ×3, first 2 shown]
	v_add_co_u32 v32, vcc_lo, 0x2000, v3
	s_waitcnt lgkmcnt(1)
	s_clause 0x1
	global_store_b32 v[7:8], v29, off offset:1024
	global_store_b32 v[5:6], v11, off offset:-4096
	v_add_co_ci_u32_e32 v33, vcc_lo, 0, v4, vcc_lo
	s_clause 0x12
	global_store_b32 v31, v0, s[4:5]
	global_store_b32 v[5:6], v19, off
	global_store_b32 v[9:10], v12, off offset:512
	global_store_b32 v[9:10], v13, off offset:1024
	;; [unrolled: 1-line block ×14, first 2 shown]
	global_store_b32 v[7:8], v27, off
	global_store_b32 v[7:8], v28, off offset:512
	global_store_b32 v[7:8], v30, off offset:1536
.LBB621_141:
	s_delay_alu instid0(VALU_DEP_1)
	s_and_saveexec_b32 s0, s2
	s_cbranch_execnz .LBB621_143
; %bb.142:
	s_nop 0
	s_sendmsg sendmsg(MSG_DEALLOC_VGPRS)
	s_endpgm
.LBB621_143:
	v_add_co_u32 v0, vcc_lo, 0x3000, v3
	v_add_co_ci_u32_e32 v1, vcc_lo, 0, v4, vcc_lo
	s_waitcnt lgkmcnt(0)
	global_store_b32 v[0:1], v2, off offset:2048
	s_nop 0
	s_sendmsg sendmsg(MSG_DEALLOC_VGPRS)
	s_endpgm
	.section	.rodata,"a",@progbits
	.p2align	6, 0x0
	.amdhsa_kernel _ZN7rocprim17ROCPRIM_400000_NS6detail17trampoline_kernelINS0_14default_configENS1_35adjacent_difference_config_selectorILb1EfEEZNS1_24adjacent_difference_implIS3_Lb1ELb0EPKfPfN6thrust23THRUST_200600_302600_NS4plusIfEEEE10hipError_tPvRmT2_T3_mT4_P12ihipStream_tbEUlT_E_NS1_11comp_targetILNS1_3genE9ELNS1_11target_archE1100ELNS1_3gpuE3ELNS1_3repE0EEENS1_30default_config_static_selectorELNS0_4arch9wavefront6targetE0EEEvT1_
		.amdhsa_group_segment_fixed_size 14848
		.amdhsa_private_segment_fixed_size 0
		.amdhsa_kernarg_size 56
		.amdhsa_user_sgpr_count 15
		.amdhsa_user_sgpr_dispatch_ptr 0
		.amdhsa_user_sgpr_queue_ptr 0
		.amdhsa_user_sgpr_kernarg_segment_ptr 1
		.amdhsa_user_sgpr_dispatch_id 0
		.amdhsa_user_sgpr_private_segment_size 0
		.amdhsa_wavefront_size32 1
		.amdhsa_uses_dynamic_stack 0
		.amdhsa_enable_private_segment 0
		.amdhsa_system_sgpr_workgroup_id_x 1
		.amdhsa_system_sgpr_workgroup_id_y 0
		.amdhsa_system_sgpr_workgroup_id_z 0
		.amdhsa_system_sgpr_workgroup_info 0
		.amdhsa_system_vgpr_workitem_id 0
		.amdhsa_next_free_vgpr 64
		.amdhsa_next_free_sgpr 44
		.amdhsa_reserve_vcc 1
		.amdhsa_float_round_mode_32 0
		.amdhsa_float_round_mode_16_64 0
		.amdhsa_float_denorm_mode_32 3
		.amdhsa_float_denorm_mode_16_64 3
		.amdhsa_dx10_clamp 1
		.amdhsa_ieee_mode 1
		.amdhsa_fp16_overflow 0
		.amdhsa_workgroup_processor_mode 1
		.amdhsa_memory_ordered 1
		.amdhsa_forward_progress 0
		.amdhsa_shared_vgpr_count 0
		.amdhsa_exception_fp_ieee_invalid_op 0
		.amdhsa_exception_fp_denorm_src 0
		.amdhsa_exception_fp_ieee_div_zero 0
		.amdhsa_exception_fp_ieee_overflow 0
		.amdhsa_exception_fp_ieee_underflow 0
		.amdhsa_exception_fp_ieee_inexact 0
		.amdhsa_exception_int_div_zero 0
	.end_amdhsa_kernel
	.section	.text._ZN7rocprim17ROCPRIM_400000_NS6detail17trampoline_kernelINS0_14default_configENS1_35adjacent_difference_config_selectorILb1EfEEZNS1_24adjacent_difference_implIS3_Lb1ELb0EPKfPfN6thrust23THRUST_200600_302600_NS4plusIfEEEE10hipError_tPvRmT2_T3_mT4_P12ihipStream_tbEUlT_E_NS1_11comp_targetILNS1_3genE9ELNS1_11target_archE1100ELNS1_3gpuE3ELNS1_3repE0EEENS1_30default_config_static_selectorELNS0_4arch9wavefront6targetE0EEEvT1_,"axG",@progbits,_ZN7rocprim17ROCPRIM_400000_NS6detail17trampoline_kernelINS0_14default_configENS1_35adjacent_difference_config_selectorILb1EfEEZNS1_24adjacent_difference_implIS3_Lb1ELb0EPKfPfN6thrust23THRUST_200600_302600_NS4plusIfEEEE10hipError_tPvRmT2_T3_mT4_P12ihipStream_tbEUlT_E_NS1_11comp_targetILNS1_3genE9ELNS1_11target_archE1100ELNS1_3gpuE3ELNS1_3repE0EEENS1_30default_config_static_selectorELNS0_4arch9wavefront6targetE0EEEvT1_,comdat
.Lfunc_end621:
	.size	_ZN7rocprim17ROCPRIM_400000_NS6detail17trampoline_kernelINS0_14default_configENS1_35adjacent_difference_config_selectorILb1EfEEZNS1_24adjacent_difference_implIS3_Lb1ELb0EPKfPfN6thrust23THRUST_200600_302600_NS4plusIfEEEE10hipError_tPvRmT2_T3_mT4_P12ihipStream_tbEUlT_E_NS1_11comp_targetILNS1_3genE9ELNS1_11target_archE1100ELNS1_3gpuE3ELNS1_3repE0EEENS1_30default_config_static_selectorELNS0_4arch9wavefront6targetE0EEEvT1_, .Lfunc_end621-_ZN7rocprim17ROCPRIM_400000_NS6detail17trampoline_kernelINS0_14default_configENS1_35adjacent_difference_config_selectorILb1EfEEZNS1_24adjacent_difference_implIS3_Lb1ELb0EPKfPfN6thrust23THRUST_200600_302600_NS4plusIfEEEE10hipError_tPvRmT2_T3_mT4_P12ihipStream_tbEUlT_E_NS1_11comp_targetILNS1_3genE9ELNS1_11target_archE1100ELNS1_3gpuE3ELNS1_3repE0EEENS1_30default_config_static_selectorELNS0_4arch9wavefront6targetE0EEEvT1_
                                        ; -- End function
	.section	.AMDGPU.csdata,"",@progbits
; Kernel info:
; codeLenInByte = 7096
; NumSgprs: 46
; NumVgprs: 64
; ScratchSize: 0
; MemoryBound: 0
; FloatMode: 240
; IeeeMode: 1
; LDSByteSize: 14848 bytes/workgroup (compile time only)
; SGPRBlocks: 5
; VGPRBlocks: 7
; NumSGPRsForWavesPerEU: 46
; NumVGPRsForWavesPerEU: 64
; Occupancy: 8
; WaveLimiterHint : 1
; COMPUTE_PGM_RSRC2:SCRATCH_EN: 0
; COMPUTE_PGM_RSRC2:USER_SGPR: 15
; COMPUTE_PGM_RSRC2:TRAP_HANDLER: 0
; COMPUTE_PGM_RSRC2:TGID_X_EN: 1
; COMPUTE_PGM_RSRC2:TGID_Y_EN: 0
; COMPUTE_PGM_RSRC2:TGID_Z_EN: 0
; COMPUTE_PGM_RSRC2:TIDIG_COMP_CNT: 0
	.section	.text._ZN7rocprim17ROCPRIM_400000_NS6detail17trampoline_kernelINS0_14default_configENS1_35adjacent_difference_config_selectorILb1EfEEZNS1_24adjacent_difference_implIS3_Lb1ELb0EPKfPfN6thrust23THRUST_200600_302600_NS4plusIfEEEE10hipError_tPvRmT2_T3_mT4_P12ihipStream_tbEUlT_E_NS1_11comp_targetILNS1_3genE8ELNS1_11target_archE1030ELNS1_3gpuE2ELNS1_3repE0EEENS1_30default_config_static_selectorELNS0_4arch9wavefront6targetE0EEEvT1_,"axG",@progbits,_ZN7rocprim17ROCPRIM_400000_NS6detail17trampoline_kernelINS0_14default_configENS1_35adjacent_difference_config_selectorILb1EfEEZNS1_24adjacent_difference_implIS3_Lb1ELb0EPKfPfN6thrust23THRUST_200600_302600_NS4plusIfEEEE10hipError_tPvRmT2_T3_mT4_P12ihipStream_tbEUlT_E_NS1_11comp_targetILNS1_3genE8ELNS1_11target_archE1030ELNS1_3gpuE2ELNS1_3repE0EEENS1_30default_config_static_selectorELNS0_4arch9wavefront6targetE0EEEvT1_,comdat
	.protected	_ZN7rocprim17ROCPRIM_400000_NS6detail17trampoline_kernelINS0_14default_configENS1_35adjacent_difference_config_selectorILb1EfEEZNS1_24adjacent_difference_implIS3_Lb1ELb0EPKfPfN6thrust23THRUST_200600_302600_NS4plusIfEEEE10hipError_tPvRmT2_T3_mT4_P12ihipStream_tbEUlT_E_NS1_11comp_targetILNS1_3genE8ELNS1_11target_archE1030ELNS1_3gpuE2ELNS1_3repE0EEENS1_30default_config_static_selectorELNS0_4arch9wavefront6targetE0EEEvT1_ ; -- Begin function _ZN7rocprim17ROCPRIM_400000_NS6detail17trampoline_kernelINS0_14default_configENS1_35adjacent_difference_config_selectorILb1EfEEZNS1_24adjacent_difference_implIS3_Lb1ELb0EPKfPfN6thrust23THRUST_200600_302600_NS4plusIfEEEE10hipError_tPvRmT2_T3_mT4_P12ihipStream_tbEUlT_E_NS1_11comp_targetILNS1_3genE8ELNS1_11target_archE1030ELNS1_3gpuE2ELNS1_3repE0EEENS1_30default_config_static_selectorELNS0_4arch9wavefront6targetE0EEEvT1_
	.globl	_ZN7rocprim17ROCPRIM_400000_NS6detail17trampoline_kernelINS0_14default_configENS1_35adjacent_difference_config_selectorILb1EfEEZNS1_24adjacent_difference_implIS3_Lb1ELb0EPKfPfN6thrust23THRUST_200600_302600_NS4plusIfEEEE10hipError_tPvRmT2_T3_mT4_P12ihipStream_tbEUlT_E_NS1_11comp_targetILNS1_3genE8ELNS1_11target_archE1030ELNS1_3gpuE2ELNS1_3repE0EEENS1_30default_config_static_selectorELNS0_4arch9wavefront6targetE0EEEvT1_
	.p2align	8
	.type	_ZN7rocprim17ROCPRIM_400000_NS6detail17trampoline_kernelINS0_14default_configENS1_35adjacent_difference_config_selectorILb1EfEEZNS1_24adjacent_difference_implIS3_Lb1ELb0EPKfPfN6thrust23THRUST_200600_302600_NS4plusIfEEEE10hipError_tPvRmT2_T3_mT4_P12ihipStream_tbEUlT_E_NS1_11comp_targetILNS1_3genE8ELNS1_11target_archE1030ELNS1_3gpuE2ELNS1_3repE0EEENS1_30default_config_static_selectorELNS0_4arch9wavefront6targetE0EEEvT1_,@function
_ZN7rocprim17ROCPRIM_400000_NS6detail17trampoline_kernelINS0_14default_configENS1_35adjacent_difference_config_selectorILb1EfEEZNS1_24adjacent_difference_implIS3_Lb1ELb0EPKfPfN6thrust23THRUST_200600_302600_NS4plusIfEEEE10hipError_tPvRmT2_T3_mT4_P12ihipStream_tbEUlT_E_NS1_11comp_targetILNS1_3genE8ELNS1_11target_archE1030ELNS1_3gpuE2ELNS1_3repE0EEENS1_30default_config_static_selectorELNS0_4arch9wavefront6targetE0EEEvT1_: ; @_ZN7rocprim17ROCPRIM_400000_NS6detail17trampoline_kernelINS0_14default_configENS1_35adjacent_difference_config_selectorILb1EfEEZNS1_24adjacent_difference_implIS3_Lb1ELb0EPKfPfN6thrust23THRUST_200600_302600_NS4plusIfEEEE10hipError_tPvRmT2_T3_mT4_P12ihipStream_tbEUlT_E_NS1_11comp_targetILNS1_3genE8ELNS1_11target_archE1030ELNS1_3gpuE2ELNS1_3repE0EEENS1_30default_config_static_selectorELNS0_4arch9wavefront6targetE0EEEvT1_
; %bb.0:
	.section	.rodata,"a",@progbits
	.p2align	6, 0x0
	.amdhsa_kernel _ZN7rocprim17ROCPRIM_400000_NS6detail17trampoline_kernelINS0_14default_configENS1_35adjacent_difference_config_selectorILb1EfEEZNS1_24adjacent_difference_implIS3_Lb1ELb0EPKfPfN6thrust23THRUST_200600_302600_NS4plusIfEEEE10hipError_tPvRmT2_T3_mT4_P12ihipStream_tbEUlT_E_NS1_11comp_targetILNS1_3genE8ELNS1_11target_archE1030ELNS1_3gpuE2ELNS1_3repE0EEENS1_30default_config_static_selectorELNS0_4arch9wavefront6targetE0EEEvT1_
		.amdhsa_group_segment_fixed_size 0
		.amdhsa_private_segment_fixed_size 0
		.amdhsa_kernarg_size 56
		.amdhsa_user_sgpr_count 15
		.amdhsa_user_sgpr_dispatch_ptr 0
		.amdhsa_user_sgpr_queue_ptr 0
		.amdhsa_user_sgpr_kernarg_segment_ptr 1
		.amdhsa_user_sgpr_dispatch_id 0
		.amdhsa_user_sgpr_private_segment_size 0
		.amdhsa_wavefront_size32 1
		.amdhsa_uses_dynamic_stack 0
		.amdhsa_enable_private_segment 0
		.amdhsa_system_sgpr_workgroup_id_x 1
		.amdhsa_system_sgpr_workgroup_id_y 0
		.amdhsa_system_sgpr_workgroup_id_z 0
		.amdhsa_system_sgpr_workgroup_info 0
		.amdhsa_system_vgpr_workitem_id 0
		.amdhsa_next_free_vgpr 1
		.amdhsa_next_free_sgpr 1
		.amdhsa_reserve_vcc 0
		.amdhsa_float_round_mode_32 0
		.amdhsa_float_round_mode_16_64 0
		.amdhsa_float_denorm_mode_32 3
		.amdhsa_float_denorm_mode_16_64 3
		.amdhsa_dx10_clamp 1
		.amdhsa_ieee_mode 1
		.amdhsa_fp16_overflow 0
		.amdhsa_workgroup_processor_mode 1
		.amdhsa_memory_ordered 1
		.amdhsa_forward_progress 0
		.amdhsa_shared_vgpr_count 0
		.amdhsa_exception_fp_ieee_invalid_op 0
		.amdhsa_exception_fp_denorm_src 0
		.amdhsa_exception_fp_ieee_div_zero 0
		.amdhsa_exception_fp_ieee_overflow 0
		.amdhsa_exception_fp_ieee_underflow 0
		.amdhsa_exception_fp_ieee_inexact 0
		.amdhsa_exception_int_div_zero 0
	.end_amdhsa_kernel
	.section	.text._ZN7rocprim17ROCPRIM_400000_NS6detail17trampoline_kernelINS0_14default_configENS1_35adjacent_difference_config_selectorILb1EfEEZNS1_24adjacent_difference_implIS3_Lb1ELb0EPKfPfN6thrust23THRUST_200600_302600_NS4plusIfEEEE10hipError_tPvRmT2_T3_mT4_P12ihipStream_tbEUlT_E_NS1_11comp_targetILNS1_3genE8ELNS1_11target_archE1030ELNS1_3gpuE2ELNS1_3repE0EEENS1_30default_config_static_selectorELNS0_4arch9wavefront6targetE0EEEvT1_,"axG",@progbits,_ZN7rocprim17ROCPRIM_400000_NS6detail17trampoline_kernelINS0_14default_configENS1_35adjacent_difference_config_selectorILb1EfEEZNS1_24adjacent_difference_implIS3_Lb1ELb0EPKfPfN6thrust23THRUST_200600_302600_NS4plusIfEEEE10hipError_tPvRmT2_T3_mT4_P12ihipStream_tbEUlT_E_NS1_11comp_targetILNS1_3genE8ELNS1_11target_archE1030ELNS1_3gpuE2ELNS1_3repE0EEENS1_30default_config_static_selectorELNS0_4arch9wavefront6targetE0EEEvT1_,comdat
.Lfunc_end622:
	.size	_ZN7rocprim17ROCPRIM_400000_NS6detail17trampoline_kernelINS0_14default_configENS1_35adjacent_difference_config_selectorILb1EfEEZNS1_24adjacent_difference_implIS3_Lb1ELb0EPKfPfN6thrust23THRUST_200600_302600_NS4plusIfEEEE10hipError_tPvRmT2_T3_mT4_P12ihipStream_tbEUlT_E_NS1_11comp_targetILNS1_3genE8ELNS1_11target_archE1030ELNS1_3gpuE2ELNS1_3repE0EEENS1_30default_config_static_selectorELNS0_4arch9wavefront6targetE0EEEvT1_, .Lfunc_end622-_ZN7rocprim17ROCPRIM_400000_NS6detail17trampoline_kernelINS0_14default_configENS1_35adjacent_difference_config_selectorILb1EfEEZNS1_24adjacent_difference_implIS3_Lb1ELb0EPKfPfN6thrust23THRUST_200600_302600_NS4plusIfEEEE10hipError_tPvRmT2_T3_mT4_P12ihipStream_tbEUlT_E_NS1_11comp_targetILNS1_3genE8ELNS1_11target_archE1030ELNS1_3gpuE2ELNS1_3repE0EEENS1_30default_config_static_selectorELNS0_4arch9wavefront6targetE0EEEvT1_
                                        ; -- End function
	.section	.AMDGPU.csdata,"",@progbits
; Kernel info:
; codeLenInByte = 0
; NumSgprs: 0
; NumVgprs: 0
; ScratchSize: 0
; MemoryBound: 0
; FloatMode: 240
; IeeeMode: 1
; LDSByteSize: 0 bytes/workgroup (compile time only)
; SGPRBlocks: 0
; VGPRBlocks: 0
; NumSGPRsForWavesPerEU: 1
; NumVGPRsForWavesPerEU: 1
; Occupancy: 16
; WaveLimiterHint : 0
; COMPUTE_PGM_RSRC2:SCRATCH_EN: 0
; COMPUTE_PGM_RSRC2:USER_SGPR: 15
; COMPUTE_PGM_RSRC2:TRAP_HANDLER: 0
; COMPUTE_PGM_RSRC2:TGID_X_EN: 1
; COMPUTE_PGM_RSRC2:TGID_Y_EN: 0
; COMPUTE_PGM_RSRC2:TGID_Z_EN: 0
; COMPUTE_PGM_RSRC2:TIDIG_COMP_CNT: 0
	.section	.text._ZN7rocprim17ROCPRIM_400000_NS6detail17trampoline_kernelINS0_14default_configENS1_35adjacent_difference_config_selectorILb0EyEEZNS1_24adjacent_difference_implIS3_Lb0ELb0EPKyPyN6thrust23THRUST_200600_302600_NS4plusIyEEEE10hipError_tPvRmT2_T3_mT4_P12ihipStream_tbEUlT_E_NS1_11comp_targetILNS1_3genE0ELNS1_11target_archE4294967295ELNS1_3gpuE0ELNS1_3repE0EEENS1_30default_config_static_selectorELNS0_4arch9wavefront6targetE0EEEvT1_,"axG",@progbits,_ZN7rocprim17ROCPRIM_400000_NS6detail17trampoline_kernelINS0_14default_configENS1_35adjacent_difference_config_selectorILb0EyEEZNS1_24adjacent_difference_implIS3_Lb0ELb0EPKyPyN6thrust23THRUST_200600_302600_NS4plusIyEEEE10hipError_tPvRmT2_T3_mT4_P12ihipStream_tbEUlT_E_NS1_11comp_targetILNS1_3genE0ELNS1_11target_archE4294967295ELNS1_3gpuE0ELNS1_3repE0EEENS1_30default_config_static_selectorELNS0_4arch9wavefront6targetE0EEEvT1_,comdat
	.protected	_ZN7rocprim17ROCPRIM_400000_NS6detail17trampoline_kernelINS0_14default_configENS1_35adjacent_difference_config_selectorILb0EyEEZNS1_24adjacent_difference_implIS3_Lb0ELb0EPKyPyN6thrust23THRUST_200600_302600_NS4plusIyEEEE10hipError_tPvRmT2_T3_mT4_P12ihipStream_tbEUlT_E_NS1_11comp_targetILNS1_3genE0ELNS1_11target_archE4294967295ELNS1_3gpuE0ELNS1_3repE0EEENS1_30default_config_static_selectorELNS0_4arch9wavefront6targetE0EEEvT1_ ; -- Begin function _ZN7rocprim17ROCPRIM_400000_NS6detail17trampoline_kernelINS0_14default_configENS1_35adjacent_difference_config_selectorILb0EyEEZNS1_24adjacent_difference_implIS3_Lb0ELb0EPKyPyN6thrust23THRUST_200600_302600_NS4plusIyEEEE10hipError_tPvRmT2_T3_mT4_P12ihipStream_tbEUlT_E_NS1_11comp_targetILNS1_3genE0ELNS1_11target_archE4294967295ELNS1_3gpuE0ELNS1_3repE0EEENS1_30default_config_static_selectorELNS0_4arch9wavefront6targetE0EEEvT1_
	.globl	_ZN7rocprim17ROCPRIM_400000_NS6detail17trampoline_kernelINS0_14default_configENS1_35adjacent_difference_config_selectorILb0EyEEZNS1_24adjacent_difference_implIS3_Lb0ELb0EPKyPyN6thrust23THRUST_200600_302600_NS4plusIyEEEE10hipError_tPvRmT2_T3_mT4_P12ihipStream_tbEUlT_E_NS1_11comp_targetILNS1_3genE0ELNS1_11target_archE4294967295ELNS1_3gpuE0ELNS1_3repE0EEENS1_30default_config_static_selectorELNS0_4arch9wavefront6targetE0EEEvT1_
	.p2align	8
	.type	_ZN7rocprim17ROCPRIM_400000_NS6detail17trampoline_kernelINS0_14default_configENS1_35adjacent_difference_config_selectorILb0EyEEZNS1_24adjacent_difference_implIS3_Lb0ELb0EPKyPyN6thrust23THRUST_200600_302600_NS4plusIyEEEE10hipError_tPvRmT2_T3_mT4_P12ihipStream_tbEUlT_E_NS1_11comp_targetILNS1_3genE0ELNS1_11target_archE4294967295ELNS1_3gpuE0ELNS1_3repE0EEENS1_30default_config_static_selectorELNS0_4arch9wavefront6targetE0EEEvT1_,@function
_ZN7rocprim17ROCPRIM_400000_NS6detail17trampoline_kernelINS0_14default_configENS1_35adjacent_difference_config_selectorILb0EyEEZNS1_24adjacent_difference_implIS3_Lb0ELb0EPKyPyN6thrust23THRUST_200600_302600_NS4plusIyEEEE10hipError_tPvRmT2_T3_mT4_P12ihipStream_tbEUlT_E_NS1_11comp_targetILNS1_3genE0ELNS1_11target_archE4294967295ELNS1_3gpuE0ELNS1_3repE0EEENS1_30default_config_static_selectorELNS0_4arch9wavefront6targetE0EEEvT1_: ; @_ZN7rocprim17ROCPRIM_400000_NS6detail17trampoline_kernelINS0_14default_configENS1_35adjacent_difference_config_selectorILb0EyEEZNS1_24adjacent_difference_implIS3_Lb0ELb0EPKyPyN6thrust23THRUST_200600_302600_NS4plusIyEEEE10hipError_tPvRmT2_T3_mT4_P12ihipStream_tbEUlT_E_NS1_11comp_targetILNS1_3genE0ELNS1_11target_archE4294967295ELNS1_3gpuE0ELNS1_3repE0EEENS1_30default_config_static_selectorELNS0_4arch9wavefront6targetE0EEEvT1_
; %bb.0:
	.section	.rodata,"a",@progbits
	.p2align	6, 0x0
	.amdhsa_kernel _ZN7rocprim17ROCPRIM_400000_NS6detail17trampoline_kernelINS0_14default_configENS1_35adjacent_difference_config_selectorILb0EyEEZNS1_24adjacent_difference_implIS3_Lb0ELb0EPKyPyN6thrust23THRUST_200600_302600_NS4plusIyEEEE10hipError_tPvRmT2_T3_mT4_P12ihipStream_tbEUlT_E_NS1_11comp_targetILNS1_3genE0ELNS1_11target_archE4294967295ELNS1_3gpuE0ELNS1_3repE0EEENS1_30default_config_static_selectorELNS0_4arch9wavefront6targetE0EEEvT1_
		.amdhsa_group_segment_fixed_size 0
		.amdhsa_private_segment_fixed_size 0
		.amdhsa_kernarg_size 56
		.amdhsa_user_sgpr_count 15
		.amdhsa_user_sgpr_dispatch_ptr 0
		.amdhsa_user_sgpr_queue_ptr 0
		.amdhsa_user_sgpr_kernarg_segment_ptr 1
		.amdhsa_user_sgpr_dispatch_id 0
		.amdhsa_user_sgpr_private_segment_size 0
		.amdhsa_wavefront_size32 1
		.amdhsa_uses_dynamic_stack 0
		.amdhsa_enable_private_segment 0
		.amdhsa_system_sgpr_workgroup_id_x 1
		.amdhsa_system_sgpr_workgroup_id_y 0
		.amdhsa_system_sgpr_workgroup_id_z 0
		.amdhsa_system_sgpr_workgroup_info 0
		.amdhsa_system_vgpr_workitem_id 0
		.amdhsa_next_free_vgpr 1
		.amdhsa_next_free_sgpr 1
		.amdhsa_reserve_vcc 0
		.amdhsa_float_round_mode_32 0
		.amdhsa_float_round_mode_16_64 0
		.amdhsa_float_denorm_mode_32 3
		.amdhsa_float_denorm_mode_16_64 3
		.amdhsa_dx10_clamp 1
		.amdhsa_ieee_mode 1
		.amdhsa_fp16_overflow 0
		.amdhsa_workgroup_processor_mode 1
		.amdhsa_memory_ordered 1
		.amdhsa_forward_progress 0
		.amdhsa_shared_vgpr_count 0
		.amdhsa_exception_fp_ieee_invalid_op 0
		.amdhsa_exception_fp_denorm_src 0
		.amdhsa_exception_fp_ieee_div_zero 0
		.amdhsa_exception_fp_ieee_overflow 0
		.amdhsa_exception_fp_ieee_underflow 0
		.amdhsa_exception_fp_ieee_inexact 0
		.amdhsa_exception_int_div_zero 0
	.end_amdhsa_kernel
	.section	.text._ZN7rocprim17ROCPRIM_400000_NS6detail17trampoline_kernelINS0_14default_configENS1_35adjacent_difference_config_selectorILb0EyEEZNS1_24adjacent_difference_implIS3_Lb0ELb0EPKyPyN6thrust23THRUST_200600_302600_NS4plusIyEEEE10hipError_tPvRmT2_T3_mT4_P12ihipStream_tbEUlT_E_NS1_11comp_targetILNS1_3genE0ELNS1_11target_archE4294967295ELNS1_3gpuE0ELNS1_3repE0EEENS1_30default_config_static_selectorELNS0_4arch9wavefront6targetE0EEEvT1_,"axG",@progbits,_ZN7rocprim17ROCPRIM_400000_NS6detail17trampoline_kernelINS0_14default_configENS1_35adjacent_difference_config_selectorILb0EyEEZNS1_24adjacent_difference_implIS3_Lb0ELb0EPKyPyN6thrust23THRUST_200600_302600_NS4plusIyEEEE10hipError_tPvRmT2_T3_mT4_P12ihipStream_tbEUlT_E_NS1_11comp_targetILNS1_3genE0ELNS1_11target_archE4294967295ELNS1_3gpuE0ELNS1_3repE0EEENS1_30default_config_static_selectorELNS0_4arch9wavefront6targetE0EEEvT1_,comdat
.Lfunc_end623:
	.size	_ZN7rocprim17ROCPRIM_400000_NS6detail17trampoline_kernelINS0_14default_configENS1_35adjacent_difference_config_selectorILb0EyEEZNS1_24adjacent_difference_implIS3_Lb0ELb0EPKyPyN6thrust23THRUST_200600_302600_NS4plusIyEEEE10hipError_tPvRmT2_T3_mT4_P12ihipStream_tbEUlT_E_NS1_11comp_targetILNS1_3genE0ELNS1_11target_archE4294967295ELNS1_3gpuE0ELNS1_3repE0EEENS1_30default_config_static_selectorELNS0_4arch9wavefront6targetE0EEEvT1_, .Lfunc_end623-_ZN7rocprim17ROCPRIM_400000_NS6detail17trampoline_kernelINS0_14default_configENS1_35adjacent_difference_config_selectorILb0EyEEZNS1_24adjacent_difference_implIS3_Lb0ELb0EPKyPyN6thrust23THRUST_200600_302600_NS4plusIyEEEE10hipError_tPvRmT2_T3_mT4_P12ihipStream_tbEUlT_E_NS1_11comp_targetILNS1_3genE0ELNS1_11target_archE4294967295ELNS1_3gpuE0ELNS1_3repE0EEENS1_30default_config_static_selectorELNS0_4arch9wavefront6targetE0EEEvT1_
                                        ; -- End function
	.section	.AMDGPU.csdata,"",@progbits
; Kernel info:
; codeLenInByte = 0
; NumSgprs: 0
; NumVgprs: 0
; ScratchSize: 0
; MemoryBound: 0
; FloatMode: 240
; IeeeMode: 1
; LDSByteSize: 0 bytes/workgroup (compile time only)
; SGPRBlocks: 0
; VGPRBlocks: 0
; NumSGPRsForWavesPerEU: 1
; NumVGPRsForWavesPerEU: 1
; Occupancy: 16
; WaveLimiterHint : 0
; COMPUTE_PGM_RSRC2:SCRATCH_EN: 0
; COMPUTE_PGM_RSRC2:USER_SGPR: 15
; COMPUTE_PGM_RSRC2:TRAP_HANDLER: 0
; COMPUTE_PGM_RSRC2:TGID_X_EN: 1
; COMPUTE_PGM_RSRC2:TGID_Y_EN: 0
; COMPUTE_PGM_RSRC2:TGID_Z_EN: 0
; COMPUTE_PGM_RSRC2:TIDIG_COMP_CNT: 0
	.section	.text._ZN7rocprim17ROCPRIM_400000_NS6detail17trampoline_kernelINS0_14default_configENS1_35adjacent_difference_config_selectorILb0EyEEZNS1_24adjacent_difference_implIS3_Lb0ELb0EPKyPyN6thrust23THRUST_200600_302600_NS4plusIyEEEE10hipError_tPvRmT2_T3_mT4_P12ihipStream_tbEUlT_E_NS1_11comp_targetILNS1_3genE10ELNS1_11target_archE1201ELNS1_3gpuE5ELNS1_3repE0EEENS1_30default_config_static_selectorELNS0_4arch9wavefront6targetE0EEEvT1_,"axG",@progbits,_ZN7rocprim17ROCPRIM_400000_NS6detail17trampoline_kernelINS0_14default_configENS1_35adjacent_difference_config_selectorILb0EyEEZNS1_24adjacent_difference_implIS3_Lb0ELb0EPKyPyN6thrust23THRUST_200600_302600_NS4plusIyEEEE10hipError_tPvRmT2_T3_mT4_P12ihipStream_tbEUlT_E_NS1_11comp_targetILNS1_3genE10ELNS1_11target_archE1201ELNS1_3gpuE5ELNS1_3repE0EEENS1_30default_config_static_selectorELNS0_4arch9wavefront6targetE0EEEvT1_,comdat
	.protected	_ZN7rocprim17ROCPRIM_400000_NS6detail17trampoline_kernelINS0_14default_configENS1_35adjacent_difference_config_selectorILb0EyEEZNS1_24adjacent_difference_implIS3_Lb0ELb0EPKyPyN6thrust23THRUST_200600_302600_NS4plusIyEEEE10hipError_tPvRmT2_T3_mT4_P12ihipStream_tbEUlT_E_NS1_11comp_targetILNS1_3genE10ELNS1_11target_archE1201ELNS1_3gpuE5ELNS1_3repE0EEENS1_30default_config_static_selectorELNS0_4arch9wavefront6targetE0EEEvT1_ ; -- Begin function _ZN7rocprim17ROCPRIM_400000_NS6detail17trampoline_kernelINS0_14default_configENS1_35adjacent_difference_config_selectorILb0EyEEZNS1_24adjacent_difference_implIS3_Lb0ELb0EPKyPyN6thrust23THRUST_200600_302600_NS4plusIyEEEE10hipError_tPvRmT2_T3_mT4_P12ihipStream_tbEUlT_E_NS1_11comp_targetILNS1_3genE10ELNS1_11target_archE1201ELNS1_3gpuE5ELNS1_3repE0EEENS1_30default_config_static_selectorELNS0_4arch9wavefront6targetE0EEEvT1_
	.globl	_ZN7rocprim17ROCPRIM_400000_NS6detail17trampoline_kernelINS0_14default_configENS1_35adjacent_difference_config_selectorILb0EyEEZNS1_24adjacent_difference_implIS3_Lb0ELb0EPKyPyN6thrust23THRUST_200600_302600_NS4plusIyEEEE10hipError_tPvRmT2_T3_mT4_P12ihipStream_tbEUlT_E_NS1_11comp_targetILNS1_3genE10ELNS1_11target_archE1201ELNS1_3gpuE5ELNS1_3repE0EEENS1_30default_config_static_selectorELNS0_4arch9wavefront6targetE0EEEvT1_
	.p2align	8
	.type	_ZN7rocprim17ROCPRIM_400000_NS6detail17trampoline_kernelINS0_14default_configENS1_35adjacent_difference_config_selectorILb0EyEEZNS1_24adjacent_difference_implIS3_Lb0ELb0EPKyPyN6thrust23THRUST_200600_302600_NS4plusIyEEEE10hipError_tPvRmT2_T3_mT4_P12ihipStream_tbEUlT_E_NS1_11comp_targetILNS1_3genE10ELNS1_11target_archE1201ELNS1_3gpuE5ELNS1_3repE0EEENS1_30default_config_static_selectorELNS0_4arch9wavefront6targetE0EEEvT1_,@function
_ZN7rocprim17ROCPRIM_400000_NS6detail17trampoline_kernelINS0_14default_configENS1_35adjacent_difference_config_selectorILb0EyEEZNS1_24adjacent_difference_implIS3_Lb0ELb0EPKyPyN6thrust23THRUST_200600_302600_NS4plusIyEEEE10hipError_tPvRmT2_T3_mT4_P12ihipStream_tbEUlT_E_NS1_11comp_targetILNS1_3genE10ELNS1_11target_archE1201ELNS1_3gpuE5ELNS1_3repE0EEENS1_30default_config_static_selectorELNS0_4arch9wavefront6targetE0EEEvT1_: ; @_ZN7rocprim17ROCPRIM_400000_NS6detail17trampoline_kernelINS0_14default_configENS1_35adjacent_difference_config_selectorILb0EyEEZNS1_24adjacent_difference_implIS3_Lb0ELb0EPKyPyN6thrust23THRUST_200600_302600_NS4plusIyEEEE10hipError_tPvRmT2_T3_mT4_P12ihipStream_tbEUlT_E_NS1_11comp_targetILNS1_3genE10ELNS1_11target_archE1201ELNS1_3gpuE5ELNS1_3repE0EEENS1_30default_config_static_selectorELNS0_4arch9wavefront6targetE0EEEvT1_
; %bb.0:
	.section	.rodata,"a",@progbits
	.p2align	6, 0x0
	.amdhsa_kernel _ZN7rocprim17ROCPRIM_400000_NS6detail17trampoline_kernelINS0_14default_configENS1_35adjacent_difference_config_selectorILb0EyEEZNS1_24adjacent_difference_implIS3_Lb0ELb0EPKyPyN6thrust23THRUST_200600_302600_NS4plusIyEEEE10hipError_tPvRmT2_T3_mT4_P12ihipStream_tbEUlT_E_NS1_11comp_targetILNS1_3genE10ELNS1_11target_archE1201ELNS1_3gpuE5ELNS1_3repE0EEENS1_30default_config_static_selectorELNS0_4arch9wavefront6targetE0EEEvT1_
		.amdhsa_group_segment_fixed_size 0
		.amdhsa_private_segment_fixed_size 0
		.amdhsa_kernarg_size 56
		.amdhsa_user_sgpr_count 15
		.amdhsa_user_sgpr_dispatch_ptr 0
		.amdhsa_user_sgpr_queue_ptr 0
		.amdhsa_user_sgpr_kernarg_segment_ptr 1
		.amdhsa_user_sgpr_dispatch_id 0
		.amdhsa_user_sgpr_private_segment_size 0
		.amdhsa_wavefront_size32 1
		.amdhsa_uses_dynamic_stack 0
		.amdhsa_enable_private_segment 0
		.amdhsa_system_sgpr_workgroup_id_x 1
		.amdhsa_system_sgpr_workgroup_id_y 0
		.amdhsa_system_sgpr_workgroup_id_z 0
		.amdhsa_system_sgpr_workgroup_info 0
		.amdhsa_system_vgpr_workitem_id 0
		.amdhsa_next_free_vgpr 1
		.amdhsa_next_free_sgpr 1
		.amdhsa_reserve_vcc 0
		.amdhsa_float_round_mode_32 0
		.amdhsa_float_round_mode_16_64 0
		.amdhsa_float_denorm_mode_32 3
		.amdhsa_float_denorm_mode_16_64 3
		.amdhsa_dx10_clamp 1
		.amdhsa_ieee_mode 1
		.amdhsa_fp16_overflow 0
		.amdhsa_workgroup_processor_mode 1
		.amdhsa_memory_ordered 1
		.amdhsa_forward_progress 0
		.amdhsa_shared_vgpr_count 0
		.amdhsa_exception_fp_ieee_invalid_op 0
		.amdhsa_exception_fp_denorm_src 0
		.amdhsa_exception_fp_ieee_div_zero 0
		.amdhsa_exception_fp_ieee_overflow 0
		.amdhsa_exception_fp_ieee_underflow 0
		.amdhsa_exception_fp_ieee_inexact 0
		.amdhsa_exception_int_div_zero 0
	.end_amdhsa_kernel
	.section	.text._ZN7rocprim17ROCPRIM_400000_NS6detail17trampoline_kernelINS0_14default_configENS1_35adjacent_difference_config_selectorILb0EyEEZNS1_24adjacent_difference_implIS3_Lb0ELb0EPKyPyN6thrust23THRUST_200600_302600_NS4plusIyEEEE10hipError_tPvRmT2_T3_mT4_P12ihipStream_tbEUlT_E_NS1_11comp_targetILNS1_3genE10ELNS1_11target_archE1201ELNS1_3gpuE5ELNS1_3repE0EEENS1_30default_config_static_selectorELNS0_4arch9wavefront6targetE0EEEvT1_,"axG",@progbits,_ZN7rocprim17ROCPRIM_400000_NS6detail17trampoline_kernelINS0_14default_configENS1_35adjacent_difference_config_selectorILb0EyEEZNS1_24adjacent_difference_implIS3_Lb0ELb0EPKyPyN6thrust23THRUST_200600_302600_NS4plusIyEEEE10hipError_tPvRmT2_T3_mT4_P12ihipStream_tbEUlT_E_NS1_11comp_targetILNS1_3genE10ELNS1_11target_archE1201ELNS1_3gpuE5ELNS1_3repE0EEENS1_30default_config_static_selectorELNS0_4arch9wavefront6targetE0EEEvT1_,comdat
.Lfunc_end624:
	.size	_ZN7rocprim17ROCPRIM_400000_NS6detail17trampoline_kernelINS0_14default_configENS1_35adjacent_difference_config_selectorILb0EyEEZNS1_24adjacent_difference_implIS3_Lb0ELb0EPKyPyN6thrust23THRUST_200600_302600_NS4plusIyEEEE10hipError_tPvRmT2_T3_mT4_P12ihipStream_tbEUlT_E_NS1_11comp_targetILNS1_3genE10ELNS1_11target_archE1201ELNS1_3gpuE5ELNS1_3repE0EEENS1_30default_config_static_selectorELNS0_4arch9wavefront6targetE0EEEvT1_, .Lfunc_end624-_ZN7rocprim17ROCPRIM_400000_NS6detail17trampoline_kernelINS0_14default_configENS1_35adjacent_difference_config_selectorILb0EyEEZNS1_24adjacent_difference_implIS3_Lb0ELb0EPKyPyN6thrust23THRUST_200600_302600_NS4plusIyEEEE10hipError_tPvRmT2_T3_mT4_P12ihipStream_tbEUlT_E_NS1_11comp_targetILNS1_3genE10ELNS1_11target_archE1201ELNS1_3gpuE5ELNS1_3repE0EEENS1_30default_config_static_selectorELNS0_4arch9wavefront6targetE0EEEvT1_
                                        ; -- End function
	.section	.AMDGPU.csdata,"",@progbits
; Kernel info:
; codeLenInByte = 0
; NumSgprs: 0
; NumVgprs: 0
; ScratchSize: 0
; MemoryBound: 0
; FloatMode: 240
; IeeeMode: 1
; LDSByteSize: 0 bytes/workgroup (compile time only)
; SGPRBlocks: 0
; VGPRBlocks: 0
; NumSGPRsForWavesPerEU: 1
; NumVGPRsForWavesPerEU: 1
; Occupancy: 16
; WaveLimiterHint : 0
; COMPUTE_PGM_RSRC2:SCRATCH_EN: 0
; COMPUTE_PGM_RSRC2:USER_SGPR: 15
; COMPUTE_PGM_RSRC2:TRAP_HANDLER: 0
; COMPUTE_PGM_RSRC2:TGID_X_EN: 1
; COMPUTE_PGM_RSRC2:TGID_Y_EN: 0
; COMPUTE_PGM_RSRC2:TGID_Z_EN: 0
; COMPUTE_PGM_RSRC2:TIDIG_COMP_CNT: 0
	.section	.text._ZN7rocprim17ROCPRIM_400000_NS6detail17trampoline_kernelINS0_14default_configENS1_35adjacent_difference_config_selectorILb0EyEEZNS1_24adjacent_difference_implIS3_Lb0ELb0EPKyPyN6thrust23THRUST_200600_302600_NS4plusIyEEEE10hipError_tPvRmT2_T3_mT4_P12ihipStream_tbEUlT_E_NS1_11comp_targetILNS1_3genE5ELNS1_11target_archE942ELNS1_3gpuE9ELNS1_3repE0EEENS1_30default_config_static_selectorELNS0_4arch9wavefront6targetE0EEEvT1_,"axG",@progbits,_ZN7rocprim17ROCPRIM_400000_NS6detail17trampoline_kernelINS0_14default_configENS1_35adjacent_difference_config_selectorILb0EyEEZNS1_24adjacent_difference_implIS3_Lb0ELb0EPKyPyN6thrust23THRUST_200600_302600_NS4plusIyEEEE10hipError_tPvRmT2_T3_mT4_P12ihipStream_tbEUlT_E_NS1_11comp_targetILNS1_3genE5ELNS1_11target_archE942ELNS1_3gpuE9ELNS1_3repE0EEENS1_30default_config_static_selectorELNS0_4arch9wavefront6targetE0EEEvT1_,comdat
	.protected	_ZN7rocprim17ROCPRIM_400000_NS6detail17trampoline_kernelINS0_14default_configENS1_35adjacent_difference_config_selectorILb0EyEEZNS1_24adjacent_difference_implIS3_Lb0ELb0EPKyPyN6thrust23THRUST_200600_302600_NS4plusIyEEEE10hipError_tPvRmT2_T3_mT4_P12ihipStream_tbEUlT_E_NS1_11comp_targetILNS1_3genE5ELNS1_11target_archE942ELNS1_3gpuE9ELNS1_3repE0EEENS1_30default_config_static_selectorELNS0_4arch9wavefront6targetE0EEEvT1_ ; -- Begin function _ZN7rocprim17ROCPRIM_400000_NS6detail17trampoline_kernelINS0_14default_configENS1_35adjacent_difference_config_selectorILb0EyEEZNS1_24adjacent_difference_implIS3_Lb0ELb0EPKyPyN6thrust23THRUST_200600_302600_NS4plusIyEEEE10hipError_tPvRmT2_T3_mT4_P12ihipStream_tbEUlT_E_NS1_11comp_targetILNS1_3genE5ELNS1_11target_archE942ELNS1_3gpuE9ELNS1_3repE0EEENS1_30default_config_static_selectorELNS0_4arch9wavefront6targetE0EEEvT1_
	.globl	_ZN7rocprim17ROCPRIM_400000_NS6detail17trampoline_kernelINS0_14default_configENS1_35adjacent_difference_config_selectorILb0EyEEZNS1_24adjacent_difference_implIS3_Lb0ELb0EPKyPyN6thrust23THRUST_200600_302600_NS4plusIyEEEE10hipError_tPvRmT2_T3_mT4_P12ihipStream_tbEUlT_E_NS1_11comp_targetILNS1_3genE5ELNS1_11target_archE942ELNS1_3gpuE9ELNS1_3repE0EEENS1_30default_config_static_selectorELNS0_4arch9wavefront6targetE0EEEvT1_
	.p2align	8
	.type	_ZN7rocprim17ROCPRIM_400000_NS6detail17trampoline_kernelINS0_14default_configENS1_35adjacent_difference_config_selectorILb0EyEEZNS1_24adjacent_difference_implIS3_Lb0ELb0EPKyPyN6thrust23THRUST_200600_302600_NS4plusIyEEEE10hipError_tPvRmT2_T3_mT4_P12ihipStream_tbEUlT_E_NS1_11comp_targetILNS1_3genE5ELNS1_11target_archE942ELNS1_3gpuE9ELNS1_3repE0EEENS1_30default_config_static_selectorELNS0_4arch9wavefront6targetE0EEEvT1_,@function
_ZN7rocprim17ROCPRIM_400000_NS6detail17trampoline_kernelINS0_14default_configENS1_35adjacent_difference_config_selectorILb0EyEEZNS1_24adjacent_difference_implIS3_Lb0ELb0EPKyPyN6thrust23THRUST_200600_302600_NS4plusIyEEEE10hipError_tPvRmT2_T3_mT4_P12ihipStream_tbEUlT_E_NS1_11comp_targetILNS1_3genE5ELNS1_11target_archE942ELNS1_3gpuE9ELNS1_3repE0EEENS1_30default_config_static_selectorELNS0_4arch9wavefront6targetE0EEEvT1_: ; @_ZN7rocprim17ROCPRIM_400000_NS6detail17trampoline_kernelINS0_14default_configENS1_35adjacent_difference_config_selectorILb0EyEEZNS1_24adjacent_difference_implIS3_Lb0ELb0EPKyPyN6thrust23THRUST_200600_302600_NS4plusIyEEEE10hipError_tPvRmT2_T3_mT4_P12ihipStream_tbEUlT_E_NS1_11comp_targetILNS1_3genE5ELNS1_11target_archE942ELNS1_3gpuE9ELNS1_3repE0EEENS1_30default_config_static_selectorELNS0_4arch9wavefront6targetE0EEEvT1_
; %bb.0:
	.section	.rodata,"a",@progbits
	.p2align	6, 0x0
	.amdhsa_kernel _ZN7rocprim17ROCPRIM_400000_NS6detail17trampoline_kernelINS0_14default_configENS1_35adjacent_difference_config_selectorILb0EyEEZNS1_24adjacent_difference_implIS3_Lb0ELb0EPKyPyN6thrust23THRUST_200600_302600_NS4plusIyEEEE10hipError_tPvRmT2_T3_mT4_P12ihipStream_tbEUlT_E_NS1_11comp_targetILNS1_3genE5ELNS1_11target_archE942ELNS1_3gpuE9ELNS1_3repE0EEENS1_30default_config_static_selectorELNS0_4arch9wavefront6targetE0EEEvT1_
		.amdhsa_group_segment_fixed_size 0
		.amdhsa_private_segment_fixed_size 0
		.amdhsa_kernarg_size 56
		.amdhsa_user_sgpr_count 15
		.amdhsa_user_sgpr_dispatch_ptr 0
		.amdhsa_user_sgpr_queue_ptr 0
		.amdhsa_user_sgpr_kernarg_segment_ptr 1
		.amdhsa_user_sgpr_dispatch_id 0
		.amdhsa_user_sgpr_private_segment_size 0
		.amdhsa_wavefront_size32 1
		.amdhsa_uses_dynamic_stack 0
		.amdhsa_enable_private_segment 0
		.amdhsa_system_sgpr_workgroup_id_x 1
		.amdhsa_system_sgpr_workgroup_id_y 0
		.amdhsa_system_sgpr_workgroup_id_z 0
		.amdhsa_system_sgpr_workgroup_info 0
		.amdhsa_system_vgpr_workitem_id 0
		.amdhsa_next_free_vgpr 1
		.amdhsa_next_free_sgpr 1
		.amdhsa_reserve_vcc 0
		.amdhsa_float_round_mode_32 0
		.amdhsa_float_round_mode_16_64 0
		.amdhsa_float_denorm_mode_32 3
		.amdhsa_float_denorm_mode_16_64 3
		.amdhsa_dx10_clamp 1
		.amdhsa_ieee_mode 1
		.amdhsa_fp16_overflow 0
		.amdhsa_workgroup_processor_mode 1
		.amdhsa_memory_ordered 1
		.amdhsa_forward_progress 0
		.amdhsa_shared_vgpr_count 0
		.amdhsa_exception_fp_ieee_invalid_op 0
		.amdhsa_exception_fp_denorm_src 0
		.amdhsa_exception_fp_ieee_div_zero 0
		.amdhsa_exception_fp_ieee_overflow 0
		.amdhsa_exception_fp_ieee_underflow 0
		.amdhsa_exception_fp_ieee_inexact 0
		.amdhsa_exception_int_div_zero 0
	.end_amdhsa_kernel
	.section	.text._ZN7rocprim17ROCPRIM_400000_NS6detail17trampoline_kernelINS0_14default_configENS1_35adjacent_difference_config_selectorILb0EyEEZNS1_24adjacent_difference_implIS3_Lb0ELb0EPKyPyN6thrust23THRUST_200600_302600_NS4plusIyEEEE10hipError_tPvRmT2_T3_mT4_P12ihipStream_tbEUlT_E_NS1_11comp_targetILNS1_3genE5ELNS1_11target_archE942ELNS1_3gpuE9ELNS1_3repE0EEENS1_30default_config_static_selectorELNS0_4arch9wavefront6targetE0EEEvT1_,"axG",@progbits,_ZN7rocprim17ROCPRIM_400000_NS6detail17trampoline_kernelINS0_14default_configENS1_35adjacent_difference_config_selectorILb0EyEEZNS1_24adjacent_difference_implIS3_Lb0ELb0EPKyPyN6thrust23THRUST_200600_302600_NS4plusIyEEEE10hipError_tPvRmT2_T3_mT4_P12ihipStream_tbEUlT_E_NS1_11comp_targetILNS1_3genE5ELNS1_11target_archE942ELNS1_3gpuE9ELNS1_3repE0EEENS1_30default_config_static_selectorELNS0_4arch9wavefront6targetE0EEEvT1_,comdat
.Lfunc_end625:
	.size	_ZN7rocprim17ROCPRIM_400000_NS6detail17trampoline_kernelINS0_14default_configENS1_35adjacent_difference_config_selectorILb0EyEEZNS1_24adjacent_difference_implIS3_Lb0ELb0EPKyPyN6thrust23THRUST_200600_302600_NS4plusIyEEEE10hipError_tPvRmT2_T3_mT4_P12ihipStream_tbEUlT_E_NS1_11comp_targetILNS1_3genE5ELNS1_11target_archE942ELNS1_3gpuE9ELNS1_3repE0EEENS1_30default_config_static_selectorELNS0_4arch9wavefront6targetE0EEEvT1_, .Lfunc_end625-_ZN7rocprim17ROCPRIM_400000_NS6detail17trampoline_kernelINS0_14default_configENS1_35adjacent_difference_config_selectorILb0EyEEZNS1_24adjacent_difference_implIS3_Lb0ELb0EPKyPyN6thrust23THRUST_200600_302600_NS4plusIyEEEE10hipError_tPvRmT2_T3_mT4_P12ihipStream_tbEUlT_E_NS1_11comp_targetILNS1_3genE5ELNS1_11target_archE942ELNS1_3gpuE9ELNS1_3repE0EEENS1_30default_config_static_selectorELNS0_4arch9wavefront6targetE0EEEvT1_
                                        ; -- End function
	.section	.AMDGPU.csdata,"",@progbits
; Kernel info:
; codeLenInByte = 0
; NumSgprs: 0
; NumVgprs: 0
; ScratchSize: 0
; MemoryBound: 0
; FloatMode: 240
; IeeeMode: 1
; LDSByteSize: 0 bytes/workgroup (compile time only)
; SGPRBlocks: 0
; VGPRBlocks: 0
; NumSGPRsForWavesPerEU: 1
; NumVGPRsForWavesPerEU: 1
; Occupancy: 16
; WaveLimiterHint : 0
; COMPUTE_PGM_RSRC2:SCRATCH_EN: 0
; COMPUTE_PGM_RSRC2:USER_SGPR: 15
; COMPUTE_PGM_RSRC2:TRAP_HANDLER: 0
; COMPUTE_PGM_RSRC2:TGID_X_EN: 1
; COMPUTE_PGM_RSRC2:TGID_Y_EN: 0
; COMPUTE_PGM_RSRC2:TGID_Z_EN: 0
; COMPUTE_PGM_RSRC2:TIDIG_COMP_CNT: 0
	.section	.text._ZN7rocprim17ROCPRIM_400000_NS6detail17trampoline_kernelINS0_14default_configENS1_35adjacent_difference_config_selectorILb0EyEEZNS1_24adjacent_difference_implIS3_Lb0ELb0EPKyPyN6thrust23THRUST_200600_302600_NS4plusIyEEEE10hipError_tPvRmT2_T3_mT4_P12ihipStream_tbEUlT_E_NS1_11comp_targetILNS1_3genE4ELNS1_11target_archE910ELNS1_3gpuE8ELNS1_3repE0EEENS1_30default_config_static_selectorELNS0_4arch9wavefront6targetE0EEEvT1_,"axG",@progbits,_ZN7rocprim17ROCPRIM_400000_NS6detail17trampoline_kernelINS0_14default_configENS1_35adjacent_difference_config_selectorILb0EyEEZNS1_24adjacent_difference_implIS3_Lb0ELb0EPKyPyN6thrust23THRUST_200600_302600_NS4plusIyEEEE10hipError_tPvRmT2_T3_mT4_P12ihipStream_tbEUlT_E_NS1_11comp_targetILNS1_3genE4ELNS1_11target_archE910ELNS1_3gpuE8ELNS1_3repE0EEENS1_30default_config_static_selectorELNS0_4arch9wavefront6targetE0EEEvT1_,comdat
	.protected	_ZN7rocprim17ROCPRIM_400000_NS6detail17trampoline_kernelINS0_14default_configENS1_35adjacent_difference_config_selectorILb0EyEEZNS1_24adjacent_difference_implIS3_Lb0ELb0EPKyPyN6thrust23THRUST_200600_302600_NS4plusIyEEEE10hipError_tPvRmT2_T3_mT4_P12ihipStream_tbEUlT_E_NS1_11comp_targetILNS1_3genE4ELNS1_11target_archE910ELNS1_3gpuE8ELNS1_3repE0EEENS1_30default_config_static_selectorELNS0_4arch9wavefront6targetE0EEEvT1_ ; -- Begin function _ZN7rocprim17ROCPRIM_400000_NS6detail17trampoline_kernelINS0_14default_configENS1_35adjacent_difference_config_selectorILb0EyEEZNS1_24adjacent_difference_implIS3_Lb0ELb0EPKyPyN6thrust23THRUST_200600_302600_NS4plusIyEEEE10hipError_tPvRmT2_T3_mT4_P12ihipStream_tbEUlT_E_NS1_11comp_targetILNS1_3genE4ELNS1_11target_archE910ELNS1_3gpuE8ELNS1_3repE0EEENS1_30default_config_static_selectorELNS0_4arch9wavefront6targetE0EEEvT1_
	.globl	_ZN7rocprim17ROCPRIM_400000_NS6detail17trampoline_kernelINS0_14default_configENS1_35adjacent_difference_config_selectorILb0EyEEZNS1_24adjacent_difference_implIS3_Lb0ELb0EPKyPyN6thrust23THRUST_200600_302600_NS4plusIyEEEE10hipError_tPvRmT2_T3_mT4_P12ihipStream_tbEUlT_E_NS1_11comp_targetILNS1_3genE4ELNS1_11target_archE910ELNS1_3gpuE8ELNS1_3repE0EEENS1_30default_config_static_selectorELNS0_4arch9wavefront6targetE0EEEvT1_
	.p2align	8
	.type	_ZN7rocprim17ROCPRIM_400000_NS6detail17trampoline_kernelINS0_14default_configENS1_35adjacent_difference_config_selectorILb0EyEEZNS1_24adjacent_difference_implIS3_Lb0ELb0EPKyPyN6thrust23THRUST_200600_302600_NS4plusIyEEEE10hipError_tPvRmT2_T3_mT4_P12ihipStream_tbEUlT_E_NS1_11comp_targetILNS1_3genE4ELNS1_11target_archE910ELNS1_3gpuE8ELNS1_3repE0EEENS1_30default_config_static_selectorELNS0_4arch9wavefront6targetE0EEEvT1_,@function
_ZN7rocprim17ROCPRIM_400000_NS6detail17trampoline_kernelINS0_14default_configENS1_35adjacent_difference_config_selectorILb0EyEEZNS1_24adjacent_difference_implIS3_Lb0ELb0EPKyPyN6thrust23THRUST_200600_302600_NS4plusIyEEEE10hipError_tPvRmT2_T3_mT4_P12ihipStream_tbEUlT_E_NS1_11comp_targetILNS1_3genE4ELNS1_11target_archE910ELNS1_3gpuE8ELNS1_3repE0EEENS1_30default_config_static_selectorELNS0_4arch9wavefront6targetE0EEEvT1_: ; @_ZN7rocprim17ROCPRIM_400000_NS6detail17trampoline_kernelINS0_14default_configENS1_35adjacent_difference_config_selectorILb0EyEEZNS1_24adjacent_difference_implIS3_Lb0ELb0EPKyPyN6thrust23THRUST_200600_302600_NS4plusIyEEEE10hipError_tPvRmT2_T3_mT4_P12ihipStream_tbEUlT_E_NS1_11comp_targetILNS1_3genE4ELNS1_11target_archE910ELNS1_3gpuE8ELNS1_3repE0EEENS1_30default_config_static_selectorELNS0_4arch9wavefront6targetE0EEEvT1_
; %bb.0:
	.section	.rodata,"a",@progbits
	.p2align	6, 0x0
	.amdhsa_kernel _ZN7rocprim17ROCPRIM_400000_NS6detail17trampoline_kernelINS0_14default_configENS1_35adjacent_difference_config_selectorILb0EyEEZNS1_24adjacent_difference_implIS3_Lb0ELb0EPKyPyN6thrust23THRUST_200600_302600_NS4plusIyEEEE10hipError_tPvRmT2_T3_mT4_P12ihipStream_tbEUlT_E_NS1_11comp_targetILNS1_3genE4ELNS1_11target_archE910ELNS1_3gpuE8ELNS1_3repE0EEENS1_30default_config_static_selectorELNS0_4arch9wavefront6targetE0EEEvT1_
		.amdhsa_group_segment_fixed_size 0
		.amdhsa_private_segment_fixed_size 0
		.amdhsa_kernarg_size 56
		.amdhsa_user_sgpr_count 15
		.amdhsa_user_sgpr_dispatch_ptr 0
		.amdhsa_user_sgpr_queue_ptr 0
		.amdhsa_user_sgpr_kernarg_segment_ptr 1
		.amdhsa_user_sgpr_dispatch_id 0
		.amdhsa_user_sgpr_private_segment_size 0
		.amdhsa_wavefront_size32 1
		.amdhsa_uses_dynamic_stack 0
		.amdhsa_enable_private_segment 0
		.amdhsa_system_sgpr_workgroup_id_x 1
		.amdhsa_system_sgpr_workgroup_id_y 0
		.amdhsa_system_sgpr_workgroup_id_z 0
		.amdhsa_system_sgpr_workgroup_info 0
		.amdhsa_system_vgpr_workitem_id 0
		.amdhsa_next_free_vgpr 1
		.amdhsa_next_free_sgpr 1
		.amdhsa_reserve_vcc 0
		.amdhsa_float_round_mode_32 0
		.amdhsa_float_round_mode_16_64 0
		.amdhsa_float_denorm_mode_32 3
		.amdhsa_float_denorm_mode_16_64 3
		.amdhsa_dx10_clamp 1
		.amdhsa_ieee_mode 1
		.amdhsa_fp16_overflow 0
		.amdhsa_workgroup_processor_mode 1
		.amdhsa_memory_ordered 1
		.amdhsa_forward_progress 0
		.amdhsa_shared_vgpr_count 0
		.amdhsa_exception_fp_ieee_invalid_op 0
		.amdhsa_exception_fp_denorm_src 0
		.amdhsa_exception_fp_ieee_div_zero 0
		.amdhsa_exception_fp_ieee_overflow 0
		.amdhsa_exception_fp_ieee_underflow 0
		.amdhsa_exception_fp_ieee_inexact 0
		.amdhsa_exception_int_div_zero 0
	.end_amdhsa_kernel
	.section	.text._ZN7rocprim17ROCPRIM_400000_NS6detail17trampoline_kernelINS0_14default_configENS1_35adjacent_difference_config_selectorILb0EyEEZNS1_24adjacent_difference_implIS3_Lb0ELb0EPKyPyN6thrust23THRUST_200600_302600_NS4plusIyEEEE10hipError_tPvRmT2_T3_mT4_P12ihipStream_tbEUlT_E_NS1_11comp_targetILNS1_3genE4ELNS1_11target_archE910ELNS1_3gpuE8ELNS1_3repE0EEENS1_30default_config_static_selectorELNS0_4arch9wavefront6targetE0EEEvT1_,"axG",@progbits,_ZN7rocprim17ROCPRIM_400000_NS6detail17trampoline_kernelINS0_14default_configENS1_35adjacent_difference_config_selectorILb0EyEEZNS1_24adjacent_difference_implIS3_Lb0ELb0EPKyPyN6thrust23THRUST_200600_302600_NS4plusIyEEEE10hipError_tPvRmT2_T3_mT4_P12ihipStream_tbEUlT_E_NS1_11comp_targetILNS1_3genE4ELNS1_11target_archE910ELNS1_3gpuE8ELNS1_3repE0EEENS1_30default_config_static_selectorELNS0_4arch9wavefront6targetE0EEEvT1_,comdat
.Lfunc_end626:
	.size	_ZN7rocprim17ROCPRIM_400000_NS6detail17trampoline_kernelINS0_14default_configENS1_35adjacent_difference_config_selectorILb0EyEEZNS1_24adjacent_difference_implIS3_Lb0ELb0EPKyPyN6thrust23THRUST_200600_302600_NS4plusIyEEEE10hipError_tPvRmT2_T3_mT4_P12ihipStream_tbEUlT_E_NS1_11comp_targetILNS1_3genE4ELNS1_11target_archE910ELNS1_3gpuE8ELNS1_3repE0EEENS1_30default_config_static_selectorELNS0_4arch9wavefront6targetE0EEEvT1_, .Lfunc_end626-_ZN7rocprim17ROCPRIM_400000_NS6detail17trampoline_kernelINS0_14default_configENS1_35adjacent_difference_config_selectorILb0EyEEZNS1_24adjacent_difference_implIS3_Lb0ELb0EPKyPyN6thrust23THRUST_200600_302600_NS4plusIyEEEE10hipError_tPvRmT2_T3_mT4_P12ihipStream_tbEUlT_E_NS1_11comp_targetILNS1_3genE4ELNS1_11target_archE910ELNS1_3gpuE8ELNS1_3repE0EEENS1_30default_config_static_selectorELNS0_4arch9wavefront6targetE0EEEvT1_
                                        ; -- End function
	.section	.AMDGPU.csdata,"",@progbits
; Kernel info:
; codeLenInByte = 0
; NumSgprs: 0
; NumVgprs: 0
; ScratchSize: 0
; MemoryBound: 0
; FloatMode: 240
; IeeeMode: 1
; LDSByteSize: 0 bytes/workgroup (compile time only)
; SGPRBlocks: 0
; VGPRBlocks: 0
; NumSGPRsForWavesPerEU: 1
; NumVGPRsForWavesPerEU: 1
; Occupancy: 16
; WaveLimiterHint : 0
; COMPUTE_PGM_RSRC2:SCRATCH_EN: 0
; COMPUTE_PGM_RSRC2:USER_SGPR: 15
; COMPUTE_PGM_RSRC2:TRAP_HANDLER: 0
; COMPUTE_PGM_RSRC2:TGID_X_EN: 1
; COMPUTE_PGM_RSRC2:TGID_Y_EN: 0
; COMPUTE_PGM_RSRC2:TGID_Z_EN: 0
; COMPUTE_PGM_RSRC2:TIDIG_COMP_CNT: 0
	.section	.text._ZN7rocprim17ROCPRIM_400000_NS6detail17trampoline_kernelINS0_14default_configENS1_35adjacent_difference_config_selectorILb0EyEEZNS1_24adjacent_difference_implIS3_Lb0ELb0EPKyPyN6thrust23THRUST_200600_302600_NS4plusIyEEEE10hipError_tPvRmT2_T3_mT4_P12ihipStream_tbEUlT_E_NS1_11comp_targetILNS1_3genE3ELNS1_11target_archE908ELNS1_3gpuE7ELNS1_3repE0EEENS1_30default_config_static_selectorELNS0_4arch9wavefront6targetE0EEEvT1_,"axG",@progbits,_ZN7rocprim17ROCPRIM_400000_NS6detail17trampoline_kernelINS0_14default_configENS1_35adjacent_difference_config_selectorILb0EyEEZNS1_24adjacent_difference_implIS3_Lb0ELb0EPKyPyN6thrust23THRUST_200600_302600_NS4plusIyEEEE10hipError_tPvRmT2_T3_mT4_P12ihipStream_tbEUlT_E_NS1_11comp_targetILNS1_3genE3ELNS1_11target_archE908ELNS1_3gpuE7ELNS1_3repE0EEENS1_30default_config_static_selectorELNS0_4arch9wavefront6targetE0EEEvT1_,comdat
	.protected	_ZN7rocprim17ROCPRIM_400000_NS6detail17trampoline_kernelINS0_14default_configENS1_35adjacent_difference_config_selectorILb0EyEEZNS1_24adjacent_difference_implIS3_Lb0ELb0EPKyPyN6thrust23THRUST_200600_302600_NS4plusIyEEEE10hipError_tPvRmT2_T3_mT4_P12ihipStream_tbEUlT_E_NS1_11comp_targetILNS1_3genE3ELNS1_11target_archE908ELNS1_3gpuE7ELNS1_3repE0EEENS1_30default_config_static_selectorELNS0_4arch9wavefront6targetE0EEEvT1_ ; -- Begin function _ZN7rocprim17ROCPRIM_400000_NS6detail17trampoline_kernelINS0_14default_configENS1_35adjacent_difference_config_selectorILb0EyEEZNS1_24adjacent_difference_implIS3_Lb0ELb0EPKyPyN6thrust23THRUST_200600_302600_NS4plusIyEEEE10hipError_tPvRmT2_T3_mT4_P12ihipStream_tbEUlT_E_NS1_11comp_targetILNS1_3genE3ELNS1_11target_archE908ELNS1_3gpuE7ELNS1_3repE0EEENS1_30default_config_static_selectorELNS0_4arch9wavefront6targetE0EEEvT1_
	.globl	_ZN7rocprim17ROCPRIM_400000_NS6detail17trampoline_kernelINS0_14default_configENS1_35adjacent_difference_config_selectorILb0EyEEZNS1_24adjacent_difference_implIS3_Lb0ELb0EPKyPyN6thrust23THRUST_200600_302600_NS4plusIyEEEE10hipError_tPvRmT2_T3_mT4_P12ihipStream_tbEUlT_E_NS1_11comp_targetILNS1_3genE3ELNS1_11target_archE908ELNS1_3gpuE7ELNS1_3repE0EEENS1_30default_config_static_selectorELNS0_4arch9wavefront6targetE0EEEvT1_
	.p2align	8
	.type	_ZN7rocprim17ROCPRIM_400000_NS6detail17trampoline_kernelINS0_14default_configENS1_35adjacent_difference_config_selectorILb0EyEEZNS1_24adjacent_difference_implIS3_Lb0ELb0EPKyPyN6thrust23THRUST_200600_302600_NS4plusIyEEEE10hipError_tPvRmT2_T3_mT4_P12ihipStream_tbEUlT_E_NS1_11comp_targetILNS1_3genE3ELNS1_11target_archE908ELNS1_3gpuE7ELNS1_3repE0EEENS1_30default_config_static_selectorELNS0_4arch9wavefront6targetE0EEEvT1_,@function
_ZN7rocprim17ROCPRIM_400000_NS6detail17trampoline_kernelINS0_14default_configENS1_35adjacent_difference_config_selectorILb0EyEEZNS1_24adjacent_difference_implIS3_Lb0ELb0EPKyPyN6thrust23THRUST_200600_302600_NS4plusIyEEEE10hipError_tPvRmT2_T3_mT4_P12ihipStream_tbEUlT_E_NS1_11comp_targetILNS1_3genE3ELNS1_11target_archE908ELNS1_3gpuE7ELNS1_3repE0EEENS1_30default_config_static_selectorELNS0_4arch9wavefront6targetE0EEEvT1_: ; @_ZN7rocprim17ROCPRIM_400000_NS6detail17trampoline_kernelINS0_14default_configENS1_35adjacent_difference_config_selectorILb0EyEEZNS1_24adjacent_difference_implIS3_Lb0ELb0EPKyPyN6thrust23THRUST_200600_302600_NS4plusIyEEEE10hipError_tPvRmT2_T3_mT4_P12ihipStream_tbEUlT_E_NS1_11comp_targetILNS1_3genE3ELNS1_11target_archE908ELNS1_3gpuE7ELNS1_3repE0EEENS1_30default_config_static_selectorELNS0_4arch9wavefront6targetE0EEEvT1_
; %bb.0:
	.section	.rodata,"a",@progbits
	.p2align	6, 0x0
	.amdhsa_kernel _ZN7rocprim17ROCPRIM_400000_NS6detail17trampoline_kernelINS0_14default_configENS1_35adjacent_difference_config_selectorILb0EyEEZNS1_24adjacent_difference_implIS3_Lb0ELb0EPKyPyN6thrust23THRUST_200600_302600_NS4plusIyEEEE10hipError_tPvRmT2_T3_mT4_P12ihipStream_tbEUlT_E_NS1_11comp_targetILNS1_3genE3ELNS1_11target_archE908ELNS1_3gpuE7ELNS1_3repE0EEENS1_30default_config_static_selectorELNS0_4arch9wavefront6targetE0EEEvT1_
		.amdhsa_group_segment_fixed_size 0
		.amdhsa_private_segment_fixed_size 0
		.amdhsa_kernarg_size 56
		.amdhsa_user_sgpr_count 15
		.amdhsa_user_sgpr_dispatch_ptr 0
		.amdhsa_user_sgpr_queue_ptr 0
		.amdhsa_user_sgpr_kernarg_segment_ptr 1
		.amdhsa_user_sgpr_dispatch_id 0
		.amdhsa_user_sgpr_private_segment_size 0
		.amdhsa_wavefront_size32 1
		.amdhsa_uses_dynamic_stack 0
		.amdhsa_enable_private_segment 0
		.amdhsa_system_sgpr_workgroup_id_x 1
		.amdhsa_system_sgpr_workgroup_id_y 0
		.amdhsa_system_sgpr_workgroup_id_z 0
		.amdhsa_system_sgpr_workgroup_info 0
		.amdhsa_system_vgpr_workitem_id 0
		.amdhsa_next_free_vgpr 1
		.amdhsa_next_free_sgpr 1
		.amdhsa_reserve_vcc 0
		.amdhsa_float_round_mode_32 0
		.amdhsa_float_round_mode_16_64 0
		.amdhsa_float_denorm_mode_32 3
		.amdhsa_float_denorm_mode_16_64 3
		.amdhsa_dx10_clamp 1
		.amdhsa_ieee_mode 1
		.amdhsa_fp16_overflow 0
		.amdhsa_workgroup_processor_mode 1
		.amdhsa_memory_ordered 1
		.amdhsa_forward_progress 0
		.amdhsa_shared_vgpr_count 0
		.amdhsa_exception_fp_ieee_invalid_op 0
		.amdhsa_exception_fp_denorm_src 0
		.amdhsa_exception_fp_ieee_div_zero 0
		.amdhsa_exception_fp_ieee_overflow 0
		.amdhsa_exception_fp_ieee_underflow 0
		.amdhsa_exception_fp_ieee_inexact 0
		.amdhsa_exception_int_div_zero 0
	.end_amdhsa_kernel
	.section	.text._ZN7rocprim17ROCPRIM_400000_NS6detail17trampoline_kernelINS0_14default_configENS1_35adjacent_difference_config_selectorILb0EyEEZNS1_24adjacent_difference_implIS3_Lb0ELb0EPKyPyN6thrust23THRUST_200600_302600_NS4plusIyEEEE10hipError_tPvRmT2_T3_mT4_P12ihipStream_tbEUlT_E_NS1_11comp_targetILNS1_3genE3ELNS1_11target_archE908ELNS1_3gpuE7ELNS1_3repE0EEENS1_30default_config_static_selectorELNS0_4arch9wavefront6targetE0EEEvT1_,"axG",@progbits,_ZN7rocprim17ROCPRIM_400000_NS6detail17trampoline_kernelINS0_14default_configENS1_35adjacent_difference_config_selectorILb0EyEEZNS1_24adjacent_difference_implIS3_Lb0ELb0EPKyPyN6thrust23THRUST_200600_302600_NS4plusIyEEEE10hipError_tPvRmT2_T3_mT4_P12ihipStream_tbEUlT_E_NS1_11comp_targetILNS1_3genE3ELNS1_11target_archE908ELNS1_3gpuE7ELNS1_3repE0EEENS1_30default_config_static_selectorELNS0_4arch9wavefront6targetE0EEEvT1_,comdat
.Lfunc_end627:
	.size	_ZN7rocprim17ROCPRIM_400000_NS6detail17trampoline_kernelINS0_14default_configENS1_35adjacent_difference_config_selectorILb0EyEEZNS1_24adjacent_difference_implIS3_Lb0ELb0EPKyPyN6thrust23THRUST_200600_302600_NS4plusIyEEEE10hipError_tPvRmT2_T3_mT4_P12ihipStream_tbEUlT_E_NS1_11comp_targetILNS1_3genE3ELNS1_11target_archE908ELNS1_3gpuE7ELNS1_3repE0EEENS1_30default_config_static_selectorELNS0_4arch9wavefront6targetE0EEEvT1_, .Lfunc_end627-_ZN7rocprim17ROCPRIM_400000_NS6detail17trampoline_kernelINS0_14default_configENS1_35adjacent_difference_config_selectorILb0EyEEZNS1_24adjacent_difference_implIS3_Lb0ELb0EPKyPyN6thrust23THRUST_200600_302600_NS4plusIyEEEE10hipError_tPvRmT2_T3_mT4_P12ihipStream_tbEUlT_E_NS1_11comp_targetILNS1_3genE3ELNS1_11target_archE908ELNS1_3gpuE7ELNS1_3repE0EEENS1_30default_config_static_selectorELNS0_4arch9wavefront6targetE0EEEvT1_
                                        ; -- End function
	.section	.AMDGPU.csdata,"",@progbits
; Kernel info:
; codeLenInByte = 0
; NumSgprs: 0
; NumVgprs: 0
; ScratchSize: 0
; MemoryBound: 0
; FloatMode: 240
; IeeeMode: 1
; LDSByteSize: 0 bytes/workgroup (compile time only)
; SGPRBlocks: 0
; VGPRBlocks: 0
; NumSGPRsForWavesPerEU: 1
; NumVGPRsForWavesPerEU: 1
; Occupancy: 16
; WaveLimiterHint : 0
; COMPUTE_PGM_RSRC2:SCRATCH_EN: 0
; COMPUTE_PGM_RSRC2:USER_SGPR: 15
; COMPUTE_PGM_RSRC2:TRAP_HANDLER: 0
; COMPUTE_PGM_RSRC2:TGID_X_EN: 1
; COMPUTE_PGM_RSRC2:TGID_Y_EN: 0
; COMPUTE_PGM_RSRC2:TGID_Z_EN: 0
; COMPUTE_PGM_RSRC2:TIDIG_COMP_CNT: 0
	.section	.text._ZN7rocprim17ROCPRIM_400000_NS6detail17trampoline_kernelINS0_14default_configENS1_35adjacent_difference_config_selectorILb0EyEEZNS1_24adjacent_difference_implIS3_Lb0ELb0EPKyPyN6thrust23THRUST_200600_302600_NS4plusIyEEEE10hipError_tPvRmT2_T3_mT4_P12ihipStream_tbEUlT_E_NS1_11comp_targetILNS1_3genE2ELNS1_11target_archE906ELNS1_3gpuE6ELNS1_3repE0EEENS1_30default_config_static_selectorELNS0_4arch9wavefront6targetE0EEEvT1_,"axG",@progbits,_ZN7rocprim17ROCPRIM_400000_NS6detail17trampoline_kernelINS0_14default_configENS1_35adjacent_difference_config_selectorILb0EyEEZNS1_24adjacent_difference_implIS3_Lb0ELb0EPKyPyN6thrust23THRUST_200600_302600_NS4plusIyEEEE10hipError_tPvRmT2_T3_mT4_P12ihipStream_tbEUlT_E_NS1_11comp_targetILNS1_3genE2ELNS1_11target_archE906ELNS1_3gpuE6ELNS1_3repE0EEENS1_30default_config_static_selectorELNS0_4arch9wavefront6targetE0EEEvT1_,comdat
	.protected	_ZN7rocprim17ROCPRIM_400000_NS6detail17trampoline_kernelINS0_14default_configENS1_35adjacent_difference_config_selectorILb0EyEEZNS1_24adjacent_difference_implIS3_Lb0ELb0EPKyPyN6thrust23THRUST_200600_302600_NS4plusIyEEEE10hipError_tPvRmT2_T3_mT4_P12ihipStream_tbEUlT_E_NS1_11comp_targetILNS1_3genE2ELNS1_11target_archE906ELNS1_3gpuE6ELNS1_3repE0EEENS1_30default_config_static_selectorELNS0_4arch9wavefront6targetE0EEEvT1_ ; -- Begin function _ZN7rocprim17ROCPRIM_400000_NS6detail17trampoline_kernelINS0_14default_configENS1_35adjacent_difference_config_selectorILb0EyEEZNS1_24adjacent_difference_implIS3_Lb0ELb0EPKyPyN6thrust23THRUST_200600_302600_NS4plusIyEEEE10hipError_tPvRmT2_T3_mT4_P12ihipStream_tbEUlT_E_NS1_11comp_targetILNS1_3genE2ELNS1_11target_archE906ELNS1_3gpuE6ELNS1_3repE0EEENS1_30default_config_static_selectorELNS0_4arch9wavefront6targetE0EEEvT1_
	.globl	_ZN7rocprim17ROCPRIM_400000_NS6detail17trampoline_kernelINS0_14default_configENS1_35adjacent_difference_config_selectorILb0EyEEZNS1_24adjacent_difference_implIS3_Lb0ELb0EPKyPyN6thrust23THRUST_200600_302600_NS4plusIyEEEE10hipError_tPvRmT2_T3_mT4_P12ihipStream_tbEUlT_E_NS1_11comp_targetILNS1_3genE2ELNS1_11target_archE906ELNS1_3gpuE6ELNS1_3repE0EEENS1_30default_config_static_selectorELNS0_4arch9wavefront6targetE0EEEvT1_
	.p2align	8
	.type	_ZN7rocprim17ROCPRIM_400000_NS6detail17trampoline_kernelINS0_14default_configENS1_35adjacent_difference_config_selectorILb0EyEEZNS1_24adjacent_difference_implIS3_Lb0ELb0EPKyPyN6thrust23THRUST_200600_302600_NS4plusIyEEEE10hipError_tPvRmT2_T3_mT4_P12ihipStream_tbEUlT_E_NS1_11comp_targetILNS1_3genE2ELNS1_11target_archE906ELNS1_3gpuE6ELNS1_3repE0EEENS1_30default_config_static_selectorELNS0_4arch9wavefront6targetE0EEEvT1_,@function
_ZN7rocprim17ROCPRIM_400000_NS6detail17trampoline_kernelINS0_14default_configENS1_35adjacent_difference_config_selectorILb0EyEEZNS1_24adjacent_difference_implIS3_Lb0ELb0EPKyPyN6thrust23THRUST_200600_302600_NS4plusIyEEEE10hipError_tPvRmT2_T3_mT4_P12ihipStream_tbEUlT_E_NS1_11comp_targetILNS1_3genE2ELNS1_11target_archE906ELNS1_3gpuE6ELNS1_3repE0EEENS1_30default_config_static_selectorELNS0_4arch9wavefront6targetE0EEEvT1_: ; @_ZN7rocprim17ROCPRIM_400000_NS6detail17trampoline_kernelINS0_14default_configENS1_35adjacent_difference_config_selectorILb0EyEEZNS1_24adjacent_difference_implIS3_Lb0ELb0EPKyPyN6thrust23THRUST_200600_302600_NS4plusIyEEEE10hipError_tPvRmT2_T3_mT4_P12ihipStream_tbEUlT_E_NS1_11comp_targetILNS1_3genE2ELNS1_11target_archE906ELNS1_3gpuE6ELNS1_3repE0EEENS1_30default_config_static_selectorELNS0_4arch9wavefront6targetE0EEEvT1_
; %bb.0:
	.section	.rodata,"a",@progbits
	.p2align	6, 0x0
	.amdhsa_kernel _ZN7rocprim17ROCPRIM_400000_NS6detail17trampoline_kernelINS0_14default_configENS1_35adjacent_difference_config_selectorILb0EyEEZNS1_24adjacent_difference_implIS3_Lb0ELb0EPKyPyN6thrust23THRUST_200600_302600_NS4plusIyEEEE10hipError_tPvRmT2_T3_mT4_P12ihipStream_tbEUlT_E_NS1_11comp_targetILNS1_3genE2ELNS1_11target_archE906ELNS1_3gpuE6ELNS1_3repE0EEENS1_30default_config_static_selectorELNS0_4arch9wavefront6targetE0EEEvT1_
		.amdhsa_group_segment_fixed_size 0
		.amdhsa_private_segment_fixed_size 0
		.amdhsa_kernarg_size 56
		.amdhsa_user_sgpr_count 15
		.amdhsa_user_sgpr_dispatch_ptr 0
		.amdhsa_user_sgpr_queue_ptr 0
		.amdhsa_user_sgpr_kernarg_segment_ptr 1
		.amdhsa_user_sgpr_dispatch_id 0
		.amdhsa_user_sgpr_private_segment_size 0
		.amdhsa_wavefront_size32 1
		.amdhsa_uses_dynamic_stack 0
		.amdhsa_enable_private_segment 0
		.amdhsa_system_sgpr_workgroup_id_x 1
		.amdhsa_system_sgpr_workgroup_id_y 0
		.amdhsa_system_sgpr_workgroup_id_z 0
		.amdhsa_system_sgpr_workgroup_info 0
		.amdhsa_system_vgpr_workitem_id 0
		.amdhsa_next_free_vgpr 1
		.amdhsa_next_free_sgpr 1
		.amdhsa_reserve_vcc 0
		.amdhsa_float_round_mode_32 0
		.amdhsa_float_round_mode_16_64 0
		.amdhsa_float_denorm_mode_32 3
		.amdhsa_float_denorm_mode_16_64 3
		.amdhsa_dx10_clamp 1
		.amdhsa_ieee_mode 1
		.amdhsa_fp16_overflow 0
		.amdhsa_workgroup_processor_mode 1
		.amdhsa_memory_ordered 1
		.amdhsa_forward_progress 0
		.amdhsa_shared_vgpr_count 0
		.amdhsa_exception_fp_ieee_invalid_op 0
		.amdhsa_exception_fp_denorm_src 0
		.amdhsa_exception_fp_ieee_div_zero 0
		.amdhsa_exception_fp_ieee_overflow 0
		.amdhsa_exception_fp_ieee_underflow 0
		.amdhsa_exception_fp_ieee_inexact 0
		.amdhsa_exception_int_div_zero 0
	.end_amdhsa_kernel
	.section	.text._ZN7rocprim17ROCPRIM_400000_NS6detail17trampoline_kernelINS0_14default_configENS1_35adjacent_difference_config_selectorILb0EyEEZNS1_24adjacent_difference_implIS3_Lb0ELb0EPKyPyN6thrust23THRUST_200600_302600_NS4plusIyEEEE10hipError_tPvRmT2_T3_mT4_P12ihipStream_tbEUlT_E_NS1_11comp_targetILNS1_3genE2ELNS1_11target_archE906ELNS1_3gpuE6ELNS1_3repE0EEENS1_30default_config_static_selectorELNS0_4arch9wavefront6targetE0EEEvT1_,"axG",@progbits,_ZN7rocprim17ROCPRIM_400000_NS6detail17trampoline_kernelINS0_14default_configENS1_35adjacent_difference_config_selectorILb0EyEEZNS1_24adjacent_difference_implIS3_Lb0ELb0EPKyPyN6thrust23THRUST_200600_302600_NS4plusIyEEEE10hipError_tPvRmT2_T3_mT4_P12ihipStream_tbEUlT_E_NS1_11comp_targetILNS1_3genE2ELNS1_11target_archE906ELNS1_3gpuE6ELNS1_3repE0EEENS1_30default_config_static_selectorELNS0_4arch9wavefront6targetE0EEEvT1_,comdat
.Lfunc_end628:
	.size	_ZN7rocprim17ROCPRIM_400000_NS6detail17trampoline_kernelINS0_14default_configENS1_35adjacent_difference_config_selectorILb0EyEEZNS1_24adjacent_difference_implIS3_Lb0ELb0EPKyPyN6thrust23THRUST_200600_302600_NS4plusIyEEEE10hipError_tPvRmT2_T3_mT4_P12ihipStream_tbEUlT_E_NS1_11comp_targetILNS1_3genE2ELNS1_11target_archE906ELNS1_3gpuE6ELNS1_3repE0EEENS1_30default_config_static_selectorELNS0_4arch9wavefront6targetE0EEEvT1_, .Lfunc_end628-_ZN7rocprim17ROCPRIM_400000_NS6detail17trampoline_kernelINS0_14default_configENS1_35adjacent_difference_config_selectorILb0EyEEZNS1_24adjacent_difference_implIS3_Lb0ELb0EPKyPyN6thrust23THRUST_200600_302600_NS4plusIyEEEE10hipError_tPvRmT2_T3_mT4_P12ihipStream_tbEUlT_E_NS1_11comp_targetILNS1_3genE2ELNS1_11target_archE906ELNS1_3gpuE6ELNS1_3repE0EEENS1_30default_config_static_selectorELNS0_4arch9wavefront6targetE0EEEvT1_
                                        ; -- End function
	.section	.AMDGPU.csdata,"",@progbits
; Kernel info:
; codeLenInByte = 0
; NumSgprs: 0
; NumVgprs: 0
; ScratchSize: 0
; MemoryBound: 0
; FloatMode: 240
; IeeeMode: 1
; LDSByteSize: 0 bytes/workgroup (compile time only)
; SGPRBlocks: 0
; VGPRBlocks: 0
; NumSGPRsForWavesPerEU: 1
; NumVGPRsForWavesPerEU: 1
; Occupancy: 16
; WaveLimiterHint : 0
; COMPUTE_PGM_RSRC2:SCRATCH_EN: 0
; COMPUTE_PGM_RSRC2:USER_SGPR: 15
; COMPUTE_PGM_RSRC2:TRAP_HANDLER: 0
; COMPUTE_PGM_RSRC2:TGID_X_EN: 1
; COMPUTE_PGM_RSRC2:TGID_Y_EN: 0
; COMPUTE_PGM_RSRC2:TGID_Z_EN: 0
; COMPUTE_PGM_RSRC2:TIDIG_COMP_CNT: 0
	.section	.text._ZN7rocprim17ROCPRIM_400000_NS6detail17trampoline_kernelINS0_14default_configENS1_35adjacent_difference_config_selectorILb0EyEEZNS1_24adjacent_difference_implIS3_Lb0ELb0EPKyPyN6thrust23THRUST_200600_302600_NS4plusIyEEEE10hipError_tPvRmT2_T3_mT4_P12ihipStream_tbEUlT_E_NS1_11comp_targetILNS1_3genE9ELNS1_11target_archE1100ELNS1_3gpuE3ELNS1_3repE0EEENS1_30default_config_static_selectorELNS0_4arch9wavefront6targetE0EEEvT1_,"axG",@progbits,_ZN7rocprim17ROCPRIM_400000_NS6detail17trampoline_kernelINS0_14default_configENS1_35adjacent_difference_config_selectorILb0EyEEZNS1_24adjacent_difference_implIS3_Lb0ELb0EPKyPyN6thrust23THRUST_200600_302600_NS4plusIyEEEE10hipError_tPvRmT2_T3_mT4_P12ihipStream_tbEUlT_E_NS1_11comp_targetILNS1_3genE9ELNS1_11target_archE1100ELNS1_3gpuE3ELNS1_3repE0EEENS1_30default_config_static_selectorELNS0_4arch9wavefront6targetE0EEEvT1_,comdat
	.protected	_ZN7rocprim17ROCPRIM_400000_NS6detail17trampoline_kernelINS0_14default_configENS1_35adjacent_difference_config_selectorILb0EyEEZNS1_24adjacent_difference_implIS3_Lb0ELb0EPKyPyN6thrust23THRUST_200600_302600_NS4plusIyEEEE10hipError_tPvRmT2_T3_mT4_P12ihipStream_tbEUlT_E_NS1_11comp_targetILNS1_3genE9ELNS1_11target_archE1100ELNS1_3gpuE3ELNS1_3repE0EEENS1_30default_config_static_selectorELNS0_4arch9wavefront6targetE0EEEvT1_ ; -- Begin function _ZN7rocprim17ROCPRIM_400000_NS6detail17trampoline_kernelINS0_14default_configENS1_35adjacent_difference_config_selectorILb0EyEEZNS1_24adjacent_difference_implIS3_Lb0ELb0EPKyPyN6thrust23THRUST_200600_302600_NS4plusIyEEEE10hipError_tPvRmT2_T3_mT4_P12ihipStream_tbEUlT_E_NS1_11comp_targetILNS1_3genE9ELNS1_11target_archE1100ELNS1_3gpuE3ELNS1_3repE0EEENS1_30default_config_static_selectorELNS0_4arch9wavefront6targetE0EEEvT1_
	.globl	_ZN7rocprim17ROCPRIM_400000_NS6detail17trampoline_kernelINS0_14default_configENS1_35adjacent_difference_config_selectorILb0EyEEZNS1_24adjacent_difference_implIS3_Lb0ELb0EPKyPyN6thrust23THRUST_200600_302600_NS4plusIyEEEE10hipError_tPvRmT2_T3_mT4_P12ihipStream_tbEUlT_E_NS1_11comp_targetILNS1_3genE9ELNS1_11target_archE1100ELNS1_3gpuE3ELNS1_3repE0EEENS1_30default_config_static_selectorELNS0_4arch9wavefront6targetE0EEEvT1_
	.p2align	8
	.type	_ZN7rocprim17ROCPRIM_400000_NS6detail17trampoline_kernelINS0_14default_configENS1_35adjacent_difference_config_selectorILb0EyEEZNS1_24adjacent_difference_implIS3_Lb0ELb0EPKyPyN6thrust23THRUST_200600_302600_NS4plusIyEEEE10hipError_tPvRmT2_T3_mT4_P12ihipStream_tbEUlT_E_NS1_11comp_targetILNS1_3genE9ELNS1_11target_archE1100ELNS1_3gpuE3ELNS1_3repE0EEENS1_30default_config_static_selectorELNS0_4arch9wavefront6targetE0EEEvT1_,@function
_ZN7rocprim17ROCPRIM_400000_NS6detail17trampoline_kernelINS0_14default_configENS1_35adjacent_difference_config_selectorILb0EyEEZNS1_24adjacent_difference_implIS3_Lb0ELb0EPKyPyN6thrust23THRUST_200600_302600_NS4plusIyEEEE10hipError_tPvRmT2_T3_mT4_P12ihipStream_tbEUlT_E_NS1_11comp_targetILNS1_3genE9ELNS1_11target_archE1100ELNS1_3gpuE3ELNS1_3repE0EEENS1_30default_config_static_selectorELNS0_4arch9wavefront6targetE0EEEvT1_: ; @_ZN7rocprim17ROCPRIM_400000_NS6detail17trampoline_kernelINS0_14default_configENS1_35adjacent_difference_config_selectorILb0EyEEZNS1_24adjacent_difference_implIS3_Lb0ELb0EPKyPyN6thrust23THRUST_200600_302600_NS4plusIyEEEE10hipError_tPvRmT2_T3_mT4_P12ihipStream_tbEUlT_E_NS1_11comp_targetILNS1_3genE9ELNS1_11target_archE1100ELNS1_3gpuE3ELNS1_3repE0EEENS1_30default_config_static_selectorELNS0_4arch9wavefront6targetE0EEEvT1_
; %bb.0:
	s_clause 0x1
	s_load_b256 s[4:11], s[0:1], 0x0
	s_load_b64 s[18:19], s[0:1], 0x30
	s_mov_b32 s13, 0
	s_waitcnt lgkmcnt(0)
	s_lshl_b64 s[6:7], s[6:7], 3
	s_delay_alu instid0(SALU_CYCLE_1)
	s_add_u32 s14, s4, s6
	s_addc_u32 s16, s5, s7
	s_and_b32 s12, s10, 0x1ff
	s_lshl_b32 s2, s15, 9
	s_lshr_b64 s[0:1], s[10:11], 9
	s_cmp_lg_u64 s[12:13], 0
	s_cselect_b32 s3, -1, 0
	s_delay_alu instid0(SALU_CYCLE_1) | instskip(NEXT) | instid1(VALU_DEP_1)
	v_cndmask_b32_e64 v1, 0, 1, s3
	v_readfirstlane_b32 s3, v1
	s_delay_alu instid0(VALU_DEP_1)
	s_add_u32 s0, s0, s3
	s_addc_u32 s1, s1, 0
	s_add_u32 s12, s18, s15
	s_addc_u32 s13, s19, 0
	s_add_u32 s4, s0, -1
	s_addc_u32 s5, s1, -1
	s_delay_alu instid0(SALU_CYCLE_1) | instskip(NEXT) | instid1(VALU_DEP_1)
	v_cmp_ge_u64_e64 s11, s[12:13], s[4:5]
	s_and_b32 vcc_lo, exec_lo, s11
	s_cbranch_vccz .LBB629_4
; %bb.1:
	s_lshl_b32 s3, s4, 9
	s_mov_b32 s15, exec_lo
	s_sub_i32 s3, s10, s3
                                        ; implicit-def: $vgpr1_vgpr2
	s_delay_alu instid0(SALU_CYCLE_1)
	v_cmpx_gt_u32_e64 s3, v0
	s_cbranch_execz .LBB629_3
; %bb.2:
	s_mov_b32 s3, 0
	v_lshlrev_b32_e32 v1, 3, v0
	s_lshl_b64 s[18:19], s[2:3], 3
	s_delay_alu instid0(SALU_CYCLE_1)
	s_add_u32 s18, s14, s18
	s_addc_u32 s19, s16, s19
	global_load_b64 v[1:2], v1, s[18:19]
.LBB629_3:
	s_or_b32 exec_lo, exec_lo, s15
	v_lshlrev_b32_e32 v3, 3, v0
	s_waitcnt vmcnt(0)
	ds_store_b64 v3, v[1:2]
	s_waitcnt lgkmcnt(0)
	s_barrier
	v_lshlrev_b32_e32 v5, 3, v0
	s_branch .LBB629_6
.LBB629_4:
                                        ; implicit-def: $vgpr3
	v_lshlrev_b32_e32 v5, 3, v0
	s_cbranch_execz .LBB629_6
; %bb.5:
	s_mov_b32 s3, 0
	s_delay_alu instid0(VALU_DEP_1) | instskip(SKIP_1) | instid1(SALU_CYCLE_1)
	v_mov_b32_e32 v3, v5
	s_lshl_b64 s[18:19], s[2:3], 3
	s_add_u32 s18, s14, s18
	s_addc_u32 s19, s16, s19
	global_load_b64 v[1:2], v5, s[18:19]
	s_waitcnt vmcnt(0)
	ds_store_b64 v5, v[1:2]
	s_waitcnt lgkmcnt(0)
	s_barrier
.LBB629_6:
	buffer_gl0_inv
	ds_load_b64 v[1:2], v3
	s_cmp_eq_u64 s[12:13], 0
	s_waitcnt lgkmcnt(0)
	s_barrier
	buffer_gl0_inv
	s_cbranch_scc1 .LBB629_11
; %bb.7:
	s_mov_b32 s3, 0
	s_delay_alu instid0(SALU_CYCLE_1) | instskip(NEXT) | instid1(SALU_CYCLE_1)
	s_lshl_b64 s[18:19], s[2:3], 3
	s_add_u32 s3, s14, s18
	s_addc_u32 s15, s16, s19
	s_add_u32 s14, s3, -8
	s_addc_u32 s15, s15, -1
	s_cmp_eq_u64 s[12:13], s[4:5]
	s_load_b64 s[14:15], s[14:15], 0x0
	s_cbranch_scc1 .LBB629_12
; %bb.8:
	s_waitcnt lgkmcnt(0)
	v_dual_mov_b32 v3, s14 :: v_dual_mov_b32 v4, s15
	s_mov_b32 s3, exec_lo
	ds_store_b64 v5, v[1:2]
	s_waitcnt lgkmcnt(0)
	s_barrier
	buffer_gl0_inv
	v_cmpx_ne_u32_e32 0, v0
	s_cbranch_execz .LBB629_10
; %bb.9:
	v_add_nc_u32_e32 v3, -8, v5
	ds_load_b64 v[3:4], v3
.LBB629_10:
	s_or_b32 exec_lo, exec_lo, s3
	s_waitcnt lgkmcnt(0)
	v_add_co_u32 v3, vcc_lo, v3, v1
	v_add_co_ci_u32_e32 v4, vcc_lo, v4, v2, vcc_lo
	s_branch .LBB629_16
.LBB629_11:
                                        ; implicit-def: $vgpr3_vgpr4
	s_branch .LBB629_17
.LBB629_12:
                                        ; implicit-def: $vgpr3_vgpr4
	s_cbranch_execz .LBB629_16
; %bb.13:
	s_waitcnt lgkmcnt(0)
	v_dual_mov_b32 v3, s14 :: v_dual_mov_b32 v4, s15
	s_mov_b32 s3, exec_lo
	ds_store_b64 v5, v[1:2]
	s_waitcnt lgkmcnt(0)
	s_barrier
	buffer_gl0_inv
	v_cmpx_ne_u32_e32 0, v0
	s_cbranch_execz .LBB629_15
; %bb.14:
	v_add_nc_u32_e32 v3, -8, v5
	ds_load_b64 v[3:4], v3
.LBB629_15:
	s_or_b32 exec_lo, exec_lo, s3
	s_lshl_b32 s3, s12, 9
	s_delay_alu instid0(SALU_CYCLE_1) | instskip(NEXT) | instid1(SALU_CYCLE_1)
	s_sub_i32 s3, s10, s3
	v_cmp_gt_u32_e32 vcc_lo, s3, v0
	s_waitcnt lgkmcnt(0)
	v_dual_cndmask_b32 v4, 0, v4 :: v_dual_cndmask_b32 v3, 0, v3
	s_delay_alu instid0(VALU_DEP_1) | instskip(NEXT) | instid1(VALU_DEP_2)
	v_add_co_u32 v3, vcc_lo, v3, v1
	v_add_co_ci_u32_e32 v4, vcc_lo, v4, v2, vcc_lo
.LBB629_16:
	s_cbranch_execnz .LBB629_25
.LBB629_17:
	v_cmp_ne_u32_e32 vcc_lo, 0, v0
	s_cmp_eq_u64 s[0:1], 1
	s_cbranch_scc1 .LBB629_21
; %bb.18:
	v_dual_mov_b32 v4, v2 :: v_dual_mov_b32 v3, v1
	s_mov_b32 s0, 0
	ds_store_b64 v5, v[1:2]
	s_waitcnt lgkmcnt(0)
	s_barrier
	buffer_gl0_inv
	s_and_saveexec_b32 s1, vcc_lo
	s_cbranch_execz .LBB629_20
; %bb.19:
	v_add_nc_u32_e32 v3, -8, v5
	ds_load_b64 v[3:4], v3
	s_waitcnt lgkmcnt(0)
	v_add_co_u32 v3, vcc_lo, v3, v1
	v_add_co_ci_u32_e32 v4, vcc_lo, v4, v2, vcc_lo
.LBB629_20:
	s_or_b32 exec_lo, exec_lo, s1
	s_delay_alu instid0(SALU_CYCLE_1)
	s_and_not1_b32 vcc_lo, exec_lo, s0
	s_cbranch_vccz .LBB629_22
	s_branch .LBB629_25
.LBB629_21:
                                        ; implicit-def: $vgpr3_vgpr4
.LBB629_22:
	v_cmp_ne_u32_e32 vcc_lo, 0, v0
	v_cmp_gt_u32_e64 s0, s10, v0
	ds_store_b64 v5, v[1:2]
	s_waitcnt lgkmcnt(0)
	s_barrier
	buffer_gl0_inv
	s_and_b32 s1, vcc_lo, s0
	s_delay_alu instid0(SALU_CYCLE_1)
	s_and_saveexec_b32 s0, s1
	s_cbranch_execz .LBB629_24
; %bb.23:
	v_add_nc_u32_e32 v3, -8, v5
	ds_load_b64 v[3:4], v3
	s_waitcnt lgkmcnt(0)
	v_add_co_u32 v1, vcc_lo, v3, v1
	v_add_co_ci_u32_e32 v2, vcc_lo, v4, v2, vcc_lo
.LBB629_24:
	s_or_b32 exec_lo, exec_lo, s0
	s_delay_alu instid0(VALU_DEP_1)
	v_dual_mov_b32 v4, v2 :: v_dual_mov_b32 v3, v1
.LBB629_25:
	s_add_u32 s0, s8, s6
	s_addc_u32 s1, s9, s7
	s_and_b32 vcc_lo, exec_lo, s11
	s_mov_b32 s3, -1
	s_waitcnt lgkmcnt(0)
	s_barrier
	buffer_gl0_inv
	s_cbranch_vccnz .LBB629_28
; %bb.26:
	s_and_not1_b32 vcc_lo, exec_lo, s3
	s_cbranch_vccz .LBB629_31
.LBB629_27:
	s_nop 0
	s_sendmsg sendmsg(MSG_DEALLOC_VGPRS)
	s_endpgm
.LBB629_28:
	s_lshl_b32 s3, s4, 9
	s_mov_b32 s4, exec_lo
	s_sub_i32 s3, s10, s3
	ds_store_b64 v5, v[3:4]
	s_waitcnt lgkmcnt(0)
	s_barrier
	buffer_gl0_inv
	v_cmpx_gt_u32_e64 s3, v0
	s_cbranch_execz .LBB629_30
; %bb.29:
	ds_load_b64 v[0:1], v5
	s_mov_b32 s3, 0
	s_delay_alu instid0(SALU_CYCLE_1) | instskip(NEXT) | instid1(SALU_CYCLE_1)
	s_lshl_b64 s[6:7], s[2:3], 3
	s_add_u32 s6, s0, s6
	s_addc_u32 s7, s1, s7
	s_waitcnt lgkmcnt(0)
	global_store_b64 v5, v[0:1], s[6:7]
.LBB629_30:
	s_or_b32 exec_lo, exec_lo, s4
	s_cbranch_execnz .LBB629_27
.LBB629_31:
	ds_store_b64 v5, v[3:4]
	s_waitcnt lgkmcnt(0)
	s_waitcnt_vscnt null, 0x0
	s_barrier
	buffer_gl0_inv
	ds_load_b64 v[0:1], v5
	s_mov_b32 s3, 0
	s_delay_alu instid0(SALU_CYCLE_1) | instskip(NEXT) | instid1(SALU_CYCLE_1)
	s_lshl_b64 s[2:3], s[2:3], 3
	s_add_u32 s0, s0, s2
	s_addc_u32 s1, s1, s3
	s_waitcnt lgkmcnt(0)
	global_store_b64 v5, v[0:1], s[0:1]
	s_nop 0
	s_sendmsg sendmsg(MSG_DEALLOC_VGPRS)
	s_endpgm
	.section	.rodata,"a",@progbits
	.p2align	6, 0x0
	.amdhsa_kernel _ZN7rocprim17ROCPRIM_400000_NS6detail17trampoline_kernelINS0_14default_configENS1_35adjacent_difference_config_selectorILb0EyEEZNS1_24adjacent_difference_implIS3_Lb0ELb0EPKyPyN6thrust23THRUST_200600_302600_NS4plusIyEEEE10hipError_tPvRmT2_T3_mT4_P12ihipStream_tbEUlT_E_NS1_11comp_targetILNS1_3genE9ELNS1_11target_archE1100ELNS1_3gpuE3ELNS1_3repE0EEENS1_30default_config_static_selectorELNS0_4arch9wavefront6targetE0EEEvT1_
		.amdhsa_group_segment_fixed_size 8192
		.amdhsa_private_segment_fixed_size 0
		.amdhsa_kernarg_size 56
		.amdhsa_user_sgpr_count 15
		.amdhsa_user_sgpr_dispatch_ptr 0
		.amdhsa_user_sgpr_queue_ptr 0
		.amdhsa_user_sgpr_kernarg_segment_ptr 1
		.amdhsa_user_sgpr_dispatch_id 0
		.amdhsa_user_sgpr_private_segment_size 0
		.amdhsa_wavefront_size32 1
		.amdhsa_uses_dynamic_stack 0
		.amdhsa_enable_private_segment 0
		.amdhsa_system_sgpr_workgroup_id_x 1
		.amdhsa_system_sgpr_workgroup_id_y 0
		.amdhsa_system_sgpr_workgroup_id_z 0
		.amdhsa_system_sgpr_workgroup_info 0
		.amdhsa_system_vgpr_workitem_id 0
		.amdhsa_next_free_vgpr 6
		.amdhsa_next_free_sgpr 20
		.amdhsa_reserve_vcc 1
		.amdhsa_float_round_mode_32 0
		.amdhsa_float_round_mode_16_64 0
		.amdhsa_float_denorm_mode_32 3
		.amdhsa_float_denorm_mode_16_64 3
		.amdhsa_dx10_clamp 1
		.amdhsa_ieee_mode 1
		.amdhsa_fp16_overflow 0
		.amdhsa_workgroup_processor_mode 1
		.amdhsa_memory_ordered 1
		.amdhsa_forward_progress 0
		.amdhsa_shared_vgpr_count 0
		.amdhsa_exception_fp_ieee_invalid_op 0
		.amdhsa_exception_fp_denorm_src 0
		.amdhsa_exception_fp_ieee_div_zero 0
		.amdhsa_exception_fp_ieee_overflow 0
		.amdhsa_exception_fp_ieee_underflow 0
		.amdhsa_exception_fp_ieee_inexact 0
		.amdhsa_exception_int_div_zero 0
	.end_amdhsa_kernel
	.section	.text._ZN7rocprim17ROCPRIM_400000_NS6detail17trampoline_kernelINS0_14default_configENS1_35adjacent_difference_config_selectorILb0EyEEZNS1_24adjacent_difference_implIS3_Lb0ELb0EPKyPyN6thrust23THRUST_200600_302600_NS4plusIyEEEE10hipError_tPvRmT2_T3_mT4_P12ihipStream_tbEUlT_E_NS1_11comp_targetILNS1_3genE9ELNS1_11target_archE1100ELNS1_3gpuE3ELNS1_3repE0EEENS1_30default_config_static_selectorELNS0_4arch9wavefront6targetE0EEEvT1_,"axG",@progbits,_ZN7rocprim17ROCPRIM_400000_NS6detail17trampoline_kernelINS0_14default_configENS1_35adjacent_difference_config_selectorILb0EyEEZNS1_24adjacent_difference_implIS3_Lb0ELb0EPKyPyN6thrust23THRUST_200600_302600_NS4plusIyEEEE10hipError_tPvRmT2_T3_mT4_P12ihipStream_tbEUlT_E_NS1_11comp_targetILNS1_3genE9ELNS1_11target_archE1100ELNS1_3gpuE3ELNS1_3repE0EEENS1_30default_config_static_selectorELNS0_4arch9wavefront6targetE0EEEvT1_,comdat
.Lfunc_end629:
	.size	_ZN7rocprim17ROCPRIM_400000_NS6detail17trampoline_kernelINS0_14default_configENS1_35adjacent_difference_config_selectorILb0EyEEZNS1_24adjacent_difference_implIS3_Lb0ELb0EPKyPyN6thrust23THRUST_200600_302600_NS4plusIyEEEE10hipError_tPvRmT2_T3_mT4_P12ihipStream_tbEUlT_E_NS1_11comp_targetILNS1_3genE9ELNS1_11target_archE1100ELNS1_3gpuE3ELNS1_3repE0EEENS1_30default_config_static_selectorELNS0_4arch9wavefront6targetE0EEEvT1_, .Lfunc_end629-_ZN7rocprim17ROCPRIM_400000_NS6detail17trampoline_kernelINS0_14default_configENS1_35adjacent_difference_config_selectorILb0EyEEZNS1_24adjacent_difference_implIS3_Lb0ELb0EPKyPyN6thrust23THRUST_200600_302600_NS4plusIyEEEE10hipError_tPvRmT2_T3_mT4_P12ihipStream_tbEUlT_E_NS1_11comp_targetILNS1_3genE9ELNS1_11target_archE1100ELNS1_3gpuE3ELNS1_3repE0EEENS1_30default_config_static_selectorELNS0_4arch9wavefront6targetE0EEEvT1_
                                        ; -- End function
	.section	.AMDGPU.csdata,"",@progbits
; Kernel info:
; codeLenInByte = 1008
; NumSgprs: 22
; NumVgprs: 6
; ScratchSize: 0
; MemoryBound: 0
; FloatMode: 240
; IeeeMode: 1
; LDSByteSize: 8192 bytes/workgroup (compile time only)
; SGPRBlocks: 2
; VGPRBlocks: 0
; NumSGPRsForWavesPerEU: 22
; NumVGPRsForWavesPerEU: 6
; Occupancy: 16
; WaveLimiterHint : 0
; COMPUTE_PGM_RSRC2:SCRATCH_EN: 0
; COMPUTE_PGM_RSRC2:USER_SGPR: 15
; COMPUTE_PGM_RSRC2:TRAP_HANDLER: 0
; COMPUTE_PGM_RSRC2:TGID_X_EN: 1
; COMPUTE_PGM_RSRC2:TGID_Y_EN: 0
; COMPUTE_PGM_RSRC2:TGID_Z_EN: 0
; COMPUTE_PGM_RSRC2:TIDIG_COMP_CNT: 0
	.section	.text._ZN7rocprim17ROCPRIM_400000_NS6detail17trampoline_kernelINS0_14default_configENS1_35adjacent_difference_config_selectorILb0EyEEZNS1_24adjacent_difference_implIS3_Lb0ELb0EPKyPyN6thrust23THRUST_200600_302600_NS4plusIyEEEE10hipError_tPvRmT2_T3_mT4_P12ihipStream_tbEUlT_E_NS1_11comp_targetILNS1_3genE8ELNS1_11target_archE1030ELNS1_3gpuE2ELNS1_3repE0EEENS1_30default_config_static_selectorELNS0_4arch9wavefront6targetE0EEEvT1_,"axG",@progbits,_ZN7rocprim17ROCPRIM_400000_NS6detail17trampoline_kernelINS0_14default_configENS1_35adjacent_difference_config_selectorILb0EyEEZNS1_24adjacent_difference_implIS3_Lb0ELb0EPKyPyN6thrust23THRUST_200600_302600_NS4plusIyEEEE10hipError_tPvRmT2_T3_mT4_P12ihipStream_tbEUlT_E_NS1_11comp_targetILNS1_3genE8ELNS1_11target_archE1030ELNS1_3gpuE2ELNS1_3repE0EEENS1_30default_config_static_selectorELNS0_4arch9wavefront6targetE0EEEvT1_,comdat
	.protected	_ZN7rocprim17ROCPRIM_400000_NS6detail17trampoline_kernelINS0_14default_configENS1_35adjacent_difference_config_selectorILb0EyEEZNS1_24adjacent_difference_implIS3_Lb0ELb0EPKyPyN6thrust23THRUST_200600_302600_NS4plusIyEEEE10hipError_tPvRmT2_T3_mT4_P12ihipStream_tbEUlT_E_NS1_11comp_targetILNS1_3genE8ELNS1_11target_archE1030ELNS1_3gpuE2ELNS1_3repE0EEENS1_30default_config_static_selectorELNS0_4arch9wavefront6targetE0EEEvT1_ ; -- Begin function _ZN7rocprim17ROCPRIM_400000_NS6detail17trampoline_kernelINS0_14default_configENS1_35adjacent_difference_config_selectorILb0EyEEZNS1_24adjacent_difference_implIS3_Lb0ELb0EPKyPyN6thrust23THRUST_200600_302600_NS4plusIyEEEE10hipError_tPvRmT2_T3_mT4_P12ihipStream_tbEUlT_E_NS1_11comp_targetILNS1_3genE8ELNS1_11target_archE1030ELNS1_3gpuE2ELNS1_3repE0EEENS1_30default_config_static_selectorELNS0_4arch9wavefront6targetE0EEEvT1_
	.globl	_ZN7rocprim17ROCPRIM_400000_NS6detail17trampoline_kernelINS0_14default_configENS1_35adjacent_difference_config_selectorILb0EyEEZNS1_24adjacent_difference_implIS3_Lb0ELb0EPKyPyN6thrust23THRUST_200600_302600_NS4plusIyEEEE10hipError_tPvRmT2_T3_mT4_P12ihipStream_tbEUlT_E_NS1_11comp_targetILNS1_3genE8ELNS1_11target_archE1030ELNS1_3gpuE2ELNS1_3repE0EEENS1_30default_config_static_selectorELNS0_4arch9wavefront6targetE0EEEvT1_
	.p2align	8
	.type	_ZN7rocprim17ROCPRIM_400000_NS6detail17trampoline_kernelINS0_14default_configENS1_35adjacent_difference_config_selectorILb0EyEEZNS1_24adjacent_difference_implIS3_Lb0ELb0EPKyPyN6thrust23THRUST_200600_302600_NS4plusIyEEEE10hipError_tPvRmT2_T3_mT4_P12ihipStream_tbEUlT_E_NS1_11comp_targetILNS1_3genE8ELNS1_11target_archE1030ELNS1_3gpuE2ELNS1_3repE0EEENS1_30default_config_static_selectorELNS0_4arch9wavefront6targetE0EEEvT1_,@function
_ZN7rocprim17ROCPRIM_400000_NS6detail17trampoline_kernelINS0_14default_configENS1_35adjacent_difference_config_selectorILb0EyEEZNS1_24adjacent_difference_implIS3_Lb0ELb0EPKyPyN6thrust23THRUST_200600_302600_NS4plusIyEEEE10hipError_tPvRmT2_T3_mT4_P12ihipStream_tbEUlT_E_NS1_11comp_targetILNS1_3genE8ELNS1_11target_archE1030ELNS1_3gpuE2ELNS1_3repE0EEENS1_30default_config_static_selectorELNS0_4arch9wavefront6targetE0EEEvT1_: ; @_ZN7rocprim17ROCPRIM_400000_NS6detail17trampoline_kernelINS0_14default_configENS1_35adjacent_difference_config_selectorILb0EyEEZNS1_24adjacent_difference_implIS3_Lb0ELb0EPKyPyN6thrust23THRUST_200600_302600_NS4plusIyEEEE10hipError_tPvRmT2_T3_mT4_P12ihipStream_tbEUlT_E_NS1_11comp_targetILNS1_3genE8ELNS1_11target_archE1030ELNS1_3gpuE2ELNS1_3repE0EEENS1_30default_config_static_selectorELNS0_4arch9wavefront6targetE0EEEvT1_
; %bb.0:
	.section	.rodata,"a",@progbits
	.p2align	6, 0x0
	.amdhsa_kernel _ZN7rocprim17ROCPRIM_400000_NS6detail17trampoline_kernelINS0_14default_configENS1_35adjacent_difference_config_selectorILb0EyEEZNS1_24adjacent_difference_implIS3_Lb0ELb0EPKyPyN6thrust23THRUST_200600_302600_NS4plusIyEEEE10hipError_tPvRmT2_T3_mT4_P12ihipStream_tbEUlT_E_NS1_11comp_targetILNS1_3genE8ELNS1_11target_archE1030ELNS1_3gpuE2ELNS1_3repE0EEENS1_30default_config_static_selectorELNS0_4arch9wavefront6targetE0EEEvT1_
		.amdhsa_group_segment_fixed_size 0
		.amdhsa_private_segment_fixed_size 0
		.amdhsa_kernarg_size 56
		.amdhsa_user_sgpr_count 15
		.amdhsa_user_sgpr_dispatch_ptr 0
		.amdhsa_user_sgpr_queue_ptr 0
		.amdhsa_user_sgpr_kernarg_segment_ptr 1
		.amdhsa_user_sgpr_dispatch_id 0
		.amdhsa_user_sgpr_private_segment_size 0
		.amdhsa_wavefront_size32 1
		.amdhsa_uses_dynamic_stack 0
		.amdhsa_enable_private_segment 0
		.amdhsa_system_sgpr_workgroup_id_x 1
		.amdhsa_system_sgpr_workgroup_id_y 0
		.amdhsa_system_sgpr_workgroup_id_z 0
		.amdhsa_system_sgpr_workgroup_info 0
		.amdhsa_system_vgpr_workitem_id 0
		.amdhsa_next_free_vgpr 1
		.amdhsa_next_free_sgpr 1
		.amdhsa_reserve_vcc 0
		.amdhsa_float_round_mode_32 0
		.amdhsa_float_round_mode_16_64 0
		.amdhsa_float_denorm_mode_32 3
		.amdhsa_float_denorm_mode_16_64 3
		.amdhsa_dx10_clamp 1
		.amdhsa_ieee_mode 1
		.amdhsa_fp16_overflow 0
		.amdhsa_workgroup_processor_mode 1
		.amdhsa_memory_ordered 1
		.amdhsa_forward_progress 0
		.amdhsa_shared_vgpr_count 0
		.amdhsa_exception_fp_ieee_invalid_op 0
		.amdhsa_exception_fp_denorm_src 0
		.amdhsa_exception_fp_ieee_div_zero 0
		.amdhsa_exception_fp_ieee_overflow 0
		.amdhsa_exception_fp_ieee_underflow 0
		.amdhsa_exception_fp_ieee_inexact 0
		.amdhsa_exception_int_div_zero 0
	.end_amdhsa_kernel
	.section	.text._ZN7rocprim17ROCPRIM_400000_NS6detail17trampoline_kernelINS0_14default_configENS1_35adjacent_difference_config_selectorILb0EyEEZNS1_24adjacent_difference_implIS3_Lb0ELb0EPKyPyN6thrust23THRUST_200600_302600_NS4plusIyEEEE10hipError_tPvRmT2_T3_mT4_P12ihipStream_tbEUlT_E_NS1_11comp_targetILNS1_3genE8ELNS1_11target_archE1030ELNS1_3gpuE2ELNS1_3repE0EEENS1_30default_config_static_selectorELNS0_4arch9wavefront6targetE0EEEvT1_,"axG",@progbits,_ZN7rocprim17ROCPRIM_400000_NS6detail17trampoline_kernelINS0_14default_configENS1_35adjacent_difference_config_selectorILb0EyEEZNS1_24adjacent_difference_implIS3_Lb0ELb0EPKyPyN6thrust23THRUST_200600_302600_NS4plusIyEEEE10hipError_tPvRmT2_T3_mT4_P12ihipStream_tbEUlT_E_NS1_11comp_targetILNS1_3genE8ELNS1_11target_archE1030ELNS1_3gpuE2ELNS1_3repE0EEENS1_30default_config_static_selectorELNS0_4arch9wavefront6targetE0EEEvT1_,comdat
.Lfunc_end630:
	.size	_ZN7rocprim17ROCPRIM_400000_NS6detail17trampoline_kernelINS0_14default_configENS1_35adjacent_difference_config_selectorILb0EyEEZNS1_24adjacent_difference_implIS3_Lb0ELb0EPKyPyN6thrust23THRUST_200600_302600_NS4plusIyEEEE10hipError_tPvRmT2_T3_mT4_P12ihipStream_tbEUlT_E_NS1_11comp_targetILNS1_3genE8ELNS1_11target_archE1030ELNS1_3gpuE2ELNS1_3repE0EEENS1_30default_config_static_selectorELNS0_4arch9wavefront6targetE0EEEvT1_, .Lfunc_end630-_ZN7rocprim17ROCPRIM_400000_NS6detail17trampoline_kernelINS0_14default_configENS1_35adjacent_difference_config_selectorILb0EyEEZNS1_24adjacent_difference_implIS3_Lb0ELb0EPKyPyN6thrust23THRUST_200600_302600_NS4plusIyEEEE10hipError_tPvRmT2_T3_mT4_P12ihipStream_tbEUlT_E_NS1_11comp_targetILNS1_3genE8ELNS1_11target_archE1030ELNS1_3gpuE2ELNS1_3repE0EEENS1_30default_config_static_selectorELNS0_4arch9wavefront6targetE0EEEvT1_
                                        ; -- End function
	.section	.AMDGPU.csdata,"",@progbits
; Kernel info:
; codeLenInByte = 0
; NumSgprs: 0
; NumVgprs: 0
; ScratchSize: 0
; MemoryBound: 0
; FloatMode: 240
; IeeeMode: 1
; LDSByteSize: 0 bytes/workgroup (compile time only)
; SGPRBlocks: 0
; VGPRBlocks: 0
; NumSGPRsForWavesPerEU: 1
; NumVGPRsForWavesPerEU: 1
; Occupancy: 16
; WaveLimiterHint : 0
; COMPUTE_PGM_RSRC2:SCRATCH_EN: 0
; COMPUTE_PGM_RSRC2:USER_SGPR: 15
; COMPUTE_PGM_RSRC2:TRAP_HANDLER: 0
; COMPUTE_PGM_RSRC2:TGID_X_EN: 1
; COMPUTE_PGM_RSRC2:TGID_Y_EN: 0
; COMPUTE_PGM_RSRC2:TGID_Z_EN: 0
; COMPUTE_PGM_RSRC2:TIDIG_COMP_CNT: 0
	.section	.text._ZN7rocprim17ROCPRIM_400000_NS6detail17trampoline_kernelINS0_14default_configENS1_25transform_config_selectorIyLb0EEEZNS1_14transform_implILb0ES3_S5_NS0_18transform_iteratorINS0_17counting_iteratorImlEEZNS1_24adjacent_difference_implIS3_Lb1ELb0EPKyPyN6thrust23THRUST_200600_302600_NS4plusIyEEEE10hipError_tPvRmT2_T3_mT4_P12ihipStream_tbEUlmE_yEESD_NS0_8identityIvEEEESI_SL_SM_mSN_SP_bEUlT_E_NS1_11comp_targetILNS1_3genE0ELNS1_11target_archE4294967295ELNS1_3gpuE0ELNS1_3repE0EEENS1_30default_config_static_selectorELNS0_4arch9wavefront6targetE0EEEvT1_,"axG",@progbits,_ZN7rocprim17ROCPRIM_400000_NS6detail17trampoline_kernelINS0_14default_configENS1_25transform_config_selectorIyLb0EEEZNS1_14transform_implILb0ES3_S5_NS0_18transform_iteratorINS0_17counting_iteratorImlEEZNS1_24adjacent_difference_implIS3_Lb1ELb0EPKyPyN6thrust23THRUST_200600_302600_NS4plusIyEEEE10hipError_tPvRmT2_T3_mT4_P12ihipStream_tbEUlmE_yEESD_NS0_8identityIvEEEESI_SL_SM_mSN_SP_bEUlT_E_NS1_11comp_targetILNS1_3genE0ELNS1_11target_archE4294967295ELNS1_3gpuE0ELNS1_3repE0EEENS1_30default_config_static_selectorELNS0_4arch9wavefront6targetE0EEEvT1_,comdat
	.protected	_ZN7rocprim17ROCPRIM_400000_NS6detail17trampoline_kernelINS0_14default_configENS1_25transform_config_selectorIyLb0EEEZNS1_14transform_implILb0ES3_S5_NS0_18transform_iteratorINS0_17counting_iteratorImlEEZNS1_24adjacent_difference_implIS3_Lb1ELb0EPKyPyN6thrust23THRUST_200600_302600_NS4plusIyEEEE10hipError_tPvRmT2_T3_mT4_P12ihipStream_tbEUlmE_yEESD_NS0_8identityIvEEEESI_SL_SM_mSN_SP_bEUlT_E_NS1_11comp_targetILNS1_3genE0ELNS1_11target_archE4294967295ELNS1_3gpuE0ELNS1_3repE0EEENS1_30default_config_static_selectorELNS0_4arch9wavefront6targetE0EEEvT1_ ; -- Begin function _ZN7rocprim17ROCPRIM_400000_NS6detail17trampoline_kernelINS0_14default_configENS1_25transform_config_selectorIyLb0EEEZNS1_14transform_implILb0ES3_S5_NS0_18transform_iteratorINS0_17counting_iteratorImlEEZNS1_24adjacent_difference_implIS3_Lb1ELb0EPKyPyN6thrust23THRUST_200600_302600_NS4plusIyEEEE10hipError_tPvRmT2_T3_mT4_P12ihipStream_tbEUlmE_yEESD_NS0_8identityIvEEEESI_SL_SM_mSN_SP_bEUlT_E_NS1_11comp_targetILNS1_3genE0ELNS1_11target_archE4294967295ELNS1_3gpuE0ELNS1_3repE0EEENS1_30default_config_static_selectorELNS0_4arch9wavefront6targetE0EEEvT1_
	.globl	_ZN7rocprim17ROCPRIM_400000_NS6detail17trampoline_kernelINS0_14default_configENS1_25transform_config_selectorIyLb0EEEZNS1_14transform_implILb0ES3_S5_NS0_18transform_iteratorINS0_17counting_iteratorImlEEZNS1_24adjacent_difference_implIS3_Lb1ELb0EPKyPyN6thrust23THRUST_200600_302600_NS4plusIyEEEE10hipError_tPvRmT2_T3_mT4_P12ihipStream_tbEUlmE_yEESD_NS0_8identityIvEEEESI_SL_SM_mSN_SP_bEUlT_E_NS1_11comp_targetILNS1_3genE0ELNS1_11target_archE4294967295ELNS1_3gpuE0ELNS1_3repE0EEENS1_30default_config_static_selectorELNS0_4arch9wavefront6targetE0EEEvT1_
	.p2align	8
	.type	_ZN7rocprim17ROCPRIM_400000_NS6detail17trampoline_kernelINS0_14default_configENS1_25transform_config_selectorIyLb0EEEZNS1_14transform_implILb0ES3_S5_NS0_18transform_iteratorINS0_17counting_iteratorImlEEZNS1_24adjacent_difference_implIS3_Lb1ELb0EPKyPyN6thrust23THRUST_200600_302600_NS4plusIyEEEE10hipError_tPvRmT2_T3_mT4_P12ihipStream_tbEUlmE_yEESD_NS0_8identityIvEEEESI_SL_SM_mSN_SP_bEUlT_E_NS1_11comp_targetILNS1_3genE0ELNS1_11target_archE4294967295ELNS1_3gpuE0ELNS1_3repE0EEENS1_30default_config_static_selectorELNS0_4arch9wavefront6targetE0EEEvT1_,@function
_ZN7rocprim17ROCPRIM_400000_NS6detail17trampoline_kernelINS0_14default_configENS1_25transform_config_selectorIyLb0EEEZNS1_14transform_implILb0ES3_S5_NS0_18transform_iteratorINS0_17counting_iteratorImlEEZNS1_24adjacent_difference_implIS3_Lb1ELb0EPKyPyN6thrust23THRUST_200600_302600_NS4plusIyEEEE10hipError_tPvRmT2_T3_mT4_P12ihipStream_tbEUlmE_yEESD_NS0_8identityIvEEEESI_SL_SM_mSN_SP_bEUlT_E_NS1_11comp_targetILNS1_3genE0ELNS1_11target_archE4294967295ELNS1_3gpuE0ELNS1_3repE0EEENS1_30default_config_static_selectorELNS0_4arch9wavefront6targetE0EEEvT1_: ; @_ZN7rocprim17ROCPRIM_400000_NS6detail17trampoline_kernelINS0_14default_configENS1_25transform_config_selectorIyLb0EEEZNS1_14transform_implILb0ES3_S5_NS0_18transform_iteratorINS0_17counting_iteratorImlEEZNS1_24adjacent_difference_implIS3_Lb1ELb0EPKyPyN6thrust23THRUST_200600_302600_NS4plusIyEEEE10hipError_tPvRmT2_T3_mT4_P12ihipStream_tbEUlmE_yEESD_NS0_8identityIvEEEESI_SL_SM_mSN_SP_bEUlT_E_NS1_11comp_targetILNS1_3genE0ELNS1_11target_archE4294967295ELNS1_3gpuE0ELNS1_3repE0EEENS1_30default_config_static_selectorELNS0_4arch9wavefront6targetE0EEEvT1_
; %bb.0:
	.section	.rodata,"a",@progbits
	.p2align	6, 0x0
	.amdhsa_kernel _ZN7rocprim17ROCPRIM_400000_NS6detail17trampoline_kernelINS0_14default_configENS1_25transform_config_selectorIyLb0EEEZNS1_14transform_implILb0ES3_S5_NS0_18transform_iteratorINS0_17counting_iteratorImlEEZNS1_24adjacent_difference_implIS3_Lb1ELb0EPKyPyN6thrust23THRUST_200600_302600_NS4plusIyEEEE10hipError_tPvRmT2_T3_mT4_P12ihipStream_tbEUlmE_yEESD_NS0_8identityIvEEEESI_SL_SM_mSN_SP_bEUlT_E_NS1_11comp_targetILNS1_3genE0ELNS1_11target_archE4294967295ELNS1_3gpuE0ELNS1_3repE0EEENS1_30default_config_static_selectorELNS0_4arch9wavefront6targetE0EEEvT1_
		.amdhsa_group_segment_fixed_size 0
		.amdhsa_private_segment_fixed_size 0
		.amdhsa_kernarg_size 56
		.amdhsa_user_sgpr_count 15
		.amdhsa_user_sgpr_dispatch_ptr 0
		.amdhsa_user_sgpr_queue_ptr 0
		.amdhsa_user_sgpr_kernarg_segment_ptr 1
		.amdhsa_user_sgpr_dispatch_id 0
		.amdhsa_user_sgpr_private_segment_size 0
		.amdhsa_wavefront_size32 1
		.amdhsa_uses_dynamic_stack 0
		.amdhsa_enable_private_segment 0
		.amdhsa_system_sgpr_workgroup_id_x 1
		.amdhsa_system_sgpr_workgroup_id_y 0
		.amdhsa_system_sgpr_workgroup_id_z 0
		.amdhsa_system_sgpr_workgroup_info 0
		.amdhsa_system_vgpr_workitem_id 0
		.amdhsa_next_free_vgpr 1
		.amdhsa_next_free_sgpr 1
		.amdhsa_reserve_vcc 0
		.amdhsa_float_round_mode_32 0
		.amdhsa_float_round_mode_16_64 0
		.amdhsa_float_denorm_mode_32 3
		.amdhsa_float_denorm_mode_16_64 3
		.amdhsa_dx10_clamp 1
		.amdhsa_ieee_mode 1
		.amdhsa_fp16_overflow 0
		.amdhsa_workgroup_processor_mode 1
		.amdhsa_memory_ordered 1
		.amdhsa_forward_progress 0
		.amdhsa_shared_vgpr_count 0
		.amdhsa_exception_fp_ieee_invalid_op 0
		.amdhsa_exception_fp_denorm_src 0
		.amdhsa_exception_fp_ieee_div_zero 0
		.amdhsa_exception_fp_ieee_overflow 0
		.amdhsa_exception_fp_ieee_underflow 0
		.amdhsa_exception_fp_ieee_inexact 0
		.amdhsa_exception_int_div_zero 0
	.end_amdhsa_kernel
	.section	.text._ZN7rocprim17ROCPRIM_400000_NS6detail17trampoline_kernelINS0_14default_configENS1_25transform_config_selectorIyLb0EEEZNS1_14transform_implILb0ES3_S5_NS0_18transform_iteratorINS0_17counting_iteratorImlEEZNS1_24adjacent_difference_implIS3_Lb1ELb0EPKyPyN6thrust23THRUST_200600_302600_NS4plusIyEEEE10hipError_tPvRmT2_T3_mT4_P12ihipStream_tbEUlmE_yEESD_NS0_8identityIvEEEESI_SL_SM_mSN_SP_bEUlT_E_NS1_11comp_targetILNS1_3genE0ELNS1_11target_archE4294967295ELNS1_3gpuE0ELNS1_3repE0EEENS1_30default_config_static_selectorELNS0_4arch9wavefront6targetE0EEEvT1_,"axG",@progbits,_ZN7rocprim17ROCPRIM_400000_NS6detail17trampoline_kernelINS0_14default_configENS1_25transform_config_selectorIyLb0EEEZNS1_14transform_implILb0ES3_S5_NS0_18transform_iteratorINS0_17counting_iteratorImlEEZNS1_24adjacent_difference_implIS3_Lb1ELb0EPKyPyN6thrust23THRUST_200600_302600_NS4plusIyEEEE10hipError_tPvRmT2_T3_mT4_P12ihipStream_tbEUlmE_yEESD_NS0_8identityIvEEEESI_SL_SM_mSN_SP_bEUlT_E_NS1_11comp_targetILNS1_3genE0ELNS1_11target_archE4294967295ELNS1_3gpuE0ELNS1_3repE0EEENS1_30default_config_static_selectorELNS0_4arch9wavefront6targetE0EEEvT1_,comdat
.Lfunc_end631:
	.size	_ZN7rocprim17ROCPRIM_400000_NS6detail17trampoline_kernelINS0_14default_configENS1_25transform_config_selectorIyLb0EEEZNS1_14transform_implILb0ES3_S5_NS0_18transform_iteratorINS0_17counting_iteratorImlEEZNS1_24adjacent_difference_implIS3_Lb1ELb0EPKyPyN6thrust23THRUST_200600_302600_NS4plusIyEEEE10hipError_tPvRmT2_T3_mT4_P12ihipStream_tbEUlmE_yEESD_NS0_8identityIvEEEESI_SL_SM_mSN_SP_bEUlT_E_NS1_11comp_targetILNS1_3genE0ELNS1_11target_archE4294967295ELNS1_3gpuE0ELNS1_3repE0EEENS1_30default_config_static_selectorELNS0_4arch9wavefront6targetE0EEEvT1_, .Lfunc_end631-_ZN7rocprim17ROCPRIM_400000_NS6detail17trampoline_kernelINS0_14default_configENS1_25transform_config_selectorIyLb0EEEZNS1_14transform_implILb0ES3_S5_NS0_18transform_iteratorINS0_17counting_iteratorImlEEZNS1_24adjacent_difference_implIS3_Lb1ELb0EPKyPyN6thrust23THRUST_200600_302600_NS4plusIyEEEE10hipError_tPvRmT2_T3_mT4_P12ihipStream_tbEUlmE_yEESD_NS0_8identityIvEEEESI_SL_SM_mSN_SP_bEUlT_E_NS1_11comp_targetILNS1_3genE0ELNS1_11target_archE4294967295ELNS1_3gpuE0ELNS1_3repE0EEENS1_30default_config_static_selectorELNS0_4arch9wavefront6targetE0EEEvT1_
                                        ; -- End function
	.section	.AMDGPU.csdata,"",@progbits
; Kernel info:
; codeLenInByte = 0
; NumSgprs: 0
; NumVgprs: 0
; ScratchSize: 0
; MemoryBound: 0
; FloatMode: 240
; IeeeMode: 1
; LDSByteSize: 0 bytes/workgroup (compile time only)
; SGPRBlocks: 0
; VGPRBlocks: 0
; NumSGPRsForWavesPerEU: 1
; NumVGPRsForWavesPerEU: 1
; Occupancy: 16
; WaveLimiterHint : 0
; COMPUTE_PGM_RSRC2:SCRATCH_EN: 0
; COMPUTE_PGM_RSRC2:USER_SGPR: 15
; COMPUTE_PGM_RSRC2:TRAP_HANDLER: 0
; COMPUTE_PGM_RSRC2:TGID_X_EN: 1
; COMPUTE_PGM_RSRC2:TGID_Y_EN: 0
; COMPUTE_PGM_RSRC2:TGID_Z_EN: 0
; COMPUTE_PGM_RSRC2:TIDIG_COMP_CNT: 0
	.section	.text._ZN7rocprim17ROCPRIM_400000_NS6detail17trampoline_kernelINS0_14default_configENS1_25transform_config_selectorIyLb0EEEZNS1_14transform_implILb0ES3_S5_NS0_18transform_iteratorINS0_17counting_iteratorImlEEZNS1_24adjacent_difference_implIS3_Lb1ELb0EPKyPyN6thrust23THRUST_200600_302600_NS4plusIyEEEE10hipError_tPvRmT2_T3_mT4_P12ihipStream_tbEUlmE_yEESD_NS0_8identityIvEEEESI_SL_SM_mSN_SP_bEUlT_E_NS1_11comp_targetILNS1_3genE5ELNS1_11target_archE942ELNS1_3gpuE9ELNS1_3repE0EEENS1_30default_config_static_selectorELNS0_4arch9wavefront6targetE0EEEvT1_,"axG",@progbits,_ZN7rocprim17ROCPRIM_400000_NS6detail17trampoline_kernelINS0_14default_configENS1_25transform_config_selectorIyLb0EEEZNS1_14transform_implILb0ES3_S5_NS0_18transform_iteratorINS0_17counting_iteratorImlEEZNS1_24adjacent_difference_implIS3_Lb1ELb0EPKyPyN6thrust23THRUST_200600_302600_NS4plusIyEEEE10hipError_tPvRmT2_T3_mT4_P12ihipStream_tbEUlmE_yEESD_NS0_8identityIvEEEESI_SL_SM_mSN_SP_bEUlT_E_NS1_11comp_targetILNS1_3genE5ELNS1_11target_archE942ELNS1_3gpuE9ELNS1_3repE0EEENS1_30default_config_static_selectorELNS0_4arch9wavefront6targetE0EEEvT1_,comdat
	.protected	_ZN7rocprim17ROCPRIM_400000_NS6detail17trampoline_kernelINS0_14default_configENS1_25transform_config_selectorIyLb0EEEZNS1_14transform_implILb0ES3_S5_NS0_18transform_iteratorINS0_17counting_iteratorImlEEZNS1_24adjacent_difference_implIS3_Lb1ELb0EPKyPyN6thrust23THRUST_200600_302600_NS4plusIyEEEE10hipError_tPvRmT2_T3_mT4_P12ihipStream_tbEUlmE_yEESD_NS0_8identityIvEEEESI_SL_SM_mSN_SP_bEUlT_E_NS1_11comp_targetILNS1_3genE5ELNS1_11target_archE942ELNS1_3gpuE9ELNS1_3repE0EEENS1_30default_config_static_selectorELNS0_4arch9wavefront6targetE0EEEvT1_ ; -- Begin function _ZN7rocprim17ROCPRIM_400000_NS6detail17trampoline_kernelINS0_14default_configENS1_25transform_config_selectorIyLb0EEEZNS1_14transform_implILb0ES3_S5_NS0_18transform_iteratorINS0_17counting_iteratorImlEEZNS1_24adjacent_difference_implIS3_Lb1ELb0EPKyPyN6thrust23THRUST_200600_302600_NS4plusIyEEEE10hipError_tPvRmT2_T3_mT4_P12ihipStream_tbEUlmE_yEESD_NS0_8identityIvEEEESI_SL_SM_mSN_SP_bEUlT_E_NS1_11comp_targetILNS1_3genE5ELNS1_11target_archE942ELNS1_3gpuE9ELNS1_3repE0EEENS1_30default_config_static_selectorELNS0_4arch9wavefront6targetE0EEEvT1_
	.globl	_ZN7rocprim17ROCPRIM_400000_NS6detail17trampoline_kernelINS0_14default_configENS1_25transform_config_selectorIyLb0EEEZNS1_14transform_implILb0ES3_S5_NS0_18transform_iteratorINS0_17counting_iteratorImlEEZNS1_24adjacent_difference_implIS3_Lb1ELb0EPKyPyN6thrust23THRUST_200600_302600_NS4plusIyEEEE10hipError_tPvRmT2_T3_mT4_P12ihipStream_tbEUlmE_yEESD_NS0_8identityIvEEEESI_SL_SM_mSN_SP_bEUlT_E_NS1_11comp_targetILNS1_3genE5ELNS1_11target_archE942ELNS1_3gpuE9ELNS1_3repE0EEENS1_30default_config_static_selectorELNS0_4arch9wavefront6targetE0EEEvT1_
	.p2align	8
	.type	_ZN7rocprim17ROCPRIM_400000_NS6detail17trampoline_kernelINS0_14default_configENS1_25transform_config_selectorIyLb0EEEZNS1_14transform_implILb0ES3_S5_NS0_18transform_iteratorINS0_17counting_iteratorImlEEZNS1_24adjacent_difference_implIS3_Lb1ELb0EPKyPyN6thrust23THRUST_200600_302600_NS4plusIyEEEE10hipError_tPvRmT2_T3_mT4_P12ihipStream_tbEUlmE_yEESD_NS0_8identityIvEEEESI_SL_SM_mSN_SP_bEUlT_E_NS1_11comp_targetILNS1_3genE5ELNS1_11target_archE942ELNS1_3gpuE9ELNS1_3repE0EEENS1_30default_config_static_selectorELNS0_4arch9wavefront6targetE0EEEvT1_,@function
_ZN7rocprim17ROCPRIM_400000_NS6detail17trampoline_kernelINS0_14default_configENS1_25transform_config_selectorIyLb0EEEZNS1_14transform_implILb0ES3_S5_NS0_18transform_iteratorINS0_17counting_iteratorImlEEZNS1_24adjacent_difference_implIS3_Lb1ELb0EPKyPyN6thrust23THRUST_200600_302600_NS4plusIyEEEE10hipError_tPvRmT2_T3_mT4_P12ihipStream_tbEUlmE_yEESD_NS0_8identityIvEEEESI_SL_SM_mSN_SP_bEUlT_E_NS1_11comp_targetILNS1_3genE5ELNS1_11target_archE942ELNS1_3gpuE9ELNS1_3repE0EEENS1_30default_config_static_selectorELNS0_4arch9wavefront6targetE0EEEvT1_: ; @_ZN7rocprim17ROCPRIM_400000_NS6detail17trampoline_kernelINS0_14default_configENS1_25transform_config_selectorIyLb0EEEZNS1_14transform_implILb0ES3_S5_NS0_18transform_iteratorINS0_17counting_iteratorImlEEZNS1_24adjacent_difference_implIS3_Lb1ELb0EPKyPyN6thrust23THRUST_200600_302600_NS4plusIyEEEE10hipError_tPvRmT2_T3_mT4_P12ihipStream_tbEUlmE_yEESD_NS0_8identityIvEEEESI_SL_SM_mSN_SP_bEUlT_E_NS1_11comp_targetILNS1_3genE5ELNS1_11target_archE942ELNS1_3gpuE9ELNS1_3repE0EEENS1_30default_config_static_selectorELNS0_4arch9wavefront6targetE0EEEvT1_
; %bb.0:
	.section	.rodata,"a",@progbits
	.p2align	6, 0x0
	.amdhsa_kernel _ZN7rocprim17ROCPRIM_400000_NS6detail17trampoline_kernelINS0_14default_configENS1_25transform_config_selectorIyLb0EEEZNS1_14transform_implILb0ES3_S5_NS0_18transform_iteratorINS0_17counting_iteratorImlEEZNS1_24adjacent_difference_implIS3_Lb1ELb0EPKyPyN6thrust23THRUST_200600_302600_NS4plusIyEEEE10hipError_tPvRmT2_T3_mT4_P12ihipStream_tbEUlmE_yEESD_NS0_8identityIvEEEESI_SL_SM_mSN_SP_bEUlT_E_NS1_11comp_targetILNS1_3genE5ELNS1_11target_archE942ELNS1_3gpuE9ELNS1_3repE0EEENS1_30default_config_static_selectorELNS0_4arch9wavefront6targetE0EEEvT1_
		.amdhsa_group_segment_fixed_size 0
		.amdhsa_private_segment_fixed_size 0
		.amdhsa_kernarg_size 56
		.amdhsa_user_sgpr_count 15
		.amdhsa_user_sgpr_dispatch_ptr 0
		.amdhsa_user_sgpr_queue_ptr 0
		.amdhsa_user_sgpr_kernarg_segment_ptr 1
		.amdhsa_user_sgpr_dispatch_id 0
		.amdhsa_user_sgpr_private_segment_size 0
		.amdhsa_wavefront_size32 1
		.amdhsa_uses_dynamic_stack 0
		.amdhsa_enable_private_segment 0
		.amdhsa_system_sgpr_workgroup_id_x 1
		.amdhsa_system_sgpr_workgroup_id_y 0
		.amdhsa_system_sgpr_workgroup_id_z 0
		.amdhsa_system_sgpr_workgroup_info 0
		.amdhsa_system_vgpr_workitem_id 0
		.amdhsa_next_free_vgpr 1
		.amdhsa_next_free_sgpr 1
		.amdhsa_reserve_vcc 0
		.amdhsa_float_round_mode_32 0
		.amdhsa_float_round_mode_16_64 0
		.amdhsa_float_denorm_mode_32 3
		.amdhsa_float_denorm_mode_16_64 3
		.amdhsa_dx10_clamp 1
		.amdhsa_ieee_mode 1
		.amdhsa_fp16_overflow 0
		.amdhsa_workgroup_processor_mode 1
		.amdhsa_memory_ordered 1
		.amdhsa_forward_progress 0
		.amdhsa_shared_vgpr_count 0
		.amdhsa_exception_fp_ieee_invalid_op 0
		.amdhsa_exception_fp_denorm_src 0
		.amdhsa_exception_fp_ieee_div_zero 0
		.amdhsa_exception_fp_ieee_overflow 0
		.amdhsa_exception_fp_ieee_underflow 0
		.amdhsa_exception_fp_ieee_inexact 0
		.amdhsa_exception_int_div_zero 0
	.end_amdhsa_kernel
	.section	.text._ZN7rocprim17ROCPRIM_400000_NS6detail17trampoline_kernelINS0_14default_configENS1_25transform_config_selectorIyLb0EEEZNS1_14transform_implILb0ES3_S5_NS0_18transform_iteratorINS0_17counting_iteratorImlEEZNS1_24adjacent_difference_implIS3_Lb1ELb0EPKyPyN6thrust23THRUST_200600_302600_NS4plusIyEEEE10hipError_tPvRmT2_T3_mT4_P12ihipStream_tbEUlmE_yEESD_NS0_8identityIvEEEESI_SL_SM_mSN_SP_bEUlT_E_NS1_11comp_targetILNS1_3genE5ELNS1_11target_archE942ELNS1_3gpuE9ELNS1_3repE0EEENS1_30default_config_static_selectorELNS0_4arch9wavefront6targetE0EEEvT1_,"axG",@progbits,_ZN7rocprim17ROCPRIM_400000_NS6detail17trampoline_kernelINS0_14default_configENS1_25transform_config_selectorIyLb0EEEZNS1_14transform_implILb0ES3_S5_NS0_18transform_iteratorINS0_17counting_iteratorImlEEZNS1_24adjacent_difference_implIS3_Lb1ELb0EPKyPyN6thrust23THRUST_200600_302600_NS4plusIyEEEE10hipError_tPvRmT2_T3_mT4_P12ihipStream_tbEUlmE_yEESD_NS0_8identityIvEEEESI_SL_SM_mSN_SP_bEUlT_E_NS1_11comp_targetILNS1_3genE5ELNS1_11target_archE942ELNS1_3gpuE9ELNS1_3repE0EEENS1_30default_config_static_selectorELNS0_4arch9wavefront6targetE0EEEvT1_,comdat
.Lfunc_end632:
	.size	_ZN7rocprim17ROCPRIM_400000_NS6detail17trampoline_kernelINS0_14default_configENS1_25transform_config_selectorIyLb0EEEZNS1_14transform_implILb0ES3_S5_NS0_18transform_iteratorINS0_17counting_iteratorImlEEZNS1_24adjacent_difference_implIS3_Lb1ELb0EPKyPyN6thrust23THRUST_200600_302600_NS4plusIyEEEE10hipError_tPvRmT2_T3_mT4_P12ihipStream_tbEUlmE_yEESD_NS0_8identityIvEEEESI_SL_SM_mSN_SP_bEUlT_E_NS1_11comp_targetILNS1_3genE5ELNS1_11target_archE942ELNS1_3gpuE9ELNS1_3repE0EEENS1_30default_config_static_selectorELNS0_4arch9wavefront6targetE0EEEvT1_, .Lfunc_end632-_ZN7rocprim17ROCPRIM_400000_NS6detail17trampoline_kernelINS0_14default_configENS1_25transform_config_selectorIyLb0EEEZNS1_14transform_implILb0ES3_S5_NS0_18transform_iteratorINS0_17counting_iteratorImlEEZNS1_24adjacent_difference_implIS3_Lb1ELb0EPKyPyN6thrust23THRUST_200600_302600_NS4plusIyEEEE10hipError_tPvRmT2_T3_mT4_P12ihipStream_tbEUlmE_yEESD_NS0_8identityIvEEEESI_SL_SM_mSN_SP_bEUlT_E_NS1_11comp_targetILNS1_3genE5ELNS1_11target_archE942ELNS1_3gpuE9ELNS1_3repE0EEENS1_30default_config_static_selectorELNS0_4arch9wavefront6targetE0EEEvT1_
                                        ; -- End function
	.section	.AMDGPU.csdata,"",@progbits
; Kernel info:
; codeLenInByte = 0
; NumSgprs: 0
; NumVgprs: 0
; ScratchSize: 0
; MemoryBound: 0
; FloatMode: 240
; IeeeMode: 1
; LDSByteSize: 0 bytes/workgroup (compile time only)
; SGPRBlocks: 0
; VGPRBlocks: 0
; NumSGPRsForWavesPerEU: 1
; NumVGPRsForWavesPerEU: 1
; Occupancy: 16
; WaveLimiterHint : 0
; COMPUTE_PGM_RSRC2:SCRATCH_EN: 0
; COMPUTE_PGM_RSRC2:USER_SGPR: 15
; COMPUTE_PGM_RSRC2:TRAP_HANDLER: 0
; COMPUTE_PGM_RSRC2:TGID_X_EN: 1
; COMPUTE_PGM_RSRC2:TGID_Y_EN: 0
; COMPUTE_PGM_RSRC2:TGID_Z_EN: 0
; COMPUTE_PGM_RSRC2:TIDIG_COMP_CNT: 0
	.section	.text._ZN7rocprim17ROCPRIM_400000_NS6detail17trampoline_kernelINS0_14default_configENS1_25transform_config_selectorIyLb0EEEZNS1_14transform_implILb0ES3_S5_NS0_18transform_iteratorINS0_17counting_iteratorImlEEZNS1_24adjacent_difference_implIS3_Lb1ELb0EPKyPyN6thrust23THRUST_200600_302600_NS4plusIyEEEE10hipError_tPvRmT2_T3_mT4_P12ihipStream_tbEUlmE_yEESD_NS0_8identityIvEEEESI_SL_SM_mSN_SP_bEUlT_E_NS1_11comp_targetILNS1_3genE4ELNS1_11target_archE910ELNS1_3gpuE8ELNS1_3repE0EEENS1_30default_config_static_selectorELNS0_4arch9wavefront6targetE0EEEvT1_,"axG",@progbits,_ZN7rocprim17ROCPRIM_400000_NS6detail17trampoline_kernelINS0_14default_configENS1_25transform_config_selectorIyLb0EEEZNS1_14transform_implILb0ES3_S5_NS0_18transform_iteratorINS0_17counting_iteratorImlEEZNS1_24adjacent_difference_implIS3_Lb1ELb0EPKyPyN6thrust23THRUST_200600_302600_NS4plusIyEEEE10hipError_tPvRmT2_T3_mT4_P12ihipStream_tbEUlmE_yEESD_NS0_8identityIvEEEESI_SL_SM_mSN_SP_bEUlT_E_NS1_11comp_targetILNS1_3genE4ELNS1_11target_archE910ELNS1_3gpuE8ELNS1_3repE0EEENS1_30default_config_static_selectorELNS0_4arch9wavefront6targetE0EEEvT1_,comdat
	.protected	_ZN7rocprim17ROCPRIM_400000_NS6detail17trampoline_kernelINS0_14default_configENS1_25transform_config_selectorIyLb0EEEZNS1_14transform_implILb0ES3_S5_NS0_18transform_iteratorINS0_17counting_iteratorImlEEZNS1_24adjacent_difference_implIS3_Lb1ELb0EPKyPyN6thrust23THRUST_200600_302600_NS4plusIyEEEE10hipError_tPvRmT2_T3_mT4_P12ihipStream_tbEUlmE_yEESD_NS0_8identityIvEEEESI_SL_SM_mSN_SP_bEUlT_E_NS1_11comp_targetILNS1_3genE4ELNS1_11target_archE910ELNS1_3gpuE8ELNS1_3repE0EEENS1_30default_config_static_selectorELNS0_4arch9wavefront6targetE0EEEvT1_ ; -- Begin function _ZN7rocprim17ROCPRIM_400000_NS6detail17trampoline_kernelINS0_14default_configENS1_25transform_config_selectorIyLb0EEEZNS1_14transform_implILb0ES3_S5_NS0_18transform_iteratorINS0_17counting_iteratorImlEEZNS1_24adjacent_difference_implIS3_Lb1ELb0EPKyPyN6thrust23THRUST_200600_302600_NS4plusIyEEEE10hipError_tPvRmT2_T3_mT4_P12ihipStream_tbEUlmE_yEESD_NS0_8identityIvEEEESI_SL_SM_mSN_SP_bEUlT_E_NS1_11comp_targetILNS1_3genE4ELNS1_11target_archE910ELNS1_3gpuE8ELNS1_3repE0EEENS1_30default_config_static_selectorELNS0_4arch9wavefront6targetE0EEEvT1_
	.globl	_ZN7rocprim17ROCPRIM_400000_NS6detail17trampoline_kernelINS0_14default_configENS1_25transform_config_selectorIyLb0EEEZNS1_14transform_implILb0ES3_S5_NS0_18transform_iteratorINS0_17counting_iteratorImlEEZNS1_24adjacent_difference_implIS3_Lb1ELb0EPKyPyN6thrust23THRUST_200600_302600_NS4plusIyEEEE10hipError_tPvRmT2_T3_mT4_P12ihipStream_tbEUlmE_yEESD_NS0_8identityIvEEEESI_SL_SM_mSN_SP_bEUlT_E_NS1_11comp_targetILNS1_3genE4ELNS1_11target_archE910ELNS1_3gpuE8ELNS1_3repE0EEENS1_30default_config_static_selectorELNS0_4arch9wavefront6targetE0EEEvT1_
	.p2align	8
	.type	_ZN7rocprim17ROCPRIM_400000_NS6detail17trampoline_kernelINS0_14default_configENS1_25transform_config_selectorIyLb0EEEZNS1_14transform_implILb0ES3_S5_NS0_18transform_iteratorINS0_17counting_iteratorImlEEZNS1_24adjacent_difference_implIS3_Lb1ELb0EPKyPyN6thrust23THRUST_200600_302600_NS4plusIyEEEE10hipError_tPvRmT2_T3_mT4_P12ihipStream_tbEUlmE_yEESD_NS0_8identityIvEEEESI_SL_SM_mSN_SP_bEUlT_E_NS1_11comp_targetILNS1_3genE4ELNS1_11target_archE910ELNS1_3gpuE8ELNS1_3repE0EEENS1_30default_config_static_selectorELNS0_4arch9wavefront6targetE0EEEvT1_,@function
_ZN7rocprim17ROCPRIM_400000_NS6detail17trampoline_kernelINS0_14default_configENS1_25transform_config_selectorIyLb0EEEZNS1_14transform_implILb0ES3_S5_NS0_18transform_iteratorINS0_17counting_iteratorImlEEZNS1_24adjacent_difference_implIS3_Lb1ELb0EPKyPyN6thrust23THRUST_200600_302600_NS4plusIyEEEE10hipError_tPvRmT2_T3_mT4_P12ihipStream_tbEUlmE_yEESD_NS0_8identityIvEEEESI_SL_SM_mSN_SP_bEUlT_E_NS1_11comp_targetILNS1_3genE4ELNS1_11target_archE910ELNS1_3gpuE8ELNS1_3repE0EEENS1_30default_config_static_selectorELNS0_4arch9wavefront6targetE0EEEvT1_: ; @_ZN7rocprim17ROCPRIM_400000_NS6detail17trampoline_kernelINS0_14default_configENS1_25transform_config_selectorIyLb0EEEZNS1_14transform_implILb0ES3_S5_NS0_18transform_iteratorINS0_17counting_iteratorImlEEZNS1_24adjacent_difference_implIS3_Lb1ELb0EPKyPyN6thrust23THRUST_200600_302600_NS4plusIyEEEE10hipError_tPvRmT2_T3_mT4_P12ihipStream_tbEUlmE_yEESD_NS0_8identityIvEEEESI_SL_SM_mSN_SP_bEUlT_E_NS1_11comp_targetILNS1_3genE4ELNS1_11target_archE910ELNS1_3gpuE8ELNS1_3repE0EEENS1_30default_config_static_selectorELNS0_4arch9wavefront6targetE0EEEvT1_
; %bb.0:
	.section	.rodata,"a",@progbits
	.p2align	6, 0x0
	.amdhsa_kernel _ZN7rocprim17ROCPRIM_400000_NS6detail17trampoline_kernelINS0_14default_configENS1_25transform_config_selectorIyLb0EEEZNS1_14transform_implILb0ES3_S5_NS0_18transform_iteratorINS0_17counting_iteratorImlEEZNS1_24adjacent_difference_implIS3_Lb1ELb0EPKyPyN6thrust23THRUST_200600_302600_NS4plusIyEEEE10hipError_tPvRmT2_T3_mT4_P12ihipStream_tbEUlmE_yEESD_NS0_8identityIvEEEESI_SL_SM_mSN_SP_bEUlT_E_NS1_11comp_targetILNS1_3genE4ELNS1_11target_archE910ELNS1_3gpuE8ELNS1_3repE0EEENS1_30default_config_static_selectorELNS0_4arch9wavefront6targetE0EEEvT1_
		.amdhsa_group_segment_fixed_size 0
		.amdhsa_private_segment_fixed_size 0
		.amdhsa_kernarg_size 56
		.amdhsa_user_sgpr_count 15
		.amdhsa_user_sgpr_dispatch_ptr 0
		.amdhsa_user_sgpr_queue_ptr 0
		.amdhsa_user_sgpr_kernarg_segment_ptr 1
		.amdhsa_user_sgpr_dispatch_id 0
		.amdhsa_user_sgpr_private_segment_size 0
		.amdhsa_wavefront_size32 1
		.amdhsa_uses_dynamic_stack 0
		.amdhsa_enable_private_segment 0
		.amdhsa_system_sgpr_workgroup_id_x 1
		.amdhsa_system_sgpr_workgroup_id_y 0
		.amdhsa_system_sgpr_workgroup_id_z 0
		.amdhsa_system_sgpr_workgroup_info 0
		.amdhsa_system_vgpr_workitem_id 0
		.amdhsa_next_free_vgpr 1
		.amdhsa_next_free_sgpr 1
		.amdhsa_reserve_vcc 0
		.amdhsa_float_round_mode_32 0
		.amdhsa_float_round_mode_16_64 0
		.amdhsa_float_denorm_mode_32 3
		.amdhsa_float_denorm_mode_16_64 3
		.amdhsa_dx10_clamp 1
		.amdhsa_ieee_mode 1
		.amdhsa_fp16_overflow 0
		.amdhsa_workgroup_processor_mode 1
		.amdhsa_memory_ordered 1
		.amdhsa_forward_progress 0
		.amdhsa_shared_vgpr_count 0
		.amdhsa_exception_fp_ieee_invalid_op 0
		.amdhsa_exception_fp_denorm_src 0
		.amdhsa_exception_fp_ieee_div_zero 0
		.amdhsa_exception_fp_ieee_overflow 0
		.amdhsa_exception_fp_ieee_underflow 0
		.amdhsa_exception_fp_ieee_inexact 0
		.amdhsa_exception_int_div_zero 0
	.end_amdhsa_kernel
	.section	.text._ZN7rocprim17ROCPRIM_400000_NS6detail17trampoline_kernelINS0_14default_configENS1_25transform_config_selectorIyLb0EEEZNS1_14transform_implILb0ES3_S5_NS0_18transform_iteratorINS0_17counting_iteratorImlEEZNS1_24adjacent_difference_implIS3_Lb1ELb0EPKyPyN6thrust23THRUST_200600_302600_NS4plusIyEEEE10hipError_tPvRmT2_T3_mT4_P12ihipStream_tbEUlmE_yEESD_NS0_8identityIvEEEESI_SL_SM_mSN_SP_bEUlT_E_NS1_11comp_targetILNS1_3genE4ELNS1_11target_archE910ELNS1_3gpuE8ELNS1_3repE0EEENS1_30default_config_static_selectorELNS0_4arch9wavefront6targetE0EEEvT1_,"axG",@progbits,_ZN7rocprim17ROCPRIM_400000_NS6detail17trampoline_kernelINS0_14default_configENS1_25transform_config_selectorIyLb0EEEZNS1_14transform_implILb0ES3_S5_NS0_18transform_iteratorINS0_17counting_iteratorImlEEZNS1_24adjacent_difference_implIS3_Lb1ELb0EPKyPyN6thrust23THRUST_200600_302600_NS4plusIyEEEE10hipError_tPvRmT2_T3_mT4_P12ihipStream_tbEUlmE_yEESD_NS0_8identityIvEEEESI_SL_SM_mSN_SP_bEUlT_E_NS1_11comp_targetILNS1_3genE4ELNS1_11target_archE910ELNS1_3gpuE8ELNS1_3repE0EEENS1_30default_config_static_selectorELNS0_4arch9wavefront6targetE0EEEvT1_,comdat
.Lfunc_end633:
	.size	_ZN7rocprim17ROCPRIM_400000_NS6detail17trampoline_kernelINS0_14default_configENS1_25transform_config_selectorIyLb0EEEZNS1_14transform_implILb0ES3_S5_NS0_18transform_iteratorINS0_17counting_iteratorImlEEZNS1_24adjacent_difference_implIS3_Lb1ELb0EPKyPyN6thrust23THRUST_200600_302600_NS4plusIyEEEE10hipError_tPvRmT2_T3_mT4_P12ihipStream_tbEUlmE_yEESD_NS0_8identityIvEEEESI_SL_SM_mSN_SP_bEUlT_E_NS1_11comp_targetILNS1_3genE4ELNS1_11target_archE910ELNS1_3gpuE8ELNS1_3repE0EEENS1_30default_config_static_selectorELNS0_4arch9wavefront6targetE0EEEvT1_, .Lfunc_end633-_ZN7rocprim17ROCPRIM_400000_NS6detail17trampoline_kernelINS0_14default_configENS1_25transform_config_selectorIyLb0EEEZNS1_14transform_implILb0ES3_S5_NS0_18transform_iteratorINS0_17counting_iteratorImlEEZNS1_24adjacent_difference_implIS3_Lb1ELb0EPKyPyN6thrust23THRUST_200600_302600_NS4plusIyEEEE10hipError_tPvRmT2_T3_mT4_P12ihipStream_tbEUlmE_yEESD_NS0_8identityIvEEEESI_SL_SM_mSN_SP_bEUlT_E_NS1_11comp_targetILNS1_3genE4ELNS1_11target_archE910ELNS1_3gpuE8ELNS1_3repE0EEENS1_30default_config_static_selectorELNS0_4arch9wavefront6targetE0EEEvT1_
                                        ; -- End function
	.section	.AMDGPU.csdata,"",@progbits
; Kernel info:
; codeLenInByte = 0
; NumSgprs: 0
; NumVgprs: 0
; ScratchSize: 0
; MemoryBound: 0
; FloatMode: 240
; IeeeMode: 1
; LDSByteSize: 0 bytes/workgroup (compile time only)
; SGPRBlocks: 0
; VGPRBlocks: 0
; NumSGPRsForWavesPerEU: 1
; NumVGPRsForWavesPerEU: 1
; Occupancy: 16
; WaveLimiterHint : 0
; COMPUTE_PGM_RSRC2:SCRATCH_EN: 0
; COMPUTE_PGM_RSRC2:USER_SGPR: 15
; COMPUTE_PGM_RSRC2:TRAP_HANDLER: 0
; COMPUTE_PGM_RSRC2:TGID_X_EN: 1
; COMPUTE_PGM_RSRC2:TGID_Y_EN: 0
; COMPUTE_PGM_RSRC2:TGID_Z_EN: 0
; COMPUTE_PGM_RSRC2:TIDIG_COMP_CNT: 0
	.section	.text._ZN7rocprim17ROCPRIM_400000_NS6detail17trampoline_kernelINS0_14default_configENS1_25transform_config_selectorIyLb0EEEZNS1_14transform_implILb0ES3_S5_NS0_18transform_iteratorINS0_17counting_iteratorImlEEZNS1_24adjacent_difference_implIS3_Lb1ELb0EPKyPyN6thrust23THRUST_200600_302600_NS4plusIyEEEE10hipError_tPvRmT2_T3_mT4_P12ihipStream_tbEUlmE_yEESD_NS0_8identityIvEEEESI_SL_SM_mSN_SP_bEUlT_E_NS1_11comp_targetILNS1_3genE3ELNS1_11target_archE908ELNS1_3gpuE7ELNS1_3repE0EEENS1_30default_config_static_selectorELNS0_4arch9wavefront6targetE0EEEvT1_,"axG",@progbits,_ZN7rocprim17ROCPRIM_400000_NS6detail17trampoline_kernelINS0_14default_configENS1_25transform_config_selectorIyLb0EEEZNS1_14transform_implILb0ES3_S5_NS0_18transform_iteratorINS0_17counting_iteratorImlEEZNS1_24adjacent_difference_implIS3_Lb1ELb0EPKyPyN6thrust23THRUST_200600_302600_NS4plusIyEEEE10hipError_tPvRmT2_T3_mT4_P12ihipStream_tbEUlmE_yEESD_NS0_8identityIvEEEESI_SL_SM_mSN_SP_bEUlT_E_NS1_11comp_targetILNS1_3genE3ELNS1_11target_archE908ELNS1_3gpuE7ELNS1_3repE0EEENS1_30default_config_static_selectorELNS0_4arch9wavefront6targetE0EEEvT1_,comdat
	.protected	_ZN7rocprim17ROCPRIM_400000_NS6detail17trampoline_kernelINS0_14default_configENS1_25transform_config_selectorIyLb0EEEZNS1_14transform_implILb0ES3_S5_NS0_18transform_iteratorINS0_17counting_iteratorImlEEZNS1_24adjacent_difference_implIS3_Lb1ELb0EPKyPyN6thrust23THRUST_200600_302600_NS4plusIyEEEE10hipError_tPvRmT2_T3_mT4_P12ihipStream_tbEUlmE_yEESD_NS0_8identityIvEEEESI_SL_SM_mSN_SP_bEUlT_E_NS1_11comp_targetILNS1_3genE3ELNS1_11target_archE908ELNS1_3gpuE7ELNS1_3repE0EEENS1_30default_config_static_selectorELNS0_4arch9wavefront6targetE0EEEvT1_ ; -- Begin function _ZN7rocprim17ROCPRIM_400000_NS6detail17trampoline_kernelINS0_14default_configENS1_25transform_config_selectorIyLb0EEEZNS1_14transform_implILb0ES3_S5_NS0_18transform_iteratorINS0_17counting_iteratorImlEEZNS1_24adjacent_difference_implIS3_Lb1ELb0EPKyPyN6thrust23THRUST_200600_302600_NS4plusIyEEEE10hipError_tPvRmT2_T3_mT4_P12ihipStream_tbEUlmE_yEESD_NS0_8identityIvEEEESI_SL_SM_mSN_SP_bEUlT_E_NS1_11comp_targetILNS1_3genE3ELNS1_11target_archE908ELNS1_3gpuE7ELNS1_3repE0EEENS1_30default_config_static_selectorELNS0_4arch9wavefront6targetE0EEEvT1_
	.globl	_ZN7rocprim17ROCPRIM_400000_NS6detail17trampoline_kernelINS0_14default_configENS1_25transform_config_selectorIyLb0EEEZNS1_14transform_implILb0ES3_S5_NS0_18transform_iteratorINS0_17counting_iteratorImlEEZNS1_24adjacent_difference_implIS3_Lb1ELb0EPKyPyN6thrust23THRUST_200600_302600_NS4plusIyEEEE10hipError_tPvRmT2_T3_mT4_P12ihipStream_tbEUlmE_yEESD_NS0_8identityIvEEEESI_SL_SM_mSN_SP_bEUlT_E_NS1_11comp_targetILNS1_3genE3ELNS1_11target_archE908ELNS1_3gpuE7ELNS1_3repE0EEENS1_30default_config_static_selectorELNS0_4arch9wavefront6targetE0EEEvT1_
	.p2align	8
	.type	_ZN7rocprim17ROCPRIM_400000_NS6detail17trampoline_kernelINS0_14default_configENS1_25transform_config_selectorIyLb0EEEZNS1_14transform_implILb0ES3_S5_NS0_18transform_iteratorINS0_17counting_iteratorImlEEZNS1_24adjacent_difference_implIS3_Lb1ELb0EPKyPyN6thrust23THRUST_200600_302600_NS4plusIyEEEE10hipError_tPvRmT2_T3_mT4_P12ihipStream_tbEUlmE_yEESD_NS0_8identityIvEEEESI_SL_SM_mSN_SP_bEUlT_E_NS1_11comp_targetILNS1_3genE3ELNS1_11target_archE908ELNS1_3gpuE7ELNS1_3repE0EEENS1_30default_config_static_selectorELNS0_4arch9wavefront6targetE0EEEvT1_,@function
_ZN7rocprim17ROCPRIM_400000_NS6detail17trampoline_kernelINS0_14default_configENS1_25transform_config_selectorIyLb0EEEZNS1_14transform_implILb0ES3_S5_NS0_18transform_iteratorINS0_17counting_iteratorImlEEZNS1_24adjacent_difference_implIS3_Lb1ELb0EPKyPyN6thrust23THRUST_200600_302600_NS4plusIyEEEE10hipError_tPvRmT2_T3_mT4_P12ihipStream_tbEUlmE_yEESD_NS0_8identityIvEEEESI_SL_SM_mSN_SP_bEUlT_E_NS1_11comp_targetILNS1_3genE3ELNS1_11target_archE908ELNS1_3gpuE7ELNS1_3repE0EEENS1_30default_config_static_selectorELNS0_4arch9wavefront6targetE0EEEvT1_: ; @_ZN7rocprim17ROCPRIM_400000_NS6detail17trampoline_kernelINS0_14default_configENS1_25transform_config_selectorIyLb0EEEZNS1_14transform_implILb0ES3_S5_NS0_18transform_iteratorINS0_17counting_iteratorImlEEZNS1_24adjacent_difference_implIS3_Lb1ELb0EPKyPyN6thrust23THRUST_200600_302600_NS4plusIyEEEE10hipError_tPvRmT2_T3_mT4_P12ihipStream_tbEUlmE_yEESD_NS0_8identityIvEEEESI_SL_SM_mSN_SP_bEUlT_E_NS1_11comp_targetILNS1_3genE3ELNS1_11target_archE908ELNS1_3gpuE7ELNS1_3repE0EEENS1_30default_config_static_selectorELNS0_4arch9wavefront6targetE0EEEvT1_
; %bb.0:
	.section	.rodata,"a",@progbits
	.p2align	6, 0x0
	.amdhsa_kernel _ZN7rocprim17ROCPRIM_400000_NS6detail17trampoline_kernelINS0_14default_configENS1_25transform_config_selectorIyLb0EEEZNS1_14transform_implILb0ES3_S5_NS0_18transform_iteratorINS0_17counting_iteratorImlEEZNS1_24adjacent_difference_implIS3_Lb1ELb0EPKyPyN6thrust23THRUST_200600_302600_NS4plusIyEEEE10hipError_tPvRmT2_T3_mT4_P12ihipStream_tbEUlmE_yEESD_NS0_8identityIvEEEESI_SL_SM_mSN_SP_bEUlT_E_NS1_11comp_targetILNS1_3genE3ELNS1_11target_archE908ELNS1_3gpuE7ELNS1_3repE0EEENS1_30default_config_static_selectorELNS0_4arch9wavefront6targetE0EEEvT1_
		.amdhsa_group_segment_fixed_size 0
		.amdhsa_private_segment_fixed_size 0
		.amdhsa_kernarg_size 56
		.amdhsa_user_sgpr_count 15
		.amdhsa_user_sgpr_dispatch_ptr 0
		.amdhsa_user_sgpr_queue_ptr 0
		.amdhsa_user_sgpr_kernarg_segment_ptr 1
		.amdhsa_user_sgpr_dispatch_id 0
		.amdhsa_user_sgpr_private_segment_size 0
		.amdhsa_wavefront_size32 1
		.amdhsa_uses_dynamic_stack 0
		.amdhsa_enable_private_segment 0
		.amdhsa_system_sgpr_workgroup_id_x 1
		.amdhsa_system_sgpr_workgroup_id_y 0
		.amdhsa_system_sgpr_workgroup_id_z 0
		.amdhsa_system_sgpr_workgroup_info 0
		.amdhsa_system_vgpr_workitem_id 0
		.amdhsa_next_free_vgpr 1
		.amdhsa_next_free_sgpr 1
		.amdhsa_reserve_vcc 0
		.amdhsa_float_round_mode_32 0
		.amdhsa_float_round_mode_16_64 0
		.amdhsa_float_denorm_mode_32 3
		.amdhsa_float_denorm_mode_16_64 3
		.amdhsa_dx10_clamp 1
		.amdhsa_ieee_mode 1
		.amdhsa_fp16_overflow 0
		.amdhsa_workgroup_processor_mode 1
		.amdhsa_memory_ordered 1
		.amdhsa_forward_progress 0
		.amdhsa_shared_vgpr_count 0
		.amdhsa_exception_fp_ieee_invalid_op 0
		.amdhsa_exception_fp_denorm_src 0
		.amdhsa_exception_fp_ieee_div_zero 0
		.amdhsa_exception_fp_ieee_overflow 0
		.amdhsa_exception_fp_ieee_underflow 0
		.amdhsa_exception_fp_ieee_inexact 0
		.amdhsa_exception_int_div_zero 0
	.end_amdhsa_kernel
	.section	.text._ZN7rocprim17ROCPRIM_400000_NS6detail17trampoline_kernelINS0_14default_configENS1_25transform_config_selectorIyLb0EEEZNS1_14transform_implILb0ES3_S5_NS0_18transform_iteratorINS0_17counting_iteratorImlEEZNS1_24adjacent_difference_implIS3_Lb1ELb0EPKyPyN6thrust23THRUST_200600_302600_NS4plusIyEEEE10hipError_tPvRmT2_T3_mT4_P12ihipStream_tbEUlmE_yEESD_NS0_8identityIvEEEESI_SL_SM_mSN_SP_bEUlT_E_NS1_11comp_targetILNS1_3genE3ELNS1_11target_archE908ELNS1_3gpuE7ELNS1_3repE0EEENS1_30default_config_static_selectorELNS0_4arch9wavefront6targetE0EEEvT1_,"axG",@progbits,_ZN7rocprim17ROCPRIM_400000_NS6detail17trampoline_kernelINS0_14default_configENS1_25transform_config_selectorIyLb0EEEZNS1_14transform_implILb0ES3_S5_NS0_18transform_iteratorINS0_17counting_iteratorImlEEZNS1_24adjacent_difference_implIS3_Lb1ELb0EPKyPyN6thrust23THRUST_200600_302600_NS4plusIyEEEE10hipError_tPvRmT2_T3_mT4_P12ihipStream_tbEUlmE_yEESD_NS0_8identityIvEEEESI_SL_SM_mSN_SP_bEUlT_E_NS1_11comp_targetILNS1_3genE3ELNS1_11target_archE908ELNS1_3gpuE7ELNS1_3repE0EEENS1_30default_config_static_selectorELNS0_4arch9wavefront6targetE0EEEvT1_,comdat
.Lfunc_end634:
	.size	_ZN7rocprim17ROCPRIM_400000_NS6detail17trampoline_kernelINS0_14default_configENS1_25transform_config_selectorIyLb0EEEZNS1_14transform_implILb0ES3_S5_NS0_18transform_iteratorINS0_17counting_iteratorImlEEZNS1_24adjacent_difference_implIS3_Lb1ELb0EPKyPyN6thrust23THRUST_200600_302600_NS4plusIyEEEE10hipError_tPvRmT2_T3_mT4_P12ihipStream_tbEUlmE_yEESD_NS0_8identityIvEEEESI_SL_SM_mSN_SP_bEUlT_E_NS1_11comp_targetILNS1_3genE3ELNS1_11target_archE908ELNS1_3gpuE7ELNS1_3repE0EEENS1_30default_config_static_selectorELNS0_4arch9wavefront6targetE0EEEvT1_, .Lfunc_end634-_ZN7rocprim17ROCPRIM_400000_NS6detail17trampoline_kernelINS0_14default_configENS1_25transform_config_selectorIyLb0EEEZNS1_14transform_implILb0ES3_S5_NS0_18transform_iteratorINS0_17counting_iteratorImlEEZNS1_24adjacent_difference_implIS3_Lb1ELb0EPKyPyN6thrust23THRUST_200600_302600_NS4plusIyEEEE10hipError_tPvRmT2_T3_mT4_P12ihipStream_tbEUlmE_yEESD_NS0_8identityIvEEEESI_SL_SM_mSN_SP_bEUlT_E_NS1_11comp_targetILNS1_3genE3ELNS1_11target_archE908ELNS1_3gpuE7ELNS1_3repE0EEENS1_30default_config_static_selectorELNS0_4arch9wavefront6targetE0EEEvT1_
                                        ; -- End function
	.section	.AMDGPU.csdata,"",@progbits
; Kernel info:
; codeLenInByte = 0
; NumSgprs: 0
; NumVgprs: 0
; ScratchSize: 0
; MemoryBound: 0
; FloatMode: 240
; IeeeMode: 1
; LDSByteSize: 0 bytes/workgroup (compile time only)
; SGPRBlocks: 0
; VGPRBlocks: 0
; NumSGPRsForWavesPerEU: 1
; NumVGPRsForWavesPerEU: 1
; Occupancy: 16
; WaveLimiterHint : 0
; COMPUTE_PGM_RSRC2:SCRATCH_EN: 0
; COMPUTE_PGM_RSRC2:USER_SGPR: 15
; COMPUTE_PGM_RSRC2:TRAP_HANDLER: 0
; COMPUTE_PGM_RSRC2:TGID_X_EN: 1
; COMPUTE_PGM_RSRC2:TGID_Y_EN: 0
; COMPUTE_PGM_RSRC2:TGID_Z_EN: 0
; COMPUTE_PGM_RSRC2:TIDIG_COMP_CNT: 0
	.section	.text._ZN7rocprim17ROCPRIM_400000_NS6detail17trampoline_kernelINS0_14default_configENS1_25transform_config_selectorIyLb0EEEZNS1_14transform_implILb0ES3_S5_NS0_18transform_iteratorINS0_17counting_iteratorImlEEZNS1_24adjacent_difference_implIS3_Lb1ELb0EPKyPyN6thrust23THRUST_200600_302600_NS4plusIyEEEE10hipError_tPvRmT2_T3_mT4_P12ihipStream_tbEUlmE_yEESD_NS0_8identityIvEEEESI_SL_SM_mSN_SP_bEUlT_E_NS1_11comp_targetILNS1_3genE2ELNS1_11target_archE906ELNS1_3gpuE6ELNS1_3repE0EEENS1_30default_config_static_selectorELNS0_4arch9wavefront6targetE0EEEvT1_,"axG",@progbits,_ZN7rocprim17ROCPRIM_400000_NS6detail17trampoline_kernelINS0_14default_configENS1_25transform_config_selectorIyLb0EEEZNS1_14transform_implILb0ES3_S5_NS0_18transform_iteratorINS0_17counting_iteratorImlEEZNS1_24adjacent_difference_implIS3_Lb1ELb0EPKyPyN6thrust23THRUST_200600_302600_NS4plusIyEEEE10hipError_tPvRmT2_T3_mT4_P12ihipStream_tbEUlmE_yEESD_NS0_8identityIvEEEESI_SL_SM_mSN_SP_bEUlT_E_NS1_11comp_targetILNS1_3genE2ELNS1_11target_archE906ELNS1_3gpuE6ELNS1_3repE0EEENS1_30default_config_static_selectorELNS0_4arch9wavefront6targetE0EEEvT1_,comdat
	.protected	_ZN7rocprim17ROCPRIM_400000_NS6detail17trampoline_kernelINS0_14default_configENS1_25transform_config_selectorIyLb0EEEZNS1_14transform_implILb0ES3_S5_NS0_18transform_iteratorINS0_17counting_iteratorImlEEZNS1_24adjacent_difference_implIS3_Lb1ELb0EPKyPyN6thrust23THRUST_200600_302600_NS4plusIyEEEE10hipError_tPvRmT2_T3_mT4_P12ihipStream_tbEUlmE_yEESD_NS0_8identityIvEEEESI_SL_SM_mSN_SP_bEUlT_E_NS1_11comp_targetILNS1_3genE2ELNS1_11target_archE906ELNS1_3gpuE6ELNS1_3repE0EEENS1_30default_config_static_selectorELNS0_4arch9wavefront6targetE0EEEvT1_ ; -- Begin function _ZN7rocprim17ROCPRIM_400000_NS6detail17trampoline_kernelINS0_14default_configENS1_25transform_config_selectorIyLb0EEEZNS1_14transform_implILb0ES3_S5_NS0_18transform_iteratorINS0_17counting_iteratorImlEEZNS1_24adjacent_difference_implIS3_Lb1ELb0EPKyPyN6thrust23THRUST_200600_302600_NS4plusIyEEEE10hipError_tPvRmT2_T3_mT4_P12ihipStream_tbEUlmE_yEESD_NS0_8identityIvEEEESI_SL_SM_mSN_SP_bEUlT_E_NS1_11comp_targetILNS1_3genE2ELNS1_11target_archE906ELNS1_3gpuE6ELNS1_3repE0EEENS1_30default_config_static_selectorELNS0_4arch9wavefront6targetE0EEEvT1_
	.globl	_ZN7rocprim17ROCPRIM_400000_NS6detail17trampoline_kernelINS0_14default_configENS1_25transform_config_selectorIyLb0EEEZNS1_14transform_implILb0ES3_S5_NS0_18transform_iteratorINS0_17counting_iteratorImlEEZNS1_24adjacent_difference_implIS3_Lb1ELb0EPKyPyN6thrust23THRUST_200600_302600_NS4plusIyEEEE10hipError_tPvRmT2_T3_mT4_P12ihipStream_tbEUlmE_yEESD_NS0_8identityIvEEEESI_SL_SM_mSN_SP_bEUlT_E_NS1_11comp_targetILNS1_3genE2ELNS1_11target_archE906ELNS1_3gpuE6ELNS1_3repE0EEENS1_30default_config_static_selectorELNS0_4arch9wavefront6targetE0EEEvT1_
	.p2align	8
	.type	_ZN7rocprim17ROCPRIM_400000_NS6detail17trampoline_kernelINS0_14default_configENS1_25transform_config_selectorIyLb0EEEZNS1_14transform_implILb0ES3_S5_NS0_18transform_iteratorINS0_17counting_iteratorImlEEZNS1_24adjacent_difference_implIS3_Lb1ELb0EPKyPyN6thrust23THRUST_200600_302600_NS4plusIyEEEE10hipError_tPvRmT2_T3_mT4_P12ihipStream_tbEUlmE_yEESD_NS0_8identityIvEEEESI_SL_SM_mSN_SP_bEUlT_E_NS1_11comp_targetILNS1_3genE2ELNS1_11target_archE906ELNS1_3gpuE6ELNS1_3repE0EEENS1_30default_config_static_selectorELNS0_4arch9wavefront6targetE0EEEvT1_,@function
_ZN7rocprim17ROCPRIM_400000_NS6detail17trampoline_kernelINS0_14default_configENS1_25transform_config_selectorIyLb0EEEZNS1_14transform_implILb0ES3_S5_NS0_18transform_iteratorINS0_17counting_iteratorImlEEZNS1_24adjacent_difference_implIS3_Lb1ELb0EPKyPyN6thrust23THRUST_200600_302600_NS4plusIyEEEE10hipError_tPvRmT2_T3_mT4_P12ihipStream_tbEUlmE_yEESD_NS0_8identityIvEEEESI_SL_SM_mSN_SP_bEUlT_E_NS1_11comp_targetILNS1_3genE2ELNS1_11target_archE906ELNS1_3gpuE6ELNS1_3repE0EEENS1_30default_config_static_selectorELNS0_4arch9wavefront6targetE0EEEvT1_: ; @_ZN7rocprim17ROCPRIM_400000_NS6detail17trampoline_kernelINS0_14default_configENS1_25transform_config_selectorIyLb0EEEZNS1_14transform_implILb0ES3_S5_NS0_18transform_iteratorINS0_17counting_iteratorImlEEZNS1_24adjacent_difference_implIS3_Lb1ELb0EPKyPyN6thrust23THRUST_200600_302600_NS4plusIyEEEE10hipError_tPvRmT2_T3_mT4_P12ihipStream_tbEUlmE_yEESD_NS0_8identityIvEEEESI_SL_SM_mSN_SP_bEUlT_E_NS1_11comp_targetILNS1_3genE2ELNS1_11target_archE906ELNS1_3gpuE6ELNS1_3repE0EEENS1_30default_config_static_selectorELNS0_4arch9wavefront6targetE0EEEvT1_
; %bb.0:
	.section	.rodata,"a",@progbits
	.p2align	6, 0x0
	.amdhsa_kernel _ZN7rocprim17ROCPRIM_400000_NS6detail17trampoline_kernelINS0_14default_configENS1_25transform_config_selectorIyLb0EEEZNS1_14transform_implILb0ES3_S5_NS0_18transform_iteratorINS0_17counting_iteratorImlEEZNS1_24adjacent_difference_implIS3_Lb1ELb0EPKyPyN6thrust23THRUST_200600_302600_NS4plusIyEEEE10hipError_tPvRmT2_T3_mT4_P12ihipStream_tbEUlmE_yEESD_NS0_8identityIvEEEESI_SL_SM_mSN_SP_bEUlT_E_NS1_11comp_targetILNS1_3genE2ELNS1_11target_archE906ELNS1_3gpuE6ELNS1_3repE0EEENS1_30default_config_static_selectorELNS0_4arch9wavefront6targetE0EEEvT1_
		.amdhsa_group_segment_fixed_size 0
		.amdhsa_private_segment_fixed_size 0
		.amdhsa_kernarg_size 56
		.amdhsa_user_sgpr_count 15
		.amdhsa_user_sgpr_dispatch_ptr 0
		.amdhsa_user_sgpr_queue_ptr 0
		.amdhsa_user_sgpr_kernarg_segment_ptr 1
		.amdhsa_user_sgpr_dispatch_id 0
		.amdhsa_user_sgpr_private_segment_size 0
		.amdhsa_wavefront_size32 1
		.amdhsa_uses_dynamic_stack 0
		.amdhsa_enable_private_segment 0
		.amdhsa_system_sgpr_workgroup_id_x 1
		.amdhsa_system_sgpr_workgroup_id_y 0
		.amdhsa_system_sgpr_workgroup_id_z 0
		.amdhsa_system_sgpr_workgroup_info 0
		.amdhsa_system_vgpr_workitem_id 0
		.amdhsa_next_free_vgpr 1
		.amdhsa_next_free_sgpr 1
		.amdhsa_reserve_vcc 0
		.amdhsa_float_round_mode_32 0
		.amdhsa_float_round_mode_16_64 0
		.amdhsa_float_denorm_mode_32 3
		.amdhsa_float_denorm_mode_16_64 3
		.amdhsa_dx10_clamp 1
		.amdhsa_ieee_mode 1
		.amdhsa_fp16_overflow 0
		.amdhsa_workgroup_processor_mode 1
		.amdhsa_memory_ordered 1
		.amdhsa_forward_progress 0
		.amdhsa_shared_vgpr_count 0
		.amdhsa_exception_fp_ieee_invalid_op 0
		.amdhsa_exception_fp_denorm_src 0
		.amdhsa_exception_fp_ieee_div_zero 0
		.amdhsa_exception_fp_ieee_overflow 0
		.amdhsa_exception_fp_ieee_underflow 0
		.amdhsa_exception_fp_ieee_inexact 0
		.amdhsa_exception_int_div_zero 0
	.end_amdhsa_kernel
	.section	.text._ZN7rocprim17ROCPRIM_400000_NS6detail17trampoline_kernelINS0_14default_configENS1_25transform_config_selectorIyLb0EEEZNS1_14transform_implILb0ES3_S5_NS0_18transform_iteratorINS0_17counting_iteratorImlEEZNS1_24adjacent_difference_implIS3_Lb1ELb0EPKyPyN6thrust23THRUST_200600_302600_NS4plusIyEEEE10hipError_tPvRmT2_T3_mT4_P12ihipStream_tbEUlmE_yEESD_NS0_8identityIvEEEESI_SL_SM_mSN_SP_bEUlT_E_NS1_11comp_targetILNS1_3genE2ELNS1_11target_archE906ELNS1_3gpuE6ELNS1_3repE0EEENS1_30default_config_static_selectorELNS0_4arch9wavefront6targetE0EEEvT1_,"axG",@progbits,_ZN7rocprim17ROCPRIM_400000_NS6detail17trampoline_kernelINS0_14default_configENS1_25transform_config_selectorIyLb0EEEZNS1_14transform_implILb0ES3_S5_NS0_18transform_iteratorINS0_17counting_iteratorImlEEZNS1_24adjacent_difference_implIS3_Lb1ELb0EPKyPyN6thrust23THRUST_200600_302600_NS4plusIyEEEE10hipError_tPvRmT2_T3_mT4_P12ihipStream_tbEUlmE_yEESD_NS0_8identityIvEEEESI_SL_SM_mSN_SP_bEUlT_E_NS1_11comp_targetILNS1_3genE2ELNS1_11target_archE906ELNS1_3gpuE6ELNS1_3repE0EEENS1_30default_config_static_selectorELNS0_4arch9wavefront6targetE0EEEvT1_,comdat
.Lfunc_end635:
	.size	_ZN7rocprim17ROCPRIM_400000_NS6detail17trampoline_kernelINS0_14default_configENS1_25transform_config_selectorIyLb0EEEZNS1_14transform_implILb0ES3_S5_NS0_18transform_iteratorINS0_17counting_iteratorImlEEZNS1_24adjacent_difference_implIS3_Lb1ELb0EPKyPyN6thrust23THRUST_200600_302600_NS4plusIyEEEE10hipError_tPvRmT2_T3_mT4_P12ihipStream_tbEUlmE_yEESD_NS0_8identityIvEEEESI_SL_SM_mSN_SP_bEUlT_E_NS1_11comp_targetILNS1_3genE2ELNS1_11target_archE906ELNS1_3gpuE6ELNS1_3repE0EEENS1_30default_config_static_selectorELNS0_4arch9wavefront6targetE0EEEvT1_, .Lfunc_end635-_ZN7rocprim17ROCPRIM_400000_NS6detail17trampoline_kernelINS0_14default_configENS1_25transform_config_selectorIyLb0EEEZNS1_14transform_implILb0ES3_S5_NS0_18transform_iteratorINS0_17counting_iteratorImlEEZNS1_24adjacent_difference_implIS3_Lb1ELb0EPKyPyN6thrust23THRUST_200600_302600_NS4plusIyEEEE10hipError_tPvRmT2_T3_mT4_P12ihipStream_tbEUlmE_yEESD_NS0_8identityIvEEEESI_SL_SM_mSN_SP_bEUlT_E_NS1_11comp_targetILNS1_3genE2ELNS1_11target_archE906ELNS1_3gpuE6ELNS1_3repE0EEENS1_30default_config_static_selectorELNS0_4arch9wavefront6targetE0EEEvT1_
                                        ; -- End function
	.section	.AMDGPU.csdata,"",@progbits
; Kernel info:
; codeLenInByte = 0
; NumSgprs: 0
; NumVgprs: 0
; ScratchSize: 0
; MemoryBound: 0
; FloatMode: 240
; IeeeMode: 1
; LDSByteSize: 0 bytes/workgroup (compile time only)
; SGPRBlocks: 0
; VGPRBlocks: 0
; NumSGPRsForWavesPerEU: 1
; NumVGPRsForWavesPerEU: 1
; Occupancy: 16
; WaveLimiterHint : 0
; COMPUTE_PGM_RSRC2:SCRATCH_EN: 0
; COMPUTE_PGM_RSRC2:USER_SGPR: 15
; COMPUTE_PGM_RSRC2:TRAP_HANDLER: 0
; COMPUTE_PGM_RSRC2:TGID_X_EN: 1
; COMPUTE_PGM_RSRC2:TGID_Y_EN: 0
; COMPUTE_PGM_RSRC2:TGID_Z_EN: 0
; COMPUTE_PGM_RSRC2:TIDIG_COMP_CNT: 0
	.section	.text._ZN7rocprim17ROCPRIM_400000_NS6detail17trampoline_kernelINS0_14default_configENS1_25transform_config_selectorIyLb0EEEZNS1_14transform_implILb0ES3_S5_NS0_18transform_iteratorINS0_17counting_iteratorImlEEZNS1_24adjacent_difference_implIS3_Lb1ELb0EPKyPyN6thrust23THRUST_200600_302600_NS4plusIyEEEE10hipError_tPvRmT2_T3_mT4_P12ihipStream_tbEUlmE_yEESD_NS0_8identityIvEEEESI_SL_SM_mSN_SP_bEUlT_E_NS1_11comp_targetILNS1_3genE10ELNS1_11target_archE1201ELNS1_3gpuE5ELNS1_3repE0EEENS1_30default_config_static_selectorELNS0_4arch9wavefront6targetE0EEEvT1_,"axG",@progbits,_ZN7rocprim17ROCPRIM_400000_NS6detail17trampoline_kernelINS0_14default_configENS1_25transform_config_selectorIyLb0EEEZNS1_14transform_implILb0ES3_S5_NS0_18transform_iteratorINS0_17counting_iteratorImlEEZNS1_24adjacent_difference_implIS3_Lb1ELb0EPKyPyN6thrust23THRUST_200600_302600_NS4plusIyEEEE10hipError_tPvRmT2_T3_mT4_P12ihipStream_tbEUlmE_yEESD_NS0_8identityIvEEEESI_SL_SM_mSN_SP_bEUlT_E_NS1_11comp_targetILNS1_3genE10ELNS1_11target_archE1201ELNS1_3gpuE5ELNS1_3repE0EEENS1_30default_config_static_selectorELNS0_4arch9wavefront6targetE0EEEvT1_,comdat
	.protected	_ZN7rocprim17ROCPRIM_400000_NS6detail17trampoline_kernelINS0_14default_configENS1_25transform_config_selectorIyLb0EEEZNS1_14transform_implILb0ES3_S5_NS0_18transform_iteratorINS0_17counting_iteratorImlEEZNS1_24adjacent_difference_implIS3_Lb1ELb0EPKyPyN6thrust23THRUST_200600_302600_NS4plusIyEEEE10hipError_tPvRmT2_T3_mT4_P12ihipStream_tbEUlmE_yEESD_NS0_8identityIvEEEESI_SL_SM_mSN_SP_bEUlT_E_NS1_11comp_targetILNS1_3genE10ELNS1_11target_archE1201ELNS1_3gpuE5ELNS1_3repE0EEENS1_30default_config_static_selectorELNS0_4arch9wavefront6targetE0EEEvT1_ ; -- Begin function _ZN7rocprim17ROCPRIM_400000_NS6detail17trampoline_kernelINS0_14default_configENS1_25transform_config_selectorIyLb0EEEZNS1_14transform_implILb0ES3_S5_NS0_18transform_iteratorINS0_17counting_iteratorImlEEZNS1_24adjacent_difference_implIS3_Lb1ELb0EPKyPyN6thrust23THRUST_200600_302600_NS4plusIyEEEE10hipError_tPvRmT2_T3_mT4_P12ihipStream_tbEUlmE_yEESD_NS0_8identityIvEEEESI_SL_SM_mSN_SP_bEUlT_E_NS1_11comp_targetILNS1_3genE10ELNS1_11target_archE1201ELNS1_3gpuE5ELNS1_3repE0EEENS1_30default_config_static_selectorELNS0_4arch9wavefront6targetE0EEEvT1_
	.globl	_ZN7rocprim17ROCPRIM_400000_NS6detail17trampoline_kernelINS0_14default_configENS1_25transform_config_selectorIyLb0EEEZNS1_14transform_implILb0ES3_S5_NS0_18transform_iteratorINS0_17counting_iteratorImlEEZNS1_24adjacent_difference_implIS3_Lb1ELb0EPKyPyN6thrust23THRUST_200600_302600_NS4plusIyEEEE10hipError_tPvRmT2_T3_mT4_P12ihipStream_tbEUlmE_yEESD_NS0_8identityIvEEEESI_SL_SM_mSN_SP_bEUlT_E_NS1_11comp_targetILNS1_3genE10ELNS1_11target_archE1201ELNS1_3gpuE5ELNS1_3repE0EEENS1_30default_config_static_selectorELNS0_4arch9wavefront6targetE0EEEvT1_
	.p2align	8
	.type	_ZN7rocprim17ROCPRIM_400000_NS6detail17trampoline_kernelINS0_14default_configENS1_25transform_config_selectorIyLb0EEEZNS1_14transform_implILb0ES3_S5_NS0_18transform_iteratorINS0_17counting_iteratorImlEEZNS1_24adjacent_difference_implIS3_Lb1ELb0EPKyPyN6thrust23THRUST_200600_302600_NS4plusIyEEEE10hipError_tPvRmT2_T3_mT4_P12ihipStream_tbEUlmE_yEESD_NS0_8identityIvEEEESI_SL_SM_mSN_SP_bEUlT_E_NS1_11comp_targetILNS1_3genE10ELNS1_11target_archE1201ELNS1_3gpuE5ELNS1_3repE0EEENS1_30default_config_static_selectorELNS0_4arch9wavefront6targetE0EEEvT1_,@function
_ZN7rocprim17ROCPRIM_400000_NS6detail17trampoline_kernelINS0_14default_configENS1_25transform_config_selectorIyLb0EEEZNS1_14transform_implILb0ES3_S5_NS0_18transform_iteratorINS0_17counting_iteratorImlEEZNS1_24adjacent_difference_implIS3_Lb1ELb0EPKyPyN6thrust23THRUST_200600_302600_NS4plusIyEEEE10hipError_tPvRmT2_T3_mT4_P12ihipStream_tbEUlmE_yEESD_NS0_8identityIvEEEESI_SL_SM_mSN_SP_bEUlT_E_NS1_11comp_targetILNS1_3genE10ELNS1_11target_archE1201ELNS1_3gpuE5ELNS1_3repE0EEENS1_30default_config_static_selectorELNS0_4arch9wavefront6targetE0EEEvT1_: ; @_ZN7rocprim17ROCPRIM_400000_NS6detail17trampoline_kernelINS0_14default_configENS1_25transform_config_selectorIyLb0EEEZNS1_14transform_implILb0ES3_S5_NS0_18transform_iteratorINS0_17counting_iteratorImlEEZNS1_24adjacent_difference_implIS3_Lb1ELb0EPKyPyN6thrust23THRUST_200600_302600_NS4plusIyEEEE10hipError_tPvRmT2_T3_mT4_P12ihipStream_tbEUlmE_yEESD_NS0_8identityIvEEEESI_SL_SM_mSN_SP_bEUlT_E_NS1_11comp_targetILNS1_3genE10ELNS1_11target_archE1201ELNS1_3gpuE5ELNS1_3repE0EEENS1_30default_config_static_selectorELNS0_4arch9wavefront6targetE0EEEvT1_
; %bb.0:
	.section	.rodata,"a",@progbits
	.p2align	6, 0x0
	.amdhsa_kernel _ZN7rocprim17ROCPRIM_400000_NS6detail17trampoline_kernelINS0_14default_configENS1_25transform_config_selectorIyLb0EEEZNS1_14transform_implILb0ES3_S5_NS0_18transform_iteratorINS0_17counting_iteratorImlEEZNS1_24adjacent_difference_implIS3_Lb1ELb0EPKyPyN6thrust23THRUST_200600_302600_NS4plusIyEEEE10hipError_tPvRmT2_T3_mT4_P12ihipStream_tbEUlmE_yEESD_NS0_8identityIvEEEESI_SL_SM_mSN_SP_bEUlT_E_NS1_11comp_targetILNS1_3genE10ELNS1_11target_archE1201ELNS1_3gpuE5ELNS1_3repE0EEENS1_30default_config_static_selectorELNS0_4arch9wavefront6targetE0EEEvT1_
		.amdhsa_group_segment_fixed_size 0
		.amdhsa_private_segment_fixed_size 0
		.amdhsa_kernarg_size 56
		.amdhsa_user_sgpr_count 15
		.amdhsa_user_sgpr_dispatch_ptr 0
		.amdhsa_user_sgpr_queue_ptr 0
		.amdhsa_user_sgpr_kernarg_segment_ptr 1
		.amdhsa_user_sgpr_dispatch_id 0
		.amdhsa_user_sgpr_private_segment_size 0
		.amdhsa_wavefront_size32 1
		.amdhsa_uses_dynamic_stack 0
		.amdhsa_enable_private_segment 0
		.amdhsa_system_sgpr_workgroup_id_x 1
		.amdhsa_system_sgpr_workgroup_id_y 0
		.amdhsa_system_sgpr_workgroup_id_z 0
		.amdhsa_system_sgpr_workgroup_info 0
		.amdhsa_system_vgpr_workitem_id 0
		.amdhsa_next_free_vgpr 1
		.amdhsa_next_free_sgpr 1
		.amdhsa_reserve_vcc 0
		.amdhsa_float_round_mode_32 0
		.amdhsa_float_round_mode_16_64 0
		.amdhsa_float_denorm_mode_32 3
		.amdhsa_float_denorm_mode_16_64 3
		.amdhsa_dx10_clamp 1
		.amdhsa_ieee_mode 1
		.amdhsa_fp16_overflow 0
		.amdhsa_workgroup_processor_mode 1
		.amdhsa_memory_ordered 1
		.amdhsa_forward_progress 0
		.amdhsa_shared_vgpr_count 0
		.amdhsa_exception_fp_ieee_invalid_op 0
		.amdhsa_exception_fp_denorm_src 0
		.amdhsa_exception_fp_ieee_div_zero 0
		.amdhsa_exception_fp_ieee_overflow 0
		.amdhsa_exception_fp_ieee_underflow 0
		.amdhsa_exception_fp_ieee_inexact 0
		.amdhsa_exception_int_div_zero 0
	.end_amdhsa_kernel
	.section	.text._ZN7rocprim17ROCPRIM_400000_NS6detail17trampoline_kernelINS0_14default_configENS1_25transform_config_selectorIyLb0EEEZNS1_14transform_implILb0ES3_S5_NS0_18transform_iteratorINS0_17counting_iteratorImlEEZNS1_24adjacent_difference_implIS3_Lb1ELb0EPKyPyN6thrust23THRUST_200600_302600_NS4plusIyEEEE10hipError_tPvRmT2_T3_mT4_P12ihipStream_tbEUlmE_yEESD_NS0_8identityIvEEEESI_SL_SM_mSN_SP_bEUlT_E_NS1_11comp_targetILNS1_3genE10ELNS1_11target_archE1201ELNS1_3gpuE5ELNS1_3repE0EEENS1_30default_config_static_selectorELNS0_4arch9wavefront6targetE0EEEvT1_,"axG",@progbits,_ZN7rocprim17ROCPRIM_400000_NS6detail17trampoline_kernelINS0_14default_configENS1_25transform_config_selectorIyLb0EEEZNS1_14transform_implILb0ES3_S5_NS0_18transform_iteratorINS0_17counting_iteratorImlEEZNS1_24adjacent_difference_implIS3_Lb1ELb0EPKyPyN6thrust23THRUST_200600_302600_NS4plusIyEEEE10hipError_tPvRmT2_T3_mT4_P12ihipStream_tbEUlmE_yEESD_NS0_8identityIvEEEESI_SL_SM_mSN_SP_bEUlT_E_NS1_11comp_targetILNS1_3genE10ELNS1_11target_archE1201ELNS1_3gpuE5ELNS1_3repE0EEENS1_30default_config_static_selectorELNS0_4arch9wavefront6targetE0EEEvT1_,comdat
.Lfunc_end636:
	.size	_ZN7rocprim17ROCPRIM_400000_NS6detail17trampoline_kernelINS0_14default_configENS1_25transform_config_selectorIyLb0EEEZNS1_14transform_implILb0ES3_S5_NS0_18transform_iteratorINS0_17counting_iteratorImlEEZNS1_24adjacent_difference_implIS3_Lb1ELb0EPKyPyN6thrust23THRUST_200600_302600_NS4plusIyEEEE10hipError_tPvRmT2_T3_mT4_P12ihipStream_tbEUlmE_yEESD_NS0_8identityIvEEEESI_SL_SM_mSN_SP_bEUlT_E_NS1_11comp_targetILNS1_3genE10ELNS1_11target_archE1201ELNS1_3gpuE5ELNS1_3repE0EEENS1_30default_config_static_selectorELNS0_4arch9wavefront6targetE0EEEvT1_, .Lfunc_end636-_ZN7rocprim17ROCPRIM_400000_NS6detail17trampoline_kernelINS0_14default_configENS1_25transform_config_selectorIyLb0EEEZNS1_14transform_implILb0ES3_S5_NS0_18transform_iteratorINS0_17counting_iteratorImlEEZNS1_24adjacent_difference_implIS3_Lb1ELb0EPKyPyN6thrust23THRUST_200600_302600_NS4plusIyEEEE10hipError_tPvRmT2_T3_mT4_P12ihipStream_tbEUlmE_yEESD_NS0_8identityIvEEEESI_SL_SM_mSN_SP_bEUlT_E_NS1_11comp_targetILNS1_3genE10ELNS1_11target_archE1201ELNS1_3gpuE5ELNS1_3repE0EEENS1_30default_config_static_selectorELNS0_4arch9wavefront6targetE0EEEvT1_
                                        ; -- End function
	.section	.AMDGPU.csdata,"",@progbits
; Kernel info:
; codeLenInByte = 0
; NumSgprs: 0
; NumVgprs: 0
; ScratchSize: 0
; MemoryBound: 0
; FloatMode: 240
; IeeeMode: 1
; LDSByteSize: 0 bytes/workgroup (compile time only)
; SGPRBlocks: 0
; VGPRBlocks: 0
; NumSGPRsForWavesPerEU: 1
; NumVGPRsForWavesPerEU: 1
; Occupancy: 16
; WaveLimiterHint : 0
; COMPUTE_PGM_RSRC2:SCRATCH_EN: 0
; COMPUTE_PGM_RSRC2:USER_SGPR: 15
; COMPUTE_PGM_RSRC2:TRAP_HANDLER: 0
; COMPUTE_PGM_RSRC2:TGID_X_EN: 1
; COMPUTE_PGM_RSRC2:TGID_Y_EN: 0
; COMPUTE_PGM_RSRC2:TGID_Z_EN: 0
; COMPUTE_PGM_RSRC2:TIDIG_COMP_CNT: 0
	.section	.text._ZN7rocprim17ROCPRIM_400000_NS6detail17trampoline_kernelINS0_14default_configENS1_25transform_config_selectorIyLb0EEEZNS1_14transform_implILb0ES3_S5_NS0_18transform_iteratorINS0_17counting_iteratorImlEEZNS1_24adjacent_difference_implIS3_Lb1ELb0EPKyPyN6thrust23THRUST_200600_302600_NS4plusIyEEEE10hipError_tPvRmT2_T3_mT4_P12ihipStream_tbEUlmE_yEESD_NS0_8identityIvEEEESI_SL_SM_mSN_SP_bEUlT_E_NS1_11comp_targetILNS1_3genE10ELNS1_11target_archE1200ELNS1_3gpuE4ELNS1_3repE0EEENS1_30default_config_static_selectorELNS0_4arch9wavefront6targetE0EEEvT1_,"axG",@progbits,_ZN7rocprim17ROCPRIM_400000_NS6detail17trampoline_kernelINS0_14default_configENS1_25transform_config_selectorIyLb0EEEZNS1_14transform_implILb0ES3_S5_NS0_18transform_iteratorINS0_17counting_iteratorImlEEZNS1_24adjacent_difference_implIS3_Lb1ELb0EPKyPyN6thrust23THRUST_200600_302600_NS4plusIyEEEE10hipError_tPvRmT2_T3_mT4_P12ihipStream_tbEUlmE_yEESD_NS0_8identityIvEEEESI_SL_SM_mSN_SP_bEUlT_E_NS1_11comp_targetILNS1_3genE10ELNS1_11target_archE1200ELNS1_3gpuE4ELNS1_3repE0EEENS1_30default_config_static_selectorELNS0_4arch9wavefront6targetE0EEEvT1_,comdat
	.protected	_ZN7rocprim17ROCPRIM_400000_NS6detail17trampoline_kernelINS0_14default_configENS1_25transform_config_selectorIyLb0EEEZNS1_14transform_implILb0ES3_S5_NS0_18transform_iteratorINS0_17counting_iteratorImlEEZNS1_24adjacent_difference_implIS3_Lb1ELb0EPKyPyN6thrust23THRUST_200600_302600_NS4plusIyEEEE10hipError_tPvRmT2_T3_mT4_P12ihipStream_tbEUlmE_yEESD_NS0_8identityIvEEEESI_SL_SM_mSN_SP_bEUlT_E_NS1_11comp_targetILNS1_3genE10ELNS1_11target_archE1200ELNS1_3gpuE4ELNS1_3repE0EEENS1_30default_config_static_selectorELNS0_4arch9wavefront6targetE0EEEvT1_ ; -- Begin function _ZN7rocprim17ROCPRIM_400000_NS6detail17trampoline_kernelINS0_14default_configENS1_25transform_config_selectorIyLb0EEEZNS1_14transform_implILb0ES3_S5_NS0_18transform_iteratorINS0_17counting_iteratorImlEEZNS1_24adjacent_difference_implIS3_Lb1ELb0EPKyPyN6thrust23THRUST_200600_302600_NS4plusIyEEEE10hipError_tPvRmT2_T3_mT4_P12ihipStream_tbEUlmE_yEESD_NS0_8identityIvEEEESI_SL_SM_mSN_SP_bEUlT_E_NS1_11comp_targetILNS1_3genE10ELNS1_11target_archE1200ELNS1_3gpuE4ELNS1_3repE0EEENS1_30default_config_static_selectorELNS0_4arch9wavefront6targetE0EEEvT1_
	.globl	_ZN7rocprim17ROCPRIM_400000_NS6detail17trampoline_kernelINS0_14default_configENS1_25transform_config_selectorIyLb0EEEZNS1_14transform_implILb0ES3_S5_NS0_18transform_iteratorINS0_17counting_iteratorImlEEZNS1_24adjacent_difference_implIS3_Lb1ELb0EPKyPyN6thrust23THRUST_200600_302600_NS4plusIyEEEE10hipError_tPvRmT2_T3_mT4_P12ihipStream_tbEUlmE_yEESD_NS0_8identityIvEEEESI_SL_SM_mSN_SP_bEUlT_E_NS1_11comp_targetILNS1_3genE10ELNS1_11target_archE1200ELNS1_3gpuE4ELNS1_3repE0EEENS1_30default_config_static_selectorELNS0_4arch9wavefront6targetE0EEEvT1_
	.p2align	8
	.type	_ZN7rocprim17ROCPRIM_400000_NS6detail17trampoline_kernelINS0_14default_configENS1_25transform_config_selectorIyLb0EEEZNS1_14transform_implILb0ES3_S5_NS0_18transform_iteratorINS0_17counting_iteratorImlEEZNS1_24adjacent_difference_implIS3_Lb1ELb0EPKyPyN6thrust23THRUST_200600_302600_NS4plusIyEEEE10hipError_tPvRmT2_T3_mT4_P12ihipStream_tbEUlmE_yEESD_NS0_8identityIvEEEESI_SL_SM_mSN_SP_bEUlT_E_NS1_11comp_targetILNS1_3genE10ELNS1_11target_archE1200ELNS1_3gpuE4ELNS1_3repE0EEENS1_30default_config_static_selectorELNS0_4arch9wavefront6targetE0EEEvT1_,@function
_ZN7rocprim17ROCPRIM_400000_NS6detail17trampoline_kernelINS0_14default_configENS1_25transform_config_selectorIyLb0EEEZNS1_14transform_implILb0ES3_S5_NS0_18transform_iteratorINS0_17counting_iteratorImlEEZNS1_24adjacent_difference_implIS3_Lb1ELb0EPKyPyN6thrust23THRUST_200600_302600_NS4plusIyEEEE10hipError_tPvRmT2_T3_mT4_P12ihipStream_tbEUlmE_yEESD_NS0_8identityIvEEEESI_SL_SM_mSN_SP_bEUlT_E_NS1_11comp_targetILNS1_3genE10ELNS1_11target_archE1200ELNS1_3gpuE4ELNS1_3repE0EEENS1_30default_config_static_selectorELNS0_4arch9wavefront6targetE0EEEvT1_: ; @_ZN7rocprim17ROCPRIM_400000_NS6detail17trampoline_kernelINS0_14default_configENS1_25transform_config_selectorIyLb0EEEZNS1_14transform_implILb0ES3_S5_NS0_18transform_iteratorINS0_17counting_iteratorImlEEZNS1_24adjacent_difference_implIS3_Lb1ELb0EPKyPyN6thrust23THRUST_200600_302600_NS4plusIyEEEE10hipError_tPvRmT2_T3_mT4_P12ihipStream_tbEUlmE_yEESD_NS0_8identityIvEEEESI_SL_SM_mSN_SP_bEUlT_E_NS1_11comp_targetILNS1_3genE10ELNS1_11target_archE1200ELNS1_3gpuE4ELNS1_3repE0EEENS1_30default_config_static_selectorELNS0_4arch9wavefront6targetE0EEEvT1_
; %bb.0:
	.section	.rodata,"a",@progbits
	.p2align	6, 0x0
	.amdhsa_kernel _ZN7rocprim17ROCPRIM_400000_NS6detail17trampoline_kernelINS0_14default_configENS1_25transform_config_selectorIyLb0EEEZNS1_14transform_implILb0ES3_S5_NS0_18transform_iteratorINS0_17counting_iteratorImlEEZNS1_24adjacent_difference_implIS3_Lb1ELb0EPKyPyN6thrust23THRUST_200600_302600_NS4plusIyEEEE10hipError_tPvRmT2_T3_mT4_P12ihipStream_tbEUlmE_yEESD_NS0_8identityIvEEEESI_SL_SM_mSN_SP_bEUlT_E_NS1_11comp_targetILNS1_3genE10ELNS1_11target_archE1200ELNS1_3gpuE4ELNS1_3repE0EEENS1_30default_config_static_selectorELNS0_4arch9wavefront6targetE0EEEvT1_
		.amdhsa_group_segment_fixed_size 0
		.amdhsa_private_segment_fixed_size 0
		.amdhsa_kernarg_size 56
		.amdhsa_user_sgpr_count 15
		.amdhsa_user_sgpr_dispatch_ptr 0
		.amdhsa_user_sgpr_queue_ptr 0
		.amdhsa_user_sgpr_kernarg_segment_ptr 1
		.amdhsa_user_sgpr_dispatch_id 0
		.amdhsa_user_sgpr_private_segment_size 0
		.amdhsa_wavefront_size32 1
		.amdhsa_uses_dynamic_stack 0
		.amdhsa_enable_private_segment 0
		.amdhsa_system_sgpr_workgroup_id_x 1
		.amdhsa_system_sgpr_workgroup_id_y 0
		.amdhsa_system_sgpr_workgroup_id_z 0
		.amdhsa_system_sgpr_workgroup_info 0
		.amdhsa_system_vgpr_workitem_id 0
		.amdhsa_next_free_vgpr 1
		.amdhsa_next_free_sgpr 1
		.amdhsa_reserve_vcc 0
		.amdhsa_float_round_mode_32 0
		.amdhsa_float_round_mode_16_64 0
		.amdhsa_float_denorm_mode_32 3
		.amdhsa_float_denorm_mode_16_64 3
		.amdhsa_dx10_clamp 1
		.amdhsa_ieee_mode 1
		.amdhsa_fp16_overflow 0
		.amdhsa_workgroup_processor_mode 1
		.amdhsa_memory_ordered 1
		.amdhsa_forward_progress 0
		.amdhsa_shared_vgpr_count 0
		.amdhsa_exception_fp_ieee_invalid_op 0
		.amdhsa_exception_fp_denorm_src 0
		.amdhsa_exception_fp_ieee_div_zero 0
		.amdhsa_exception_fp_ieee_overflow 0
		.amdhsa_exception_fp_ieee_underflow 0
		.amdhsa_exception_fp_ieee_inexact 0
		.amdhsa_exception_int_div_zero 0
	.end_amdhsa_kernel
	.section	.text._ZN7rocprim17ROCPRIM_400000_NS6detail17trampoline_kernelINS0_14default_configENS1_25transform_config_selectorIyLb0EEEZNS1_14transform_implILb0ES3_S5_NS0_18transform_iteratorINS0_17counting_iteratorImlEEZNS1_24adjacent_difference_implIS3_Lb1ELb0EPKyPyN6thrust23THRUST_200600_302600_NS4plusIyEEEE10hipError_tPvRmT2_T3_mT4_P12ihipStream_tbEUlmE_yEESD_NS0_8identityIvEEEESI_SL_SM_mSN_SP_bEUlT_E_NS1_11comp_targetILNS1_3genE10ELNS1_11target_archE1200ELNS1_3gpuE4ELNS1_3repE0EEENS1_30default_config_static_selectorELNS0_4arch9wavefront6targetE0EEEvT1_,"axG",@progbits,_ZN7rocprim17ROCPRIM_400000_NS6detail17trampoline_kernelINS0_14default_configENS1_25transform_config_selectorIyLb0EEEZNS1_14transform_implILb0ES3_S5_NS0_18transform_iteratorINS0_17counting_iteratorImlEEZNS1_24adjacent_difference_implIS3_Lb1ELb0EPKyPyN6thrust23THRUST_200600_302600_NS4plusIyEEEE10hipError_tPvRmT2_T3_mT4_P12ihipStream_tbEUlmE_yEESD_NS0_8identityIvEEEESI_SL_SM_mSN_SP_bEUlT_E_NS1_11comp_targetILNS1_3genE10ELNS1_11target_archE1200ELNS1_3gpuE4ELNS1_3repE0EEENS1_30default_config_static_selectorELNS0_4arch9wavefront6targetE0EEEvT1_,comdat
.Lfunc_end637:
	.size	_ZN7rocprim17ROCPRIM_400000_NS6detail17trampoline_kernelINS0_14default_configENS1_25transform_config_selectorIyLb0EEEZNS1_14transform_implILb0ES3_S5_NS0_18transform_iteratorINS0_17counting_iteratorImlEEZNS1_24adjacent_difference_implIS3_Lb1ELb0EPKyPyN6thrust23THRUST_200600_302600_NS4plusIyEEEE10hipError_tPvRmT2_T3_mT4_P12ihipStream_tbEUlmE_yEESD_NS0_8identityIvEEEESI_SL_SM_mSN_SP_bEUlT_E_NS1_11comp_targetILNS1_3genE10ELNS1_11target_archE1200ELNS1_3gpuE4ELNS1_3repE0EEENS1_30default_config_static_selectorELNS0_4arch9wavefront6targetE0EEEvT1_, .Lfunc_end637-_ZN7rocprim17ROCPRIM_400000_NS6detail17trampoline_kernelINS0_14default_configENS1_25transform_config_selectorIyLb0EEEZNS1_14transform_implILb0ES3_S5_NS0_18transform_iteratorINS0_17counting_iteratorImlEEZNS1_24adjacent_difference_implIS3_Lb1ELb0EPKyPyN6thrust23THRUST_200600_302600_NS4plusIyEEEE10hipError_tPvRmT2_T3_mT4_P12ihipStream_tbEUlmE_yEESD_NS0_8identityIvEEEESI_SL_SM_mSN_SP_bEUlT_E_NS1_11comp_targetILNS1_3genE10ELNS1_11target_archE1200ELNS1_3gpuE4ELNS1_3repE0EEENS1_30default_config_static_selectorELNS0_4arch9wavefront6targetE0EEEvT1_
                                        ; -- End function
	.section	.AMDGPU.csdata,"",@progbits
; Kernel info:
; codeLenInByte = 0
; NumSgprs: 0
; NumVgprs: 0
; ScratchSize: 0
; MemoryBound: 0
; FloatMode: 240
; IeeeMode: 1
; LDSByteSize: 0 bytes/workgroup (compile time only)
; SGPRBlocks: 0
; VGPRBlocks: 0
; NumSGPRsForWavesPerEU: 1
; NumVGPRsForWavesPerEU: 1
; Occupancy: 16
; WaveLimiterHint : 0
; COMPUTE_PGM_RSRC2:SCRATCH_EN: 0
; COMPUTE_PGM_RSRC2:USER_SGPR: 15
; COMPUTE_PGM_RSRC2:TRAP_HANDLER: 0
; COMPUTE_PGM_RSRC2:TGID_X_EN: 1
; COMPUTE_PGM_RSRC2:TGID_Y_EN: 0
; COMPUTE_PGM_RSRC2:TGID_Z_EN: 0
; COMPUTE_PGM_RSRC2:TIDIG_COMP_CNT: 0
	.section	.text._ZN7rocprim17ROCPRIM_400000_NS6detail17trampoline_kernelINS0_14default_configENS1_25transform_config_selectorIyLb0EEEZNS1_14transform_implILb0ES3_S5_NS0_18transform_iteratorINS0_17counting_iteratorImlEEZNS1_24adjacent_difference_implIS3_Lb1ELb0EPKyPyN6thrust23THRUST_200600_302600_NS4plusIyEEEE10hipError_tPvRmT2_T3_mT4_P12ihipStream_tbEUlmE_yEESD_NS0_8identityIvEEEESI_SL_SM_mSN_SP_bEUlT_E_NS1_11comp_targetILNS1_3genE9ELNS1_11target_archE1100ELNS1_3gpuE3ELNS1_3repE0EEENS1_30default_config_static_selectorELNS0_4arch9wavefront6targetE0EEEvT1_,"axG",@progbits,_ZN7rocprim17ROCPRIM_400000_NS6detail17trampoline_kernelINS0_14default_configENS1_25transform_config_selectorIyLb0EEEZNS1_14transform_implILb0ES3_S5_NS0_18transform_iteratorINS0_17counting_iteratorImlEEZNS1_24adjacent_difference_implIS3_Lb1ELb0EPKyPyN6thrust23THRUST_200600_302600_NS4plusIyEEEE10hipError_tPvRmT2_T3_mT4_P12ihipStream_tbEUlmE_yEESD_NS0_8identityIvEEEESI_SL_SM_mSN_SP_bEUlT_E_NS1_11comp_targetILNS1_3genE9ELNS1_11target_archE1100ELNS1_3gpuE3ELNS1_3repE0EEENS1_30default_config_static_selectorELNS0_4arch9wavefront6targetE0EEEvT1_,comdat
	.protected	_ZN7rocprim17ROCPRIM_400000_NS6detail17trampoline_kernelINS0_14default_configENS1_25transform_config_selectorIyLb0EEEZNS1_14transform_implILb0ES3_S5_NS0_18transform_iteratorINS0_17counting_iteratorImlEEZNS1_24adjacent_difference_implIS3_Lb1ELb0EPKyPyN6thrust23THRUST_200600_302600_NS4plusIyEEEE10hipError_tPvRmT2_T3_mT4_P12ihipStream_tbEUlmE_yEESD_NS0_8identityIvEEEESI_SL_SM_mSN_SP_bEUlT_E_NS1_11comp_targetILNS1_3genE9ELNS1_11target_archE1100ELNS1_3gpuE3ELNS1_3repE0EEENS1_30default_config_static_selectorELNS0_4arch9wavefront6targetE0EEEvT1_ ; -- Begin function _ZN7rocprim17ROCPRIM_400000_NS6detail17trampoline_kernelINS0_14default_configENS1_25transform_config_selectorIyLb0EEEZNS1_14transform_implILb0ES3_S5_NS0_18transform_iteratorINS0_17counting_iteratorImlEEZNS1_24adjacent_difference_implIS3_Lb1ELb0EPKyPyN6thrust23THRUST_200600_302600_NS4plusIyEEEE10hipError_tPvRmT2_T3_mT4_P12ihipStream_tbEUlmE_yEESD_NS0_8identityIvEEEESI_SL_SM_mSN_SP_bEUlT_E_NS1_11comp_targetILNS1_3genE9ELNS1_11target_archE1100ELNS1_3gpuE3ELNS1_3repE0EEENS1_30default_config_static_selectorELNS0_4arch9wavefront6targetE0EEEvT1_
	.globl	_ZN7rocprim17ROCPRIM_400000_NS6detail17trampoline_kernelINS0_14default_configENS1_25transform_config_selectorIyLb0EEEZNS1_14transform_implILb0ES3_S5_NS0_18transform_iteratorINS0_17counting_iteratorImlEEZNS1_24adjacent_difference_implIS3_Lb1ELb0EPKyPyN6thrust23THRUST_200600_302600_NS4plusIyEEEE10hipError_tPvRmT2_T3_mT4_P12ihipStream_tbEUlmE_yEESD_NS0_8identityIvEEEESI_SL_SM_mSN_SP_bEUlT_E_NS1_11comp_targetILNS1_3genE9ELNS1_11target_archE1100ELNS1_3gpuE3ELNS1_3repE0EEENS1_30default_config_static_selectorELNS0_4arch9wavefront6targetE0EEEvT1_
	.p2align	8
	.type	_ZN7rocprim17ROCPRIM_400000_NS6detail17trampoline_kernelINS0_14default_configENS1_25transform_config_selectorIyLb0EEEZNS1_14transform_implILb0ES3_S5_NS0_18transform_iteratorINS0_17counting_iteratorImlEEZNS1_24adjacent_difference_implIS3_Lb1ELb0EPKyPyN6thrust23THRUST_200600_302600_NS4plusIyEEEE10hipError_tPvRmT2_T3_mT4_P12ihipStream_tbEUlmE_yEESD_NS0_8identityIvEEEESI_SL_SM_mSN_SP_bEUlT_E_NS1_11comp_targetILNS1_3genE9ELNS1_11target_archE1100ELNS1_3gpuE3ELNS1_3repE0EEENS1_30default_config_static_selectorELNS0_4arch9wavefront6targetE0EEEvT1_,@function
_ZN7rocprim17ROCPRIM_400000_NS6detail17trampoline_kernelINS0_14default_configENS1_25transform_config_selectorIyLb0EEEZNS1_14transform_implILb0ES3_S5_NS0_18transform_iteratorINS0_17counting_iteratorImlEEZNS1_24adjacent_difference_implIS3_Lb1ELb0EPKyPyN6thrust23THRUST_200600_302600_NS4plusIyEEEE10hipError_tPvRmT2_T3_mT4_P12ihipStream_tbEUlmE_yEESD_NS0_8identityIvEEEESI_SL_SM_mSN_SP_bEUlT_E_NS1_11comp_targetILNS1_3genE9ELNS1_11target_archE1100ELNS1_3gpuE3ELNS1_3repE0EEENS1_30default_config_static_selectorELNS0_4arch9wavefront6targetE0EEEvT1_: ; @_ZN7rocprim17ROCPRIM_400000_NS6detail17trampoline_kernelINS0_14default_configENS1_25transform_config_selectorIyLb0EEEZNS1_14transform_implILb0ES3_S5_NS0_18transform_iteratorINS0_17counting_iteratorImlEEZNS1_24adjacent_difference_implIS3_Lb1ELb0EPKyPyN6thrust23THRUST_200600_302600_NS4plusIyEEEE10hipError_tPvRmT2_T3_mT4_P12ihipStream_tbEUlmE_yEESD_NS0_8identityIvEEEESI_SL_SM_mSN_SP_bEUlT_E_NS1_11comp_targetILNS1_3genE9ELNS1_11target_archE1100ELNS1_3gpuE3ELNS1_3repE0EEENS1_30default_config_static_selectorELNS0_4arch9wavefront6targetE0EEEvT1_
; %bb.0:
	s_clause 0x4
	s_load_b128 s[4:7], s[0:1], 0x0
	s_load_b64 s[2:3], s[0:1], 0x18
	s_load_b64 s[12:13], s[0:1], 0x28
	s_load_b32 s11, s[0:1], 0x38
	s_load_b32 s8, s[0:1], 0x10
	s_waitcnt lgkmcnt(0)
	s_add_u32 s9, s2, s4
	s_addc_u32 s10, s3, s5
	s_lshl_b64 s[2:3], s[2:3], 3
	s_delay_alu instid0(SALU_CYCLE_1)
	s_add_u32 s4, s12, s2
	s_addc_u32 s5, s13, s3
	s_add_i32 s11, s11, -1
	s_lshl_b32 s2, s15, 9
	s_mov_b32 s3, 0
	s_cmp_lg_u32 s15, s11
	s_mov_b32 s11, -1
	s_cbranch_scc0 .LBB638_2
; %bb.1:
	s_add_u32 s11, s9, s2
	s_addc_u32 s12, s10, 0
	v_add_co_u32 v3, s11, s11, v0
	s_delay_alu instid0(VALU_DEP_1) | instskip(SKIP_1) | instid1(VALU_DEP_2)
	v_add_co_ci_u32_e64 v5, null, s12, 0, s11
	s_lshl_b64 s[12:13], s[2:3], 3
	v_mad_u64_u32 v[1:2], null, v3, s8, 0
	s_add_u32 s12, s4, s12
	s_addc_u32 s13, s5, s13
	s_mov_b32 s11, s3
	s_delay_alu instid0(VALU_DEP_1) | instskip(NEXT) | instid1(VALU_DEP_1)
	v_mad_u64_u32 v[3:4], null, v5, s8, v[2:3]
	v_dual_mov_b32 v2, v3 :: v_dual_lshlrev_b32 v3, 3, v0
	s_delay_alu instid0(VALU_DEP_1) | instskip(NEXT) | instid1(VALU_DEP_1)
	v_lshlrev_b64 v[1:2], 3, v[1:2]
	v_add_co_u32 v1, vcc_lo, s6, v1
	s_delay_alu instid0(VALU_DEP_2)
	v_add_co_ci_u32_e32 v2, vcc_lo, s7, v2, vcc_lo
	global_load_b64 v[1:2], v[1:2], off
	s_waitcnt vmcnt(0)
	global_store_b64 v3, v[1:2], s[12:13]
.LBB638_2:
	s_and_not1_b32 vcc_lo, exec_lo, s11
	s_cbranch_vccnz .LBB638_7
; %bb.3:
	s_load_b32 s0, s[0:1], 0x20
                                        ; implicit-def: $vgpr1_vgpr2
	s_waitcnt lgkmcnt(0)
	s_sub_i32 s0, s0, s2
	s_delay_alu instid0(SALU_CYCLE_1)
	v_cmp_gt_u32_e32 vcc_lo, s0, v0
	s_and_saveexec_b32 s1, vcc_lo
	s_cbranch_execz .LBB638_5
; %bb.4:
	s_add_u32 s0, s9, s2
	s_addc_u32 s9, s10, 0
	v_add_co_u32 v3, s0, s0, v0
	s_delay_alu instid0(VALU_DEP_1) | instskip(NEXT) | instid1(VALU_DEP_2)
	v_add_co_ci_u32_e64 v5, null, s9, 0, s0
	v_mad_u64_u32 v[1:2], null, v3, s8, 0
	s_delay_alu instid0(VALU_DEP_1) | instskip(NEXT) | instid1(VALU_DEP_1)
	v_mad_u64_u32 v[3:4], null, v5, s8, v[2:3]
	v_mov_b32_e32 v2, v3
	s_delay_alu instid0(VALU_DEP_1) | instskip(NEXT) | instid1(VALU_DEP_1)
	v_lshlrev_b64 v[1:2], 3, v[1:2]
	v_add_co_u32 v1, s0, s6, v1
	s_delay_alu instid0(VALU_DEP_1)
	v_add_co_ci_u32_e64 v2, s0, s7, v2, s0
	global_load_b64 v[1:2], v[1:2], off
.LBB638_5:
	s_or_b32 exec_lo, exec_lo, s1
	s_and_saveexec_b32 s0, vcc_lo
	s_cbranch_execz .LBB638_7
; %bb.6:
	s_lshl_b64 s[0:1], s[2:3], 3
	v_lshlrev_b32_e32 v0, 3, v0
	s_add_u32 s0, s4, s0
	s_addc_u32 s1, s5, s1
	s_waitcnt vmcnt(0)
	global_store_b64 v0, v[1:2], s[0:1]
.LBB638_7:
	s_nop 0
	s_sendmsg sendmsg(MSG_DEALLOC_VGPRS)
	s_endpgm
	.section	.rodata,"a",@progbits
	.p2align	6, 0x0
	.amdhsa_kernel _ZN7rocprim17ROCPRIM_400000_NS6detail17trampoline_kernelINS0_14default_configENS1_25transform_config_selectorIyLb0EEEZNS1_14transform_implILb0ES3_S5_NS0_18transform_iteratorINS0_17counting_iteratorImlEEZNS1_24adjacent_difference_implIS3_Lb1ELb0EPKyPyN6thrust23THRUST_200600_302600_NS4plusIyEEEE10hipError_tPvRmT2_T3_mT4_P12ihipStream_tbEUlmE_yEESD_NS0_8identityIvEEEESI_SL_SM_mSN_SP_bEUlT_E_NS1_11comp_targetILNS1_3genE9ELNS1_11target_archE1100ELNS1_3gpuE3ELNS1_3repE0EEENS1_30default_config_static_selectorELNS0_4arch9wavefront6targetE0EEEvT1_
		.amdhsa_group_segment_fixed_size 0
		.amdhsa_private_segment_fixed_size 0
		.amdhsa_kernarg_size 312
		.amdhsa_user_sgpr_count 15
		.amdhsa_user_sgpr_dispatch_ptr 0
		.amdhsa_user_sgpr_queue_ptr 0
		.amdhsa_user_sgpr_kernarg_segment_ptr 1
		.amdhsa_user_sgpr_dispatch_id 0
		.amdhsa_user_sgpr_private_segment_size 0
		.amdhsa_wavefront_size32 1
		.amdhsa_uses_dynamic_stack 0
		.amdhsa_enable_private_segment 0
		.amdhsa_system_sgpr_workgroup_id_x 1
		.amdhsa_system_sgpr_workgroup_id_y 0
		.amdhsa_system_sgpr_workgroup_id_z 0
		.amdhsa_system_sgpr_workgroup_info 0
		.amdhsa_system_vgpr_workitem_id 0
		.amdhsa_next_free_vgpr 6
		.amdhsa_next_free_sgpr 16
		.amdhsa_reserve_vcc 1
		.amdhsa_float_round_mode_32 0
		.amdhsa_float_round_mode_16_64 0
		.amdhsa_float_denorm_mode_32 3
		.amdhsa_float_denorm_mode_16_64 3
		.amdhsa_dx10_clamp 1
		.amdhsa_ieee_mode 1
		.amdhsa_fp16_overflow 0
		.amdhsa_workgroup_processor_mode 1
		.amdhsa_memory_ordered 1
		.amdhsa_forward_progress 0
		.amdhsa_shared_vgpr_count 0
		.amdhsa_exception_fp_ieee_invalid_op 0
		.amdhsa_exception_fp_denorm_src 0
		.amdhsa_exception_fp_ieee_div_zero 0
		.amdhsa_exception_fp_ieee_overflow 0
		.amdhsa_exception_fp_ieee_underflow 0
		.amdhsa_exception_fp_ieee_inexact 0
		.amdhsa_exception_int_div_zero 0
	.end_amdhsa_kernel
	.section	.text._ZN7rocprim17ROCPRIM_400000_NS6detail17trampoline_kernelINS0_14default_configENS1_25transform_config_selectorIyLb0EEEZNS1_14transform_implILb0ES3_S5_NS0_18transform_iteratorINS0_17counting_iteratorImlEEZNS1_24adjacent_difference_implIS3_Lb1ELb0EPKyPyN6thrust23THRUST_200600_302600_NS4plusIyEEEE10hipError_tPvRmT2_T3_mT4_P12ihipStream_tbEUlmE_yEESD_NS0_8identityIvEEEESI_SL_SM_mSN_SP_bEUlT_E_NS1_11comp_targetILNS1_3genE9ELNS1_11target_archE1100ELNS1_3gpuE3ELNS1_3repE0EEENS1_30default_config_static_selectorELNS0_4arch9wavefront6targetE0EEEvT1_,"axG",@progbits,_ZN7rocprim17ROCPRIM_400000_NS6detail17trampoline_kernelINS0_14default_configENS1_25transform_config_selectorIyLb0EEEZNS1_14transform_implILb0ES3_S5_NS0_18transform_iteratorINS0_17counting_iteratorImlEEZNS1_24adjacent_difference_implIS3_Lb1ELb0EPKyPyN6thrust23THRUST_200600_302600_NS4plusIyEEEE10hipError_tPvRmT2_T3_mT4_P12ihipStream_tbEUlmE_yEESD_NS0_8identityIvEEEESI_SL_SM_mSN_SP_bEUlT_E_NS1_11comp_targetILNS1_3genE9ELNS1_11target_archE1100ELNS1_3gpuE3ELNS1_3repE0EEENS1_30default_config_static_selectorELNS0_4arch9wavefront6targetE0EEEvT1_,comdat
.Lfunc_end638:
	.size	_ZN7rocprim17ROCPRIM_400000_NS6detail17trampoline_kernelINS0_14default_configENS1_25transform_config_selectorIyLb0EEEZNS1_14transform_implILb0ES3_S5_NS0_18transform_iteratorINS0_17counting_iteratorImlEEZNS1_24adjacent_difference_implIS3_Lb1ELb0EPKyPyN6thrust23THRUST_200600_302600_NS4plusIyEEEE10hipError_tPvRmT2_T3_mT4_P12ihipStream_tbEUlmE_yEESD_NS0_8identityIvEEEESI_SL_SM_mSN_SP_bEUlT_E_NS1_11comp_targetILNS1_3genE9ELNS1_11target_archE1100ELNS1_3gpuE3ELNS1_3repE0EEENS1_30default_config_static_selectorELNS0_4arch9wavefront6targetE0EEEvT1_, .Lfunc_end638-_ZN7rocprim17ROCPRIM_400000_NS6detail17trampoline_kernelINS0_14default_configENS1_25transform_config_selectorIyLb0EEEZNS1_14transform_implILb0ES3_S5_NS0_18transform_iteratorINS0_17counting_iteratorImlEEZNS1_24adjacent_difference_implIS3_Lb1ELb0EPKyPyN6thrust23THRUST_200600_302600_NS4plusIyEEEE10hipError_tPvRmT2_T3_mT4_P12ihipStream_tbEUlmE_yEESD_NS0_8identityIvEEEESI_SL_SM_mSN_SP_bEUlT_E_NS1_11comp_targetILNS1_3genE9ELNS1_11target_archE1100ELNS1_3gpuE3ELNS1_3repE0EEENS1_30default_config_static_selectorELNS0_4arch9wavefront6targetE0EEEvT1_
                                        ; -- End function
	.section	.AMDGPU.csdata,"",@progbits
; Kernel info:
; codeLenInByte = 400
; NumSgprs: 18
; NumVgprs: 6
; ScratchSize: 0
; MemoryBound: 0
; FloatMode: 240
; IeeeMode: 1
; LDSByteSize: 0 bytes/workgroup (compile time only)
; SGPRBlocks: 2
; VGPRBlocks: 0
; NumSGPRsForWavesPerEU: 18
; NumVGPRsForWavesPerEU: 6
; Occupancy: 16
; WaveLimiterHint : 0
; COMPUTE_PGM_RSRC2:SCRATCH_EN: 0
; COMPUTE_PGM_RSRC2:USER_SGPR: 15
; COMPUTE_PGM_RSRC2:TRAP_HANDLER: 0
; COMPUTE_PGM_RSRC2:TGID_X_EN: 1
; COMPUTE_PGM_RSRC2:TGID_Y_EN: 0
; COMPUTE_PGM_RSRC2:TGID_Z_EN: 0
; COMPUTE_PGM_RSRC2:TIDIG_COMP_CNT: 0
	.section	.text._ZN7rocprim17ROCPRIM_400000_NS6detail17trampoline_kernelINS0_14default_configENS1_25transform_config_selectorIyLb0EEEZNS1_14transform_implILb0ES3_S5_NS0_18transform_iteratorINS0_17counting_iteratorImlEEZNS1_24adjacent_difference_implIS3_Lb1ELb0EPKyPyN6thrust23THRUST_200600_302600_NS4plusIyEEEE10hipError_tPvRmT2_T3_mT4_P12ihipStream_tbEUlmE_yEESD_NS0_8identityIvEEEESI_SL_SM_mSN_SP_bEUlT_E_NS1_11comp_targetILNS1_3genE8ELNS1_11target_archE1030ELNS1_3gpuE2ELNS1_3repE0EEENS1_30default_config_static_selectorELNS0_4arch9wavefront6targetE0EEEvT1_,"axG",@progbits,_ZN7rocprim17ROCPRIM_400000_NS6detail17trampoline_kernelINS0_14default_configENS1_25transform_config_selectorIyLb0EEEZNS1_14transform_implILb0ES3_S5_NS0_18transform_iteratorINS0_17counting_iteratorImlEEZNS1_24adjacent_difference_implIS3_Lb1ELb0EPKyPyN6thrust23THRUST_200600_302600_NS4plusIyEEEE10hipError_tPvRmT2_T3_mT4_P12ihipStream_tbEUlmE_yEESD_NS0_8identityIvEEEESI_SL_SM_mSN_SP_bEUlT_E_NS1_11comp_targetILNS1_3genE8ELNS1_11target_archE1030ELNS1_3gpuE2ELNS1_3repE0EEENS1_30default_config_static_selectorELNS0_4arch9wavefront6targetE0EEEvT1_,comdat
	.protected	_ZN7rocprim17ROCPRIM_400000_NS6detail17trampoline_kernelINS0_14default_configENS1_25transform_config_selectorIyLb0EEEZNS1_14transform_implILb0ES3_S5_NS0_18transform_iteratorINS0_17counting_iteratorImlEEZNS1_24adjacent_difference_implIS3_Lb1ELb0EPKyPyN6thrust23THRUST_200600_302600_NS4plusIyEEEE10hipError_tPvRmT2_T3_mT4_P12ihipStream_tbEUlmE_yEESD_NS0_8identityIvEEEESI_SL_SM_mSN_SP_bEUlT_E_NS1_11comp_targetILNS1_3genE8ELNS1_11target_archE1030ELNS1_3gpuE2ELNS1_3repE0EEENS1_30default_config_static_selectorELNS0_4arch9wavefront6targetE0EEEvT1_ ; -- Begin function _ZN7rocprim17ROCPRIM_400000_NS6detail17trampoline_kernelINS0_14default_configENS1_25transform_config_selectorIyLb0EEEZNS1_14transform_implILb0ES3_S5_NS0_18transform_iteratorINS0_17counting_iteratorImlEEZNS1_24adjacent_difference_implIS3_Lb1ELb0EPKyPyN6thrust23THRUST_200600_302600_NS4plusIyEEEE10hipError_tPvRmT2_T3_mT4_P12ihipStream_tbEUlmE_yEESD_NS0_8identityIvEEEESI_SL_SM_mSN_SP_bEUlT_E_NS1_11comp_targetILNS1_3genE8ELNS1_11target_archE1030ELNS1_3gpuE2ELNS1_3repE0EEENS1_30default_config_static_selectorELNS0_4arch9wavefront6targetE0EEEvT1_
	.globl	_ZN7rocprim17ROCPRIM_400000_NS6detail17trampoline_kernelINS0_14default_configENS1_25transform_config_selectorIyLb0EEEZNS1_14transform_implILb0ES3_S5_NS0_18transform_iteratorINS0_17counting_iteratorImlEEZNS1_24adjacent_difference_implIS3_Lb1ELb0EPKyPyN6thrust23THRUST_200600_302600_NS4plusIyEEEE10hipError_tPvRmT2_T3_mT4_P12ihipStream_tbEUlmE_yEESD_NS0_8identityIvEEEESI_SL_SM_mSN_SP_bEUlT_E_NS1_11comp_targetILNS1_3genE8ELNS1_11target_archE1030ELNS1_3gpuE2ELNS1_3repE0EEENS1_30default_config_static_selectorELNS0_4arch9wavefront6targetE0EEEvT1_
	.p2align	8
	.type	_ZN7rocprim17ROCPRIM_400000_NS6detail17trampoline_kernelINS0_14default_configENS1_25transform_config_selectorIyLb0EEEZNS1_14transform_implILb0ES3_S5_NS0_18transform_iteratorINS0_17counting_iteratorImlEEZNS1_24adjacent_difference_implIS3_Lb1ELb0EPKyPyN6thrust23THRUST_200600_302600_NS4plusIyEEEE10hipError_tPvRmT2_T3_mT4_P12ihipStream_tbEUlmE_yEESD_NS0_8identityIvEEEESI_SL_SM_mSN_SP_bEUlT_E_NS1_11comp_targetILNS1_3genE8ELNS1_11target_archE1030ELNS1_3gpuE2ELNS1_3repE0EEENS1_30default_config_static_selectorELNS0_4arch9wavefront6targetE0EEEvT1_,@function
_ZN7rocprim17ROCPRIM_400000_NS6detail17trampoline_kernelINS0_14default_configENS1_25transform_config_selectorIyLb0EEEZNS1_14transform_implILb0ES3_S5_NS0_18transform_iteratorINS0_17counting_iteratorImlEEZNS1_24adjacent_difference_implIS3_Lb1ELb0EPKyPyN6thrust23THRUST_200600_302600_NS4plusIyEEEE10hipError_tPvRmT2_T3_mT4_P12ihipStream_tbEUlmE_yEESD_NS0_8identityIvEEEESI_SL_SM_mSN_SP_bEUlT_E_NS1_11comp_targetILNS1_3genE8ELNS1_11target_archE1030ELNS1_3gpuE2ELNS1_3repE0EEENS1_30default_config_static_selectorELNS0_4arch9wavefront6targetE0EEEvT1_: ; @_ZN7rocprim17ROCPRIM_400000_NS6detail17trampoline_kernelINS0_14default_configENS1_25transform_config_selectorIyLb0EEEZNS1_14transform_implILb0ES3_S5_NS0_18transform_iteratorINS0_17counting_iteratorImlEEZNS1_24adjacent_difference_implIS3_Lb1ELb0EPKyPyN6thrust23THRUST_200600_302600_NS4plusIyEEEE10hipError_tPvRmT2_T3_mT4_P12ihipStream_tbEUlmE_yEESD_NS0_8identityIvEEEESI_SL_SM_mSN_SP_bEUlT_E_NS1_11comp_targetILNS1_3genE8ELNS1_11target_archE1030ELNS1_3gpuE2ELNS1_3repE0EEENS1_30default_config_static_selectorELNS0_4arch9wavefront6targetE0EEEvT1_
; %bb.0:
	.section	.rodata,"a",@progbits
	.p2align	6, 0x0
	.amdhsa_kernel _ZN7rocprim17ROCPRIM_400000_NS6detail17trampoline_kernelINS0_14default_configENS1_25transform_config_selectorIyLb0EEEZNS1_14transform_implILb0ES3_S5_NS0_18transform_iteratorINS0_17counting_iteratorImlEEZNS1_24adjacent_difference_implIS3_Lb1ELb0EPKyPyN6thrust23THRUST_200600_302600_NS4plusIyEEEE10hipError_tPvRmT2_T3_mT4_P12ihipStream_tbEUlmE_yEESD_NS0_8identityIvEEEESI_SL_SM_mSN_SP_bEUlT_E_NS1_11comp_targetILNS1_3genE8ELNS1_11target_archE1030ELNS1_3gpuE2ELNS1_3repE0EEENS1_30default_config_static_selectorELNS0_4arch9wavefront6targetE0EEEvT1_
		.amdhsa_group_segment_fixed_size 0
		.amdhsa_private_segment_fixed_size 0
		.amdhsa_kernarg_size 56
		.amdhsa_user_sgpr_count 15
		.amdhsa_user_sgpr_dispatch_ptr 0
		.amdhsa_user_sgpr_queue_ptr 0
		.amdhsa_user_sgpr_kernarg_segment_ptr 1
		.amdhsa_user_sgpr_dispatch_id 0
		.amdhsa_user_sgpr_private_segment_size 0
		.amdhsa_wavefront_size32 1
		.amdhsa_uses_dynamic_stack 0
		.amdhsa_enable_private_segment 0
		.amdhsa_system_sgpr_workgroup_id_x 1
		.amdhsa_system_sgpr_workgroup_id_y 0
		.amdhsa_system_sgpr_workgroup_id_z 0
		.amdhsa_system_sgpr_workgroup_info 0
		.amdhsa_system_vgpr_workitem_id 0
		.amdhsa_next_free_vgpr 1
		.amdhsa_next_free_sgpr 1
		.amdhsa_reserve_vcc 0
		.amdhsa_float_round_mode_32 0
		.amdhsa_float_round_mode_16_64 0
		.amdhsa_float_denorm_mode_32 3
		.amdhsa_float_denorm_mode_16_64 3
		.amdhsa_dx10_clamp 1
		.amdhsa_ieee_mode 1
		.amdhsa_fp16_overflow 0
		.amdhsa_workgroup_processor_mode 1
		.amdhsa_memory_ordered 1
		.amdhsa_forward_progress 0
		.amdhsa_shared_vgpr_count 0
		.amdhsa_exception_fp_ieee_invalid_op 0
		.amdhsa_exception_fp_denorm_src 0
		.amdhsa_exception_fp_ieee_div_zero 0
		.amdhsa_exception_fp_ieee_overflow 0
		.amdhsa_exception_fp_ieee_underflow 0
		.amdhsa_exception_fp_ieee_inexact 0
		.amdhsa_exception_int_div_zero 0
	.end_amdhsa_kernel
	.section	.text._ZN7rocprim17ROCPRIM_400000_NS6detail17trampoline_kernelINS0_14default_configENS1_25transform_config_selectorIyLb0EEEZNS1_14transform_implILb0ES3_S5_NS0_18transform_iteratorINS0_17counting_iteratorImlEEZNS1_24adjacent_difference_implIS3_Lb1ELb0EPKyPyN6thrust23THRUST_200600_302600_NS4plusIyEEEE10hipError_tPvRmT2_T3_mT4_P12ihipStream_tbEUlmE_yEESD_NS0_8identityIvEEEESI_SL_SM_mSN_SP_bEUlT_E_NS1_11comp_targetILNS1_3genE8ELNS1_11target_archE1030ELNS1_3gpuE2ELNS1_3repE0EEENS1_30default_config_static_selectorELNS0_4arch9wavefront6targetE0EEEvT1_,"axG",@progbits,_ZN7rocprim17ROCPRIM_400000_NS6detail17trampoline_kernelINS0_14default_configENS1_25transform_config_selectorIyLb0EEEZNS1_14transform_implILb0ES3_S5_NS0_18transform_iteratorINS0_17counting_iteratorImlEEZNS1_24adjacent_difference_implIS3_Lb1ELb0EPKyPyN6thrust23THRUST_200600_302600_NS4plusIyEEEE10hipError_tPvRmT2_T3_mT4_P12ihipStream_tbEUlmE_yEESD_NS0_8identityIvEEEESI_SL_SM_mSN_SP_bEUlT_E_NS1_11comp_targetILNS1_3genE8ELNS1_11target_archE1030ELNS1_3gpuE2ELNS1_3repE0EEENS1_30default_config_static_selectorELNS0_4arch9wavefront6targetE0EEEvT1_,comdat
.Lfunc_end639:
	.size	_ZN7rocprim17ROCPRIM_400000_NS6detail17trampoline_kernelINS0_14default_configENS1_25transform_config_selectorIyLb0EEEZNS1_14transform_implILb0ES3_S5_NS0_18transform_iteratorINS0_17counting_iteratorImlEEZNS1_24adjacent_difference_implIS3_Lb1ELb0EPKyPyN6thrust23THRUST_200600_302600_NS4plusIyEEEE10hipError_tPvRmT2_T3_mT4_P12ihipStream_tbEUlmE_yEESD_NS0_8identityIvEEEESI_SL_SM_mSN_SP_bEUlT_E_NS1_11comp_targetILNS1_3genE8ELNS1_11target_archE1030ELNS1_3gpuE2ELNS1_3repE0EEENS1_30default_config_static_selectorELNS0_4arch9wavefront6targetE0EEEvT1_, .Lfunc_end639-_ZN7rocprim17ROCPRIM_400000_NS6detail17trampoline_kernelINS0_14default_configENS1_25transform_config_selectorIyLb0EEEZNS1_14transform_implILb0ES3_S5_NS0_18transform_iteratorINS0_17counting_iteratorImlEEZNS1_24adjacent_difference_implIS3_Lb1ELb0EPKyPyN6thrust23THRUST_200600_302600_NS4plusIyEEEE10hipError_tPvRmT2_T3_mT4_P12ihipStream_tbEUlmE_yEESD_NS0_8identityIvEEEESI_SL_SM_mSN_SP_bEUlT_E_NS1_11comp_targetILNS1_3genE8ELNS1_11target_archE1030ELNS1_3gpuE2ELNS1_3repE0EEENS1_30default_config_static_selectorELNS0_4arch9wavefront6targetE0EEEvT1_
                                        ; -- End function
	.section	.AMDGPU.csdata,"",@progbits
; Kernel info:
; codeLenInByte = 0
; NumSgprs: 0
; NumVgprs: 0
; ScratchSize: 0
; MemoryBound: 0
; FloatMode: 240
; IeeeMode: 1
; LDSByteSize: 0 bytes/workgroup (compile time only)
; SGPRBlocks: 0
; VGPRBlocks: 0
; NumSGPRsForWavesPerEU: 1
; NumVGPRsForWavesPerEU: 1
; Occupancy: 16
; WaveLimiterHint : 0
; COMPUTE_PGM_RSRC2:SCRATCH_EN: 0
; COMPUTE_PGM_RSRC2:USER_SGPR: 15
; COMPUTE_PGM_RSRC2:TRAP_HANDLER: 0
; COMPUTE_PGM_RSRC2:TGID_X_EN: 1
; COMPUTE_PGM_RSRC2:TGID_Y_EN: 0
; COMPUTE_PGM_RSRC2:TGID_Z_EN: 0
; COMPUTE_PGM_RSRC2:TIDIG_COMP_CNT: 0
	.section	.text._ZN7rocprim17ROCPRIM_400000_NS6detail17trampoline_kernelINS0_14default_configENS1_35adjacent_difference_config_selectorILb1EyEEZNS1_24adjacent_difference_implIS3_Lb1ELb0EPKyPyN6thrust23THRUST_200600_302600_NS4plusIyEEEE10hipError_tPvRmT2_T3_mT4_P12ihipStream_tbEUlT_E_NS1_11comp_targetILNS1_3genE0ELNS1_11target_archE4294967295ELNS1_3gpuE0ELNS1_3repE0EEENS1_30default_config_static_selectorELNS0_4arch9wavefront6targetE0EEEvT1_,"axG",@progbits,_ZN7rocprim17ROCPRIM_400000_NS6detail17trampoline_kernelINS0_14default_configENS1_35adjacent_difference_config_selectorILb1EyEEZNS1_24adjacent_difference_implIS3_Lb1ELb0EPKyPyN6thrust23THRUST_200600_302600_NS4plusIyEEEE10hipError_tPvRmT2_T3_mT4_P12ihipStream_tbEUlT_E_NS1_11comp_targetILNS1_3genE0ELNS1_11target_archE4294967295ELNS1_3gpuE0ELNS1_3repE0EEENS1_30default_config_static_selectorELNS0_4arch9wavefront6targetE0EEEvT1_,comdat
	.protected	_ZN7rocprim17ROCPRIM_400000_NS6detail17trampoline_kernelINS0_14default_configENS1_35adjacent_difference_config_selectorILb1EyEEZNS1_24adjacent_difference_implIS3_Lb1ELb0EPKyPyN6thrust23THRUST_200600_302600_NS4plusIyEEEE10hipError_tPvRmT2_T3_mT4_P12ihipStream_tbEUlT_E_NS1_11comp_targetILNS1_3genE0ELNS1_11target_archE4294967295ELNS1_3gpuE0ELNS1_3repE0EEENS1_30default_config_static_selectorELNS0_4arch9wavefront6targetE0EEEvT1_ ; -- Begin function _ZN7rocprim17ROCPRIM_400000_NS6detail17trampoline_kernelINS0_14default_configENS1_35adjacent_difference_config_selectorILb1EyEEZNS1_24adjacent_difference_implIS3_Lb1ELb0EPKyPyN6thrust23THRUST_200600_302600_NS4plusIyEEEE10hipError_tPvRmT2_T3_mT4_P12ihipStream_tbEUlT_E_NS1_11comp_targetILNS1_3genE0ELNS1_11target_archE4294967295ELNS1_3gpuE0ELNS1_3repE0EEENS1_30default_config_static_selectorELNS0_4arch9wavefront6targetE0EEEvT1_
	.globl	_ZN7rocprim17ROCPRIM_400000_NS6detail17trampoline_kernelINS0_14default_configENS1_35adjacent_difference_config_selectorILb1EyEEZNS1_24adjacent_difference_implIS3_Lb1ELb0EPKyPyN6thrust23THRUST_200600_302600_NS4plusIyEEEE10hipError_tPvRmT2_T3_mT4_P12ihipStream_tbEUlT_E_NS1_11comp_targetILNS1_3genE0ELNS1_11target_archE4294967295ELNS1_3gpuE0ELNS1_3repE0EEENS1_30default_config_static_selectorELNS0_4arch9wavefront6targetE0EEEvT1_
	.p2align	8
	.type	_ZN7rocprim17ROCPRIM_400000_NS6detail17trampoline_kernelINS0_14default_configENS1_35adjacent_difference_config_selectorILb1EyEEZNS1_24adjacent_difference_implIS3_Lb1ELb0EPKyPyN6thrust23THRUST_200600_302600_NS4plusIyEEEE10hipError_tPvRmT2_T3_mT4_P12ihipStream_tbEUlT_E_NS1_11comp_targetILNS1_3genE0ELNS1_11target_archE4294967295ELNS1_3gpuE0ELNS1_3repE0EEENS1_30default_config_static_selectorELNS0_4arch9wavefront6targetE0EEEvT1_,@function
_ZN7rocprim17ROCPRIM_400000_NS6detail17trampoline_kernelINS0_14default_configENS1_35adjacent_difference_config_selectorILb1EyEEZNS1_24adjacent_difference_implIS3_Lb1ELb0EPKyPyN6thrust23THRUST_200600_302600_NS4plusIyEEEE10hipError_tPvRmT2_T3_mT4_P12ihipStream_tbEUlT_E_NS1_11comp_targetILNS1_3genE0ELNS1_11target_archE4294967295ELNS1_3gpuE0ELNS1_3repE0EEENS1_30default_config_static_selectorELNS0_4arch9wavefront6targetE0EEEvT1_: ; @_ZN7rocprim17ROCPRIM_400000_NS6detail17trampoline_kernelINS0_14default_configENS1_35adjacent_difference_config_selectorILb1EyEEZNS1_24adjacent_difference_implIS3_Lb1ELb0EPKyPyN6thrust23THRUST_200600_302600_NS4plusIyEEEE10hipError_tPvRmT2_T3_mT4_P12ihipStream_tbEUlT_E_NS1_11comp_targetILNS1_3genE0ELNS1_11target_archE4294967295ELNS1_3gpuE0ELNS1_3repE0EEENS1_30default_config_static_selectorELNS0_4arch9wavefront6targetE0EEEvT1_
; %bb.0:
	.section	.rodata,"a",@progbits
	.p2align	6, 0x0
	.amdhsa_kernel _ZN7rocprim17ROCPRIM_400000_NS6detail17trampoline_kernelINS0_14default_configENS1_35adjacent_difference_config_selectorILb1EyEEZNS1_24adjacent_difference_implIS3_Lb1ELb0EPKyPyN6thrust23THRUST_200600_302600_NS4plusIyEEEE10hipError_tPvRmT2_T3_mT4_P12ihipStream_tbEUlT_E_NS1_11comp_targetILNS1_3genE0ELNS1_11target_archE4294967295ELNS1_3gpuE0ELNS1_3repE0EEENS1_30default_config_static_selectorELNS0_4arch9wavefront6targetE0EEEvT1_
		.amdhsa_group_segment_fixed_size 0
		.amdhsa_private_segment_fixed_size 0
		.amdhsa_kernarg_size 56
		.amdhsa_user_sgpr_count 15
		.amdhsa_user_sgpr_dispatch_ptr 0
		.amdhsa_user_sgpr_queue_ptr 0
		.amdhsa_user_sgpr_kernarg_segment_ptr 1
		.amdhsa_user_sgpr_dispatch_id 0
		.amdhsa_user_sgpr_private_segment_size 0
		.amdhsa_wavefront_size32 1
		.amdhsa_uses_dynamic_stack 0
		.amdhsa_enable_private_segment 0
		.amdhsa_system_sgpr_workgroup_id_x 1
		.amdhsa_system_sgpr_workgroup_id_y 0
		.amdhsa_system_sgpr_workgroup_id_z 0
		.amdhsa_system_sgpr_workgroup_info 0
		.amdhsa_system_vgpr_workitem_id 0
		.amdhsa_next_free_vgpr 1
		.amdhsa_next_free_sgpr 1
		.amdhsa_reserve_vcc 0
		.amdhsa_float_round_mode_32 0
		.amdhsa_float_round_mode_16_64 0
		.amdhsa_float_denorm_mode_32 3
		.amdhsa_float_denorm_mode_16_64 3
		.amdhsa_dx10_clamp 1
		.amdhsa_ieee_mode 1
		.amdhsa_fp16_overflow 0
		.amdhsa_workgroup_processor_mode 1
		.amdhsa_memory_ordered 1
		.amdhsa_forward_progress 0
		.amdhsa_shared_vgpr_count 0
		.amdhsa_exception_fp_ieee_invalid_op 0
		.amdhsa_exception_fp_denorm_src 0
		.amdhsa_exception_fp_ieee_div_zero 0
		.amdhsa_exception_fp_ieee_overflow 0
		.amdhsa_exception_fp_ieee_underflow 0
		.amdhsa_exception_fp_ieee_inexact 0
		.amdhsa_exception_int_div_zero 0
	.end_amdhsa_kernel
	.section	.text._ZN7rocprim17ROCPRIM_400000_NS6detail17trampoline_kernelINS0_14default_configENS1_35adjacent_difference_config_selectorILb1EyEEZNS1_24adjacent_difference_implIS3_Lb1ELb0EPKyPyN6thrust23THRUST_200600_302600_NS4plusIyEEEE10hipError_tPvRmT2_T3_mT4_P12ihipStream_tbEUlT_E_NS1_11comp_targetILNS1_3genE0ELNS1_11target_archE4294967295ELNS1_3gpuE0ELNS1_3repE0EEENS1_30default_config_static_selectorELNS0_4arch9wavefront6targetE0EEEvT1_,"axG",@progbits,_ZN7rocprim17ROCPRIM_400000_NS6detail17trampoline_kernelINS0_14default_configENS1_35adjacent_difference_config_selectorILb1EyEEZNS1_24adjacent_difference_implIS3_Lb1ELb0EPKyPyN6thrust23THRUST_200600_302600_NS4plusIyEEEE10hipError_tPvRmT2_T3_mT4_P12ihipStream_tbEUlT_E_NS1_11comp_targetILNS1_3genE0ELNS1_11target_archE4294967295ELNS1_3gpuE0ELNS1_3repE0EEENS1_30default_config_static_selectorELNS0_4arch9wavefront6targetE0EEEvT1_,comdat
.Lfunc_end640:
	.size	_ZN7rocprim17ROCPRIM_400000_NS6detail17trampoline_kernelINS0_14default_configENS1_35adjacent_difference_config_selectorILb1EyEEZNS1_24adjacent_difference_implIS3_Lb1ELb0EPKyPyN6thrust23THRUST_200600_302600_NS4plusIyEEEE10hipError_tPvRmT2_T3_mT4_P12ihipStream_tbEUlT_E_NS1_11comp_targetILNS1_3genE0ELNS1_11target_archE4294967295ELNS1_3gpuE0ELNS1_3repE0EEENS1_30default_config_static_selectorELNS0_4arch9wavefront6targetE0EEEvT1_, .Lfunc_end640-_ZN7rocprim17ROCPRIM_400000_NS6detail17trampoline_kernelINS0_14default_configENS1_35adjacent_difference_config_selectorILb1EyEEZNS1_24adjacent_difference_implIS3_Lb1ELb0EPKyPyN6thrust23THRUST_200600_302600_NS4plusIyEEEE10hipError_tPvRmT2_T3_mT4_P12ihipStream_tbEUlT_E_NS1_11comp_targetILNS1_3genE0ELNS1_11target_archE4294967295ELNS1_3gpuE0ELNS1_3repE0EEENS1_30default_config_static_selectorELNS0_4arch9wavefront6targetE0EEEvT1_
                                        ; -- End function
	.section	.AMDGPU.csdata,"",@progbits
; Kernel info:
; codeLenInByte = 0
; NumSgprs: 0
; NumVgprs: 0
; ScratchSize: 0
; MemoryBound: 0
; FloatMode: 240
; IeeeMode: 1
; LDSByteSize: 0 bytes/workgroup (compile time only)
; SGPRBlocks: 0
; VGPRBlocks: 0
; NumSGPRsForWavesPerEU: 1
; NumVGPRsForWavesPerEU: 1
; Occupancy: 16
; WaveLimiterHint : 0
; COMPUTE_PGM_RSRC2:SCRATCH_EN: 0
; COMPUTE_PGM_RSRC2:USER_SGPR: 15
; COMPUTE_PGM_RSRC2:TRAP_HANDLER: 0
; COMPUTE_PGM_RSRC2:TGID_X_EN: 1
; COMPUTE_PGM_RSRC2:TGID_Y_EN: 0
; COMPUTE_PGM_RSRC2:TGID_Z_EN: 0
; COMPUTE_PGM_RSRC2:TIDIG_COMP_CNT: 0
	.section	.text._ZN7rocprim17ROCPRIM_400000_NS6detail17trampoline_kernelINS0_14default_configENS1_35adjacent_difference_config_selectorILb1EyEEZNS1_24adjacent_difference_implIS3_Lb1ELb0EPKyPyN6thrust23THRUST_200600_302600_NS4plusIyEEEE10hipError_tPvRmT2_T3_mT4_P12ihipStream_tbEUlT_E_NS1_11comp_targetILNS1_3genE10ELNS1_11target_archE1201ELNS1_3gpuE5ELNS1_3repE0EEENS1_30default_config_static_selectorELNS0_4arch9wavefront6targetE0EEEvT1_,"axG",@progbits,_ZN7rocprim17ROCPRIM_400000_NS6detail17trampoline_kernelINS0_14default_configENS1_35adjacent_difference_config_selectorILb1EyEEZNS1_24adjacent_difference_implIS3_Lb1ELb0EPKyPyN6thrust23THRUST_200600_302600_NS4plusIyEEEE10hipError_tPvRmT2_T3_mT4_P12ihipStream_tbEUlT_E_NS1_11comp_targetILNS1_3genE10ELNS1_11target_archE1201ELNS1_3gpuE5ELNS1_3repE0EEENS1_30default_config_static_selectorELNS0_4arch9wavefront6targetE0EEEvT1_,comdat
	.protected	_ZN7rocprim17ROCPRIM_400000_NS6detail17trampoline_kernelINS0_14default_configENS1_35adjacent_difference_config_selectorILb1EyEEZNS1_24adjacent_difference_implIS3_Lb1ELb0EPKyPyN6thrust23THRUST_200600_302600_NS4plusIyEEEE10hipError_tPvRmT2_T3_mT4_P12ihipStream_tbEUlT_E_NS1_11comp_targetILNS1_3genE10ELNS1_11target_archE1201ELNS1_3gpuE5ELNS1_3repE0EEENS1_30default_config_static_selectorELNS0_4arch9wavefront6targetE0EEEvT1_ ; -- Begin function _ZN7rocprim17ROCPRIM_400000_NS6detail17trampoline_kernelINS0_14default_configENS1_35adjacent_difference_config_selectorILb1EyEEZNS1_24adjacent_difference_implIS3_Lb1ELb0EPKyPyN6thrust23THRUST_200600_302600_NS4plusIyEEEE10hipError_tPvRmT2_T3_mT4_P12ihipStream_tbEUlT_E_NS1_11comp_targetILNS1_3genE10ELNS1_11target_archE1201ELNS1_3gpuE5ELNS1_3repE0EEENS1_30default_config_static_selectorELNS0_4arch9wavefront6targetE0EEEvT1_
	.globl	_ZN7rocprim17ROCPRIM_400000_NS6detail17trampoline_kernelINS0_14default_configENS1_35adjacent_difference_config_selectorILb1EyEEZNS1_24adjacent_difference_implIS3_Lb1ELb0EPKyPyN6thrust23THRUST_200600_302600_NS4plusIyEEEE10hipError_tPvRmT2_T3_mT4_P12ihipStream_tbEUlT_E_NS1_11comp_targetILNS1_3genE10ELNS1_11target_archE1201ELNS1_3gpuE5ELNS1_3repE0EEENS1_30default_config_static_selectorELNS0_4arch9wavefront6targetE0EEEvT1_
	.p2align	8
	.type	_ZN7rocprim17ROCPRIM_400000_NS6detail17trampoline_kernelINS0_14default_configENS1_35adjacent_difference_config_selectorILb1EyEEZNS1_24adjacent_difference_implIS3_Lb1ELb0EPKyPyN6thrust23THRUST_200600_302600_NS4plusIyEEEE10hipError_tPvRmT2_T3_mT4_P12ihipStream_tbEUlT_E_NS1_11comp_targetILNS1_3genE10ELNS1_11target_archE1201ELNS1_3gpuE5ELNS1_3repE0EEENS1_30default_config_static_selectorELNS0_4arch9wavefront6targetE0EEEvT1_,@function
_ZN7rocprim17ROCPRIM_400000_NS6detail17trampoline_kernelINS0_14default_configENS1_35adjacent_difference_config_selectorILb1EyEEZNS1_24adjacent_difference_implIS3_Lb1ELb0EPKyPyN6thrust23THRUST_200600_302600_NS4plusIyEEEE10hipError_tPvRmT2_T3_mT4_P12ihipStream_tbEUlT_E_NS1_11comp_targetILNS1_3genE10ELNS1_11target_archE1201ELNS1_3gpuE5ELNS1_3repE0EEENS1_30default_config_static_selectorELNS0_4arch9wavefront6targetE0EEEvT1_: ; @_ZN7rocprim17ROCPRIM_400000_NS6detail17trampoline_kernelINS0_14default_configENS1_35adjacent_difference_config_selectorILb1EyEEZNS1_24adjacent_difference_implIS3_Lb1ELb0EPKyPyN6thrust23THRUST_200600_302600_NS4plusIyEEEE10hipError_tPvRmT2_T3_mT4_P12ihipStream_tbEUlT_E_NS1_11comp_targetILNS1_3genE10ELNS1_11target_archE1201ELNS1_3gpuE5ELNS1_3repE0EEENS1_30default_config_static_selectorELNS0_4arch9wavefront6targetE0EEEvT1_
; %bb.0:
	.section	.rodata,"a",@progbits
	.p2align	6, 0x0
	.amdhsa_kernel _ZN7rocprim17ROCPRIM_400000_NS6detail17trampoline_kernelINS0_14default_configENS1_35adjacent_difference_config_selectorILb1EyEEZNS1_24adjacent_difference_implIS3_Lb1ELb0EPKyPyN6thrust23THRUST_200600_302600_NS4plusIyEEEE10hipError_tPvRmT2_T3_mT4_P12ihipStream_tbEUlT_E_NS1_11comp_targetILNS1_3genE10ELNS1_11target_archE1201ELNS1_3gpuE5ELNS1_3repE0EEENS1_30default_config_static_selectorELNS0_4arch9wavefront6targetE0EEEvT1_
		.amdhsa_group_segment_fixed_size 0
		.amdhsa_private_segment_fixed_size 0
		.amdhsa_kernarg_size 56
		.amdhsa_user_sgpr_count 15
		.amdhsa_user_sgpr_dispatch_ptr 0
		.amdhsa_user_sgpr_queue_ptr 0
		.amdhsa_user_sgpr_kernarg_segment_ptr 1
		.amdhsa_user_sgpr_dispatch_id 0
		.amdhsa_user_sgpr_private_segment_size 0
		.amdhsa_wavefront_size32 1
		.amdhsa_uses_dynamic_stack 0
		.amdhsa_enable_private_segment 0
		.amdhsa_system_sgpr_workgroup_id_x 1
		.amdhsa_system_sgpr_workgroup_id_y 0
		.amdhsa_system_sgpr_workgroup_id_z 0
		.amdhsa_system_sgpr_workgroup_info 0
		.amdhsa_system_vgpr_workitem_id 0
		.amdhsa_next_free_vgpr 1
		.amdhsa_next_free_sgpr 1
		.amdhsa_reserve_vcc 0
		.amdhsa_float_round_mode_32 0
		.amdhsa_float_round_mode_16_64 0
		.amdhsa_float_denorm_mode_32 3
		.amdhsa_float_denorm_mode_16_64 3
		.amdhsa_dx10_clamp 1
		.amdhsa_ieee_mode 1
		.amdhsa_fp16_overflow 0
		.amdhsa_workgroup_processor_mode 1
		.amdhsa_memory_ordered 1
		.amdhsa_forward_progress 0
		.amdhsa_shared_vgpr_count 0
		.amdhsa_exception_fp_ieee_invalid_op 0
		.amdhsa_exception_fp_denorm_src 0
		.amdhsa_exception_fp_ieee_div_zero 0
		.amdhsa_exception_fp_ieee_overflow 0
		.amdhsa_exception_fp_ieee_underflow 0
		.amdhsa_exception_fp_ieee_inexact 0
		.amdhsa_exception_int_div_zero 0
	.end_amdhsa_kernel
	.section	.text._ZN7rocprim17ROCPRIM_400000_NS6detail17trampoline_kernelINS0_14default_configENS1_35adjacent_difference_config_selectorILb1EyEEZNS1_24adjacent_difference_implIS3_Lb1ELb0EPKyPyN6thrust23THRUST_200600_302600_NS4plusIyEEEE10hipError_tPvRmT2_T3_mT4_P12ihipStream_tbEUlT_E_NS1_11comp_targetILNS1_3genE10ELNS1_11target_archE1201ELNS1_3gpuE5ELNS1_3repE0EEENS1_30default_config_static_selectorELNS0_4arch9wavefront6targetE0EEEvT1_,"axG",@progbits,_ZN7rocprim17ROCPRIM_400000_NS6detail17trampoline_kernelINS0_14default_configENS1_35adjacent_difference_config_selectorILb1EyEEZNS1_24adjacent_difference_implIS3_Lb1ELb0EPKyPyN6thrust23THRUST_200600_302600_NS4plusIyEEEE10hipError_tPvRmT2_T3_mT4_P12ihipStream_tbEUlT_E_NS1_11comp_targetILNS1_3genE10ELNS1_11target_archE1201ELNS1_3gpuE5ELNS1_3repE0EEENS1_30default_config_static_selectorELNS0_4arch9wavefront6targetE0EEEvT1_,comdat
.Lfunc_end641:
	.size	_ZN7rocprim17ROCPRIM_400000_NS6detail17trampoline_kernelINS0_14default_configENS1_35adjacent_difference_config_selectorILb1EyEEZNS1_24adjacent_difference_implIS3_Lb1ELb0EPKyPyN6thrust23THRUST_200600_302600_NS4plusIyEEEE10hipError_tPvRmT2_T3_mT4_P12ihipStream_tbEUlT_E_NS1_11comp_targetILNS1_3genE10ELNS1_11target_archE1201ELNS1_3gpuE5ELNS1_3repE0EEENS1_30default_config_static_selectorELNS0_4arch9wavefront6targetE0EEEvT1_, .Lfunc_end641-_ZN7rocprim17ROCPRIM_400000_NS6detail17trampoline_kernelINS0_14default_configENS1_35adjacent_difference_config_selectorILb1EyEEZNS1_24adjacent_difference_implIS3_Lb1ELb0EPKyPyN6thrust23THRUST_200600_302600_NS4plusIyEEEE10hipError_tPvRmT2_T3_mT4_P12ihipStream_tbEUlT_E_NS1_11comp_targetILNS1_3genE10ELNS1_11target_archE1201ELNS1_3gpuE5ELNS1_3repE0EEENS1_30default_config_static_selectorELNS0_4arch9wavefront6targetE0EEEvT1_
                                        ; -- End function
	.section	.AMDGPU.csdata,"",@progbits
; Kernel info:
; codeLenInByte = 0
; NumSgprs: 0
; NumVgprs: 0
; ScratchSize: 0
; MemoryBound: 0
; FloatMode: 240
; IeeeMode: 1
; LDSByteSize: 0 bytes/workgroup (compile time only)
; SGPRBlocks: 0
; VGPRBlocks: 0
; NumSGPRsForWavesPerEU: 1
; NumVGPRsForWavesPerEU: 1
; Occupancy: 16
; WaveLimiterHint : 0
; COMPUTE_PGM_RSRC2:SCRATCH_EN: 0
; COMPUTE_PGM_RSRC2:USER_SGPR: 15
; COMPUTE_PGM_RSRC2:TRAP_HANDLER: 0
; COMPUTE_PGM_RSRC2:TGID_X_EN: 1
; COMPUTE_PGM_RSRC2:TGID_Y_EN: 0
; COMPUTE_PGM_RSRC2:TGID_Z_EN: 0
; COMPUTE_PGM_RSRC2:TIDIG_COMP_CNT: 0
	.section	.text._ZN7rocprim17ROCPRIM_400000_NS6detail17trampoline_kernelINS0_14default_configENS1_35adjacent_difference_config_selectorILb1EyEEZNS1_24adjacent_difference_implIS3_Lb1ELb0EPKyPyN6thrust23THRUST_200600_302600_NS4plusIyEEEE10hipError_tPvRmT2_T3_mT4_P12ihipStream_tbEUlT_E_NS1_11comp_targetILNS1_3genE5ELNS1_11target_archE942ELNS1_3gpuE9ELNS1_3repE0EEENS1_30default_config_static_selectorELNS0_4arch9wavefront6targetE0EEEvT1_,"axG",@progbits,_ZN7rocprim17ROCPRIM_400000_NS6detail17trampoline_kernelINS0_14default_configENS1_35adjacent_difference_config_selectorILb1EyEEZNS1_24adjacent_difference_implIS3_Lb1ELb0EPKyPyN6thrust23THRUST_200600_302600_NS4plusIyEEEE10hipError_tPvRmT2_T3_mT4_P12ihipStream_tbEUlT_E_NS1_11comp_targetILNS1_3genE5ELNS1_11target_archE942ELNS1_3gpuE9ELNS1_3repE0EEENS1_30default_config_static_selectorELNS0_4arch9wavefront6targetE0EEEvT1_,comdat
	.protected	_ZN7rocprim17ROCPRIM_400000_NS6detail17trampoline_kernelINS0_14default_configENS1_35adjacent_difference_config_selectorILb1EyEEZNS1_24adjacent_difference_implIS3_Lb1ELb0EPKyPyN6thrust23THRUST_200600_302600_NS4plusIyEEEE10hipError_tPvRmT2_T3_mT4_P12ihipStream_tbEUlT_E_NS1_11comp_targetILNS1_3genE5ELNS1_11target_archE942ELNS1_3gpuE9ELNS1_3repE0EEENS1_30default_config_static_selectorELNS0_4arch9wavefront6targetE0EEEvT1_ ; -- Begin function _ZN7rocprim17ROCPRIM_400000_NS6detail17trampoline_kernelINS0_14default_configENS1_35adjacent_difference_config_selectorILb1EyEEZNS1_24adjacent_difference_implIS3_Lb1ELb0EPKyPyN6thrust23THRUST_200600_302600_NS4plusIyEEEE10hipError_tPvRmT2_T3_mT4_P12ihipStream_tbEUlT_E_NS1_11comp_targetILNS1_3genE5ELNS1_11target_archE942ELNS1_3gpuE9ELNS1_3repE0EEENS1_30default_config_static_selectorELNS0_4arch9wavefront6targetE0EEEvT1_
	.globl	_ZN7rocprim17ROCPRIM_400000_NS6detail17trampoline_kernelINS0_14default_configENS1_35adjacent_difference_config_selectorILb1EyEEZNS1_24adjacent_difference_implIS3_Lb1ELb0EPKyPyN6thrust23THRUST_200600_302600_NS4plusIyEEEE10hipError_tPvRmT2_T3_mT4_P12ihipStream_tbEUlT_E_NS1_11comp_targetILNS1_3genE5ELNS1_11target_archE942ELNS1_3gpuE9ELNS1_3repE0EEENS1_30default_config_static_selectorELNS0_4arch9wavefront6targetE0EEEvT1_
	.p2align	8
	.type	_ZN7rocprim17ROCPRIM_400000_NS6detail17trampoline_kernelINS0_14default_configENS1_35adjacent_difference_config_selectorILb1EyEEZNS1_24adjacent_difference_implIS3_Lb1ELb0EPKyPyN6thrust23THRUST_200600_302600_NS4plusIyEEEE10hipError_tPvRmT2_T3_mT4_P12ihipStream_tbEUlT_E_NS1_11comp_targetILNS1_3genE5ELNS1_11target_archE942ELNS1_3gpuE9ELNS1_3repE0EEENS1_30default_config_static_selectorELNS0_4arch9wavefront6targetE0EEEvT1_,@function
_ZN7rocprim17ROCPRIM_400000_NS6detail17trampoline_kernelINS0_14default_configENS1_35adjacent_difference_config_selectorILb1EyEEZNS1_24adjacent_difference_implIS3_Lb1ELb0EPKyPyN6thrust23THRUST_200600_302600_NS4plusIyEEEE10hipError_tPvRmT2_T3_mT4_P12ihipStream_tbEUlT_E_NS1_11comp_targetILNS1_3genE5ELNS1_11target_archE942ELNS1_3gpuE9ELNS1_3repE0EEENS1_30default_config_static_selectorELNS0_4arch9wavefront6targetE0EEEvT1_: ; @_ZN7rocprim17ROCPRIM_400000_NS6detail17trampoline_kernelINS0_14default_configENS1_35adjacent_difference_config_selectorILb1EyEEZNS1_24adjacent_difference_implIS3_Lb1ELb0EPKyPyN6thrust23THRUST_200600_302600_NS4plusIyEEEE10hipError_tPvRmT2_T3_mT4_P12ihipStream_tbEUlT_E_NS1_11comp_targetILNS1_3genE5ELNS1_11target_archE942ELNS1_3gpuE9ELNS1_3repE0EEENS1_30default_config_static_selectorELNS0_4arch9wavefront6targetE0EEEvT1_
; %bb.0:
	.section	.rodata,"a",@progbits
	.p2align	6, 0x0
	.amdhsa_kernel _ZN7rocprim17ROCPRIM_400000_NS6detail17trampoline_kernelINS0_14default_configENS1_35adjacent_difference_config_selectorILb1EyEEZNS1_24adjacent_difference_implIS3_Lb1ELb0EPKyPyN6thrust23THRUST_200600_302600_NS4plusIyEEEE10hipError_tPvRmT2_T3_mT4_P12ihipStream_tbEUlT_E_NS1_11comp_targetILNS1_3genE5ELNS1_11target_archE942ELNS1_3gpuE9ELNS1_3repE0EEENS1_30default_config_static_selectorELNS0_4arch9wavefront6targetE0EEEvT1_
		.amdhsa_group_segment_fixed_size 0
		.amdhsa_private_segment_fixed_size 0
		.amdhsa_kernarg_size 56
		.amdhsa_user_sgpr_count 15
		.amdhsa_user_sgpr_dispatch_ptr 0
		.amdhsa_user_sgpr_queue_ptr 0
		.amdhsa_user_sgpr_kernarg_segment_ptr 1
		.amdhsa_user_sgpr_dispatch_id 0
		.amdhsa_user_sgpr_private_segment_size 0
		.amdhsa_wavefront_size32 1
		.amdhsa_uses_dynamic_stack 0
		.amdhsa_enable_private_segment 0
		.amdhsa_system_sgpr_workgroup_id_x 1
		.amdhsa_system_sgpr_workgroup_id_y 0
		.amdhsa_system_sgpr_workgroup_id_z 0
		.amdhsa_system_sgpr_workgroup_info 0
		.amdhsa_system_vgpr_workitem_id 0
		.amdhsa_next_free_vgpr 1
		.amdhsa_next_free_sgpr 1
		.amdhsa_reserve_vcc 0
		.amdhsa_float_round_mode_32 0
		.amdhsa_float_round_mode_16_64 0
		.amdhsa_float_denorm_mode_32 3
		.amdhsa_float_denorm_mode_16_64 3
		.amdhsa_dx10_clamp 1
		.amdhsa_ieee_mode 1
		.amdhsa_fp16_overflow 0
		.amdhsa_workgroup_processor_mode 1
		.amdhsa_memory_ordered 1
		.amdhsa_forward_progress 0
		.amdhsa_shared_vgpr_count 0
		.amdhsa_exception_fp_ieee_invalid_op 0
		.amdhsa_exception_fp_denorm_src 0
		.amdhsa_exception_fp_ieee_div_zero 0
		.amdhsa_exception_fp_ieee_overflow 0
		.amdhsa_exception_fp_ieee_underflow 0
		.amdhsa_exception_fp_ieee_inexact 0
		.amdhsa_exception_int_div_zero 0
	.end_amdhsa_kernel
	.section	.text._ZN7rocprim17ROCPRIM_400000_NS6detail17trampoline_kernelINS0_14default_configENS1_35adjacent_difference_config_selectorILb1EyEEZNS1_24adjacent_difference_implIS3_Lb1ELb0EPKyPyN6thrust23THRUST_200600_302600_NS4plusIyEEEE10hipError_tPvRmT2_T3_mT4_P12ihipStream_tbEUlT_E_NS1_11comp_targetILNS1_3genE5ELNS1_11target_archE942ELNS1_3gpuE9ELNS1_3repE0EEENS1_30default_config_static_selectorELNS0_4arch9wavefront6targetE0EEEvT1_,"axG",@progbits,_ZN7rocprim17ROCPRIM_400000_NS6detail17trampoline_kernelINS0_14default_configENS1_35adjacent_difference_config_selectorILb1EyEEZNS1_24adjacent_difference_implIS3_Lb1ELb0EPKyPyN6thrust23THRUST_200600_302600_NS4plusIyEEEE10hipError_tPvRmT2_T3_mT4_P12ihipStream_tbEUlT_E_NS1_11comp_targetILNS1_3genE5ELNS1_11target_archE942ELNS1_3gpuE9ELNS1_3repE0EEENS1_30default_config_static_selectorELNS0_4arch9wavefront6targetE0EEEvT1_,comdat
.Lfunc_end642:
	.size	_ZN7rocprim17ROCPRIM_400000_NS6detail17trampoline_kernelINS0_14default_configENS1_35adjacent_difference_config_selectorILb1EyEEZNS1_24adjacent_difference_implIS3_Lb1ELb0EPKyPyN6thrust23THRUST_200600_302600_NS4plusIyEEEE10hipError_tPvRmT2_T3_mT4_P12ihipStream_tbEUlT_E_NS1_11comp_targetILNS1_3genE5ELNS1_11target_archE942ELNS1_3gpuE9ELNS1_3repE0EEENS1_30default_config_static_selectorELNS0_4arch9wavefront6targetE0EEEvT1_, .Lfunc_end642-_ZN7rocprim17ROCPRIM_400000_NS6detail17trampoline_kernelINS0_14default_configENS1_35adjacent_difference_config_selectorILb1EyEEZNS1_24adjacent_difference_implIS3_Lb1ELb0EPKyPyN6thrust23THRUST_200600_302600_NS4plusIyEEEE10hipError_tPvRmT2_T3_mT4_P12ihipStream_tbEUlT_E_NS1_11comp_targetILNS1_3genE5ELNS1_11target_archE942ELNS1_3gpuE9ELNS1_3repE0EEENS1_30default_config_static_selectorELNS0_4arch9wavefront6targetE0EEEvT1_
                                        ; -- End function
	.section	.AMDGPU.csdata,"",@progbits
; Kernel info:
; codeLenInByte = 0
; NumSgprs: 0
; NumVgprs: 0
; ScratchSize: 0
; MemoryBound: 0
; FloatMode: 240
; IeeeMode: 1
; LDSByteSize: 0 bytes/workgroup (compile time only)
; SGPRBlocks: 0
; VGPRBlocks: 0
; NumSGPRsForWavesPerEU: 1
; NumVGPRsForWavesPerEU: 1
; Occupancy: 16
; WaveLimiterHint : 0
; COMPUTE_PGM_RSRC2:SCRATCH_EN: 0
; COMPUTE_PGM_RSRC2:USER_SGPR: 15
; COMPUTE_PGM_RSRC2:TRAP_HANDLER: 0
; COMPUTE_PGM_RSRC2:TGID_X_EN: 1
; COMPUTE_PGM_RSRC2:TGID_Y_EN: 0
; COMPUTE_PGM_RSRC2:TGID_Z_EN: 0
; COMPUTE_PGM_RSRC2:TIDIG_COMP_CNT: 0
	.section	.text._ZN7rocprim17ROCPRIM_400000_NS6detail17trampoline_kernelINS0_14default_configENS1_35adjacent_difference_config_selectorILb1EyEEZNS1_24adjacent_difference_implIS3_Lb1ELb0EPKyPyN6thrust23THRUST_200600_302600_NS4plusIyEEEE10hipError_tPvRmT2_T3_mT4_P12ihipStream_tbEUlT_E_NS1_11comp_targetILNS1_3genE4ELNS1_11target_archE910ELNS1_3gpuE8ELNS1_3repE0EEENS1_30default_config_static_selectorELNS0_4arch9wavefront6targetE0EEEvT1_,"axG",@progbits,_ZN7rocprim17ROCPRIM_400000_NS6detail17trampoline_kernelINS0_14default_configENS1_35adjacent_difference_config_selectorILb1EyEEZNS1_24adjacent_difference_implIS3_Lb1ELb0EPKyPyN6thrust23THRUST_200600_302600_NS4plusIyEEEE10hipError_tPvRmT2_T3_mT4_P12ihipStream_tbEUlT_E_NS1_11comp_targetILNS1_3genE4ELNS1_11target_archE910ELNS1_3gpuE8ELNS1_3repE0EEENS1_30default_config_static_selectorELNS0_4arch9wavefront6targetE0EEEvT1_,comdat
	.protected	_ZN7rocprim17ROCPRIM_400000_NS6detail17trampoline_kernelINS0_14default_configENS1_35adjacent_difference_config_selectorILb1EyEEZNS1_24adjacent_difference_implIS3_Lb1ELb0EPKyPyN6thrust23THRUST_200600_302600_NS4plusIyEEEE10hipError_tPvRmT2_T3_mT4_P12ihipStream_tbEUlT_E_NS1_11comp_targetILNS1_3genE4ELNS1_11target_archE910ELNS1_3gpuE8ELNS1_3repE0EEENS1_30default_config_static_selectorELNS0_4arch9wavefront6targetE0EEEvT1_ ; -- Begin function _ZN7rocprim17ROCPRIM_400000_NS6detail17trampoline_kernelINS0_14default_configENS1_35adjacent_difference_config_selectorILb1EyEEZNS1_24adjacent_difference_implIS3_Lb1ELb0EPKyPyN6thrust23THRUST_200600_302600_NS4plusIyEEEE10hipError_tPvRmT2_T3_mT4_P12ihipStream_tbEUlT_E_NS1_11comp_targetILNS1_3genE4ELNS1_11target_archE910ELNS1_3gpuE8ELNS1_3repE0EEENS1_30default_config_static_selectorELNS0_4arch9wavefront6targetE0EEEvT1_
	.globl	_ZN7rocprim17ROCPRIM_400000_NS6detail17trampoline_kernelINS0_14default_configENS1_35adjacent_difference_config_selectorILb1EyEEZNS1_24adjacent_difference_implIS3_Lb1ELb0EPKyPyN6thrust23THRUST_200600_302600_NS4plusIyEEEE10hipError_tPvRmT2_T3_mT4_P12ihipStream_tbEUlT_E_NS1_11comp_targetILNS1_3genE4ELNS1_11target_archE910ELNS1_3gpuE8ELNS1_3repE0EEENS1_30default_config_static_selectorELNS0_4arch9wavefront6targetE0EEEvT1_
	.p2align	8
	.type	_ZN7rocprim17ROCPRIM_400000_NS6detail17trampoline_kernelINS0_14default_configENS1_35adjacent_difference_config_selectorILb1EyEEZNS1_24adjacent_difference_implIS3_Lb1ELb0EPKyPyN6thrust23THRUST_200600_302600_NS4plusIyEEEE10hipError_tPvRmT2_T3_mT4_P12ihipStream_tbEUlT_E_NS1_11comp_targetILNS1_3genE4ELNS1_11target_archE910ELNS1_3gpuE8ELNS1_3repE0EEENS1_30default_config_static_selectorELNS0_4arch9wavefront6targetE0EEEvT1_,@function
_ZN7rocprim17ROCPRIM_400000_NS6detail17trampoline_kernelINS0_14default_configENS1_35adjacent_difference_config_selectorILb1EyEEZNS1_24adjacent_difference_implIS3_Lb1ELb0EPKyPyN6thrust23THRUST_200600_302600_NS4plusIyEEEE10hipError_tPvRmT2_T3_mT4_P12ihipStream_tbEUlT_E_NS1_11comp_targetILNS1_3genE4ELNS1_11target_archE910ELNS1_3gpuE8ELNS1_3repE0EEENS1_30default_config_static_selectorELNS0_4arch9wavefront6targetE0EEEvT1_: ; @_ZN7rocprim17ROCPRIM_400000_NS6detail17trampoline_kernelINS0_14default_configENS1_35adjacent_difference_config_selectorILb1EyEEZNS1_24adjacent_difference_implIS3_Lb1ELb0EPKyPyN6thrust23THRUST_200600_302600_NS4plusIyEEEE10hipError_tPvRmT2_T3_mT4_P12ihipStream_tbEUlT_E_NS1_11comp_targetILNS1_3genE4ELNS1_11target_archE910ELNS1_3gpuE8ELNS1_3repE0EEENS1_30default_config_static_selectorELNS0_4arch9wavefront6targetE0EEEvT1_
; %bb.0:
	.section	.rodata,"a",@progbits
	.p2align	6, 0x0
	.amdhsa_kernel _ZN7rocprim17ROCPRIM_400000_NS6detail17trampoline_kernelINS0_14default_configENS1_35adjacent_difference_config_selectorILb1EyEEZNS1_24adjacent_difference_implIS3_Lb1ELb0EPKyPyN6thrust23THRUST_200600_302600_NS4plusIyEEEE10hipError_tPvRmT2_T3_mT4_P12ihipStream_tbEUlT_E_NS1_11comp_targetILNS1_3genE4ELNS1_11target_archE910ELNS1_3gpuE8ELNS1_3repE0EEENS1_30default_config_static_selectorELNS0_4arch9wavefront6targetE0EEEvT1_
		.amdhsa_group_segment_fixed_size 0
		.amdhsa_private_segment_fixed_size 0
		.amdhsa_kernarg_size 56
		.amdhsa_user_sgpr_count 15
		.amdhsa_user_sgpr_dispatch_ptr 0
		.amdhsa_user_sgpr_queue_ptr 0
		.amdhsa_user_sgpr_kernarg_segment_ptr 1
		.amdhsa_user_sgpr_dispatch_id 0
		.amdhsa_user_sgpr_private_segment_size 0
		.amdhsa_wavefront_size32 1
		.amdhsa_uses_dynamic_stack 0
		.amdhsa_enable_private_segment 0
		.amdhsa_system_sgpr_workgroup_id_x 1
		.amdhsa_system_sgpr_workgroup_id_y 0
		.amdhsa_system_sgpr_workgroup_id_z 0
		.amdhsa_system_sgpr_workgroup_info 0
		.amdhsa_system_vgpr_workitem_id 0
		.amdhsa_next_free_vgpr 1
		.amdhsa_next_free_sgpr 1
		.amdhsa_reserve_vcc 0
		.amdhsa_float_round_mode_32 0
		.amdhsa_float_round_mode_16_64 0
		.amdhsa_float_denorm_mode_32 3
		.amdhsa_float_denorm_mode_16_64 3
		.amdhsa_dx10_clamp 1
		.amdhsa_ieee_mode 1
		.amdhsa_fp16_overflow 0
		.amdhsa_workgroup_processor_mode 1
		.amdhsa_memory_ordered 1
		.amdhsa_forward_progress 0
		.amdhsa_shared_vgpr_count 0
		.amdhsa_exception_fp_ieee_invalid_op 0
		.amdhsa_exception_fp_denorm_src 0
		.amdhsa_exception_fp_ieee_div_zero 0
		.amdhsa_exception_fp_ieee_overflow 0
		.amdhsa_exception_fp_ieee_underflow 0
		.amdhsa_exception_fp_ieee_inexact 0
		.amdhsa_exception_int_div_zero 0
	.end_amdhsa_kernel
	.section	.text._ZN7rocprim17ROCPRIM_400000_NS6detail17trampoline_kernelINS0_14default_configENS1_35adjacent_difference_config_selectorILb1EyEEZNS1_24adjacent_difference_implIS3_Lb1ELb0EPKyPyN6thrust23THRUST_200600_302600_NS4plusIyEEEE10hipError_tPvRmT2_T3_mT4_P12ihipStream_tbEUlT_E_NS1_11comp_targetILNS1_3genE4ELNS1_11target_archE910ELNS1_3gpuE8ELNS1_3repE0EEENS1_30default_config_static_selectorELNS0_4arch9wavefront6targetE0EEEvT1_,"axG",@progbits,_ZN7rocprim17ROCPRIM_400000_NS6detail17trampoline_kernelINS0_14default_configENS1_35adjacent_difference_config_selectorILb1EyEEZNS1_24adjacent_difference_implIS3_Lb1ELb0EPKyPyN6thrust23THRUST_200600_302600_NS4plusIyEEEE10hipError_tPvRmT2_T3_mT4_P12ihipStream_tbEUlT_E_NS1_11comp_targetILNS1_3genE4ELNS1_11target_archE910ELNS1_3gpuE8ELNS1_3repE0EEENS1_30default_config_static_selectorELNS0_4arch9wavefront6targetE0EEEvT1_,comdat
.Lfunc_end643:
	.size	_ZN7rocprim17ROCPRIM_400000_NS6detail17trampoline_kernelINS0_14default_configENS1_35adjacent_difference_config_selectorILb1EyEEZNS1_24adjacent_difference_implIS3_Lb1ELb0EPKyPyN6thrust23THRUST_200600_302600_NS4plusIyEEEE10hipError_tPvRmT2_T3_mT4_P12ihipStream_tbEUlT_E_NS1_11comp_targetILNS1_3genE4ELNS1_11target_archE910ELNS1_3gpuE8ELNS1_3repE0EEENS1_30default_config_static_selectorELNS0_4arch9wavefront6targetE0EEEvT1_, .Lfunc_end643-_ZN7rocprim17ROCPRIM_400000_NS6detail17trampoline_kernelINS0_14default_configENS1_35adjacent_difference_config_selectorILb1EyEEZNS1_24adjacent_difference_implIS3_Lb1ELb0EPKyPyN6thrust23THRUST_200600_302600_NS4plusIyEEEE10hipError_tPvRmT2_T3_mT4_P12ihipStream_tbEUlT_E_NS1_11comp_targetILNS1_3genE4ELNS1_11target_archE910ELNS1_3gpuE8ELNS1_3repE0EEENS1_30default_config_static_selectorELNS0_4arch9wavefront6targetE0EEEvT1_
                                        ; -- End function
	.section	.AMDGPU.csdata,"",@progbits
; Kernel info:
; codeLenInByte = 0
; NumSgprs: 0
; NumVgprs: 0
; ScratchSize: 0
; MemoryBound: 0
; FloatMode: 240
; IeeeMode: 1
; LDSByteSize: 0 bytes/workgroup (compile time only)
; SGPRBlocks: 0
; VGPRBlocks: 0
; NumSGPRsForWavesPerEU: 1
; NumVGPRsForWavesPerEU: 1
; Occupancy: 16
; WaveLimiterHint : 0
; COMPUTE_PGM_RSRC2:SCRATCH_EN: 0
; COMPUTE_PGM_RSRC2:USER_SGPR: 15
; COMPUTE_PGM_RSRC2:TRAP_HANDLER: 0
; COMPUTE_PGM_RSRC2:TGID_X_EN: 1
; COMPUTE_PGM_RSRC2:TGID_Y_EN: 0
; COMPUTE_PGM_RSRC2:TGID_Z_EN: 0
; COMPUTE_PGM_RSRC2:TIDIG_COMP_CNT: 0
	.section	.text._ZN7rocprim17ROCPRIM_400000_NS6detail17trampoline_kernelINS0_14default_configENS1_35adjacent_difference_config_selectorILb1EyEEZNS1_24adjacent_difference_implIS3_Lb1ELb0EPKyPyN6thrust23THRUST_200600_302600_NS4plusIyEEEE10hipError_tPvRmT2_T3_mT4_P12ihipStream_tbEUlT_E_NS1_11comp_targetILNS1_3genE3ELNS1_11target_archE908ELNS1_3gpuE7ELNS1_3repE0EEENS1_30default_config_static_selectorELNS0_4arch9wavefront6targetE0EEEvT1_,"axG",@progbits,_ZN7rocprim17ROCPRIM_400000_NS6detail17trampoline_kernelINS0_14default_configENS1_35adjacent_difference_config_selectorILb1EyEEZNS1_24adjacent_difference_implIS3_Lb1ELb0EPKyPyN6thrust23THRUST_200600_302600_NS4plusIyEEEE10hipError_tPvRmT2_T3_mT4_P12ihipStream_tbEUlT_E_NS1_11comp_targetILNS1_3genE3ELNS1_11target_archE908ELNS1_3gpuE7ELNS1_3repE0EEENS1_30default_config_static_selectorELNS0_4arch9wavefront6targetE0EEEvT1_,comdat
	.protected	_ZN7rocprim17ROCPRIM_400000_NS6detail17trampoline_kernelINS0_14default_configENS1_35adjacent_difference_config_selectorILb1EyEEZNS1_24adjacent_difference_implIS3_Lb1ELb0EPKyPyN6thrust23THRUST_200600_302600_NS4plusIyEEEE10hipError_tPvRmT2_T3_mT4_P12ihipStream_tbEUlT_E_NS1_11comp_targetILNS1_3genE3ELNS1_11target_archE908ELNS1_3gpuE7ELNS1_3repE0EEENS1_30default_config_static_selectorELNS0_4arch9wavefront6targetE0EEEvT1_ ; -- Begin function _ZN7rocprim17ROCPRIM_400000_NS6detail17trampoline_kernelINS0_14default_configENS1_35adjacent_difference_config_selectorILb1EyEEZNS1_24adjacent_difference_implIS3_Lb1ELb0EPKyPyN6thrust23THRUST_200600_302600_NS4plusIyEEEE10hipError_tPvRmT2_T3_mT4_P12ihipStream_tbEUlT_E_NS1_11comp_targetILNS1_3genE3ELNS1_11target_archE908ELNS1_3gpuE7ELNS1_3repE0EEENS1_30default_config_static_selectorELNS0_4arch9wavefront6targetE0EEEvT1_
	.globl	_ZN7rocprim17ROCPRIM_400000_NS6detail17trampoline_kernelINS0_14default_configENS1_35adjacent_difference_config_selectorILb1EyEEZNS1_24adjacent_difference_implIS3_Lb1ELb0EPKyPyN6thrust23THRUST_200600_302600_NS4plusIyEEEE10hipError_tPvRmT2_T3_mT4_P12ihipStream_tbEUlT_E_NS1_11comp_targetILNS1_3genE3ELNS1_11target_archE908ELNS1_3gpuE7ELNS1_3repE0EEENS1_30default_config_static_selectorELNS0_4arch9wavefront6targetE0EEEvT1_
	.p2align	8
	.type	_ZN7rocprim17ROCPRIM_400000_NS6detail17trampoline_kernelINS0_14default_configENS1_35adjacent_difference_config_selectorILb1EyEEZNS1_24adjacent_difference_implIS3_Lb1ELb0EPKyPyN6thrust23THRUST_200600_302600_NS4plusIyEEEE10hipError_tPvRmT2_T3_mT4_P12ihipStream_tbEUlT_E_NS1_11comp_targetILNS1_3genE3ELNS1_11target_archE908ELNS1_3gpuE7ELNS1_3repE0EEENS1_30default_config_static_selectorELNS0_4arch9wavefront6targetE0EEEvT1_,@function
_ZN7rocprim17ROCPRIM_400000_NS6detail17trampoline_kernelINS0_14default_configENS1_35adjacent_difference_config_selectorILb1EyEEZNS1_24adjacent_difference_implIS3_Lb1ELb0EPKyPyN6thrust23THRUST_200600_302600_NS4plusIyEEEE10hipError_tPvRmT2_T3_mT4_P12ihipStream_tbEUlT_E_NS1_11comp_targetILNS1_3genE3ELNS1_11target_archE908ELNS1_3gpuE7ELNS1_3repE0EEENS1_30default_config_static_selectorELNS0_4arch9wavefront6targetE0EEEvT1_: ; @_ZN7rocprim17ROCPRIM_400000_NS6detail17trampoline_kernelINS0_14default_configENS1_35adjacent_difference_config_selectorILb1EyEEZNS1_24adjacent_difference_implIS3_Lb1ELb0EPKyPyN6thrust23THRUST_200600_302600_NS4plusIyEEEE10hipError_tPvRmT2_T3_mT4_P12ihipStream_tbEUlT_E_NS1_11comp_targetILNS1_3genE3ELNS1_11target_archE908ELNS1_3gpuE7ELNS1_3repE0EEENS1_30default_config_static_selectorELNS0_4arch9wavefront6targetE0EEEvT1_
; %bb.0:
	.section	.rodata,"a",@progbits
	.p2align	6, 0x0
	.amdhsa_kernel _ZN7rocprim17ROCPRIM_400000_NS6detail17trampoline_kernelINS0_14default_configENS1_35adjacent_difference_config_selectorILb1EyEEZNS1_24adjacent_difference_implIS3_Lb1ELb0EPKyPyN6thrust23THRUST_200600_302600_NS4plusIyEEEE10hipError_tPvRmT2_T3_mT4_P12ihipStream_tbEUlT_E_NS1_11comp_targetILNS1_3genE3ELNS1_11target_archE908ELNS1_3gpuE7ELNS1_3repE0EEENS1_30default_config_static_selectorELNS0_4arch9wavefront6targetE0EEEvT1_
		.amdhsa_group_segment_fixed_size 0
		.amdhsa_private_segment_fixed_size 0
		.amdhsa_kernarg_size 56
		.amdhsa_user_sgpr_count 15
		.amdhsa_user_sgpr_dispatch_ptr 0
		.amdhsa_user_sgpr_queue_ptr 0
		.amdhsa_user_sgpr_kernarg_segment_ptr 1
		.amdhsa_user_sgpr_dispatch_id 0
		.amdhsa_user_sgpr_private_segment_size 0
		.amdhsa_wavefront_size32 1
		.amdhsa_uses_dynamic_stack 0
		.amdhsa_enable_private_segment 0
		.amdhsa_system_sgpr_workgroup_id_x 1
		.amdhsa_system_sgpr_workgroup_id_y 0
		.amdhsa_system_sgpr_workgroup_id_z 0
		.amdhsa_system_sgpr_workgroup_info 0
		.amdhsa_system_vgpr_workitem_id 0
		.amdhsa_next_free_vgpr 1
		.amdhsa_next_free_sgpr 1
		.amdhsa_reserve_vcc 0
		.amdhsa_float_round_mode_32 0
		.amdhsa_float_round_mode_16_64 0
		.amdhsa_float_denorm_mode_32 3
		.amdhsa_float_denorm_mode_16_64 3
		.amdhsa_dx10_clamp 1
		.amdhsa_ieee_mode 1
		.amdhsa_fp16_overflow 0
		.amdhsa_workgroup_processor_mode 1
		.amdhsa_memory_ordered 1
		.amdhsa_forward_progress 0
		.amdhsa_shared_vgpr_count 0
		.amdhsa_exception_fp_ieee_invalid_op 0
		.amdhsa_exception_fp_denorm_src 0
		.amdhsa_exception_fp_ieee_div_zero 0
		.amdhsa_exception_fp_ieee_overflow 0
		.amdhsa_exception_fp_ieee_underflow 0
		.amdhsa_exception_fp_ieee_inexact 0
		.amdhsa_exception_int_div_zero 0
	.end_amdhsa_kernel
	.section	.text._ZN7rocprim17ROCPRIM_400000_NS6detail17trampoline_kernelINS0_14default_configENS1_35adjacent_difference_config_selectorILb1EyEEZNS1_24adjacent_difference_implIS3_Lb1ELb0EPKyPyN6thrust23THRUST_200600_302600_NS4plusIyEEEE10hipError_tPvRmT2_T3_mT4_P12ihipStream_tbEUlT_E_NS1_11comp_targetILNS1_3genE3ELNS1_11target_archE908ELNS1_3gpuE7ELNS1_3repE0EEENS1_30default_config_static_selectorELNS0_4arch9wavefront6targetE0EEEvT1_,"axG",@progbits,_ZN7rocprim17ROCPRIM_400000_NS6detail17trampoline_kernelINS0_14default_configENS1_35adjacent_difference_config_selectorILb1EyEEZNS1_24adjacent_difference_implIS3_Lb1ELb0EPKyPyN6thrust23THRUST_200600_302600_NS4plusIyEEEE10hipError_tPvRmT2_T3_mT4_P12ihipStream_tbEUlT_E_NS1_11comp_targetILNS1_3genE3ELNS1_11target_archE908ELNS1_3gpuE7ELNS1_3repE0EEENS1_30default_config_static_selectorELNS0_4arch9wavefront6targetE0EEEvT1_,comdat
.Lfunc_end644:
	.size	_ZN7rocprim17ROCPRIM_400000_NS6detail17trampoline_kernelINS0_14default_configENS1_35adjacent_difference_config_selectorILb1EyEEZNS1_24adjacent_difference_implIS3_Lb1ELb0EPKyPyN6thrust23THRUST_200600_302600_NS4plusIyEEEE10hipError_tPvRmT2_T3_mT4_P12ihipStream_tbEUlT_E_NS1_11comp_targetILNS1_3genE3ELNS1_11target_archE908ELNS1_3gpuE7ELNS1_3repE0EEENS1_30default_config_static_selectorELNS0_4arch9wavefront6targetE0EEEvT1_, .Lfunc_end644-_ZN7rocprim17ROCPRIM_400000_NS6detail17trampoline_kernelINS0_14default_configENS1_35adjacent_difference_config_selectorILb1EyEEZNS1_24adjacent_difference_implIS3_Lb1ELb0EPKyPyN6thrust23THRUST_200600_302600_NS4plusIyEEEE10hipError_tPvRmT2_T3_mT4_P12ihipStream_tbEUlT_E_NS1_11comp_targetILNS1_3genE3ELNS1_11target_archE908ELNS1_3gpuE7ELNS1_3repE0EEENS1_30default_config_static_selectorELNS0_4arch9wavefront6targetE0EEEvT1_
                                        ; -- End function
	.section	.AMDGPU.csdata,"",@progbits
; Kernel info:
; codeLenInByte = 0
; NumSgprs: 0
; NumVgprs: 0
; ScratchSize: 0
; MemoryBound: 0
; FloatMode: 240
; IeeeMode: 1
; LDSByteSize: 0 bytes/workgroup (compile time only)
; SGPRBlocks: 0
; VGPRBlocks: 0
; NumSGPRsForWavesPerEU: 1
; NumVGPRsForWavesPerEU: 1
; Occupancy: 16
; WaveLimiterHint : 0
; COMPUTE_PGM_RSRC2:SCRATCH_EN: 0
; COMPUTE_PGM_RSRC2:USER_SGPR: 15
; COMPUTE_PGM_RSRC2:TRAP_HANDLER: 0
; COMPUTE_PGM_RSRC2:TGID_X_EN: 1
; COMPUTE_PGM_RSRC2:TGID_Y_EN: 0
; COMPUTE_PGM_RSRC2:TGID_Z_EN: 0
; COMPUTE_PGM_RSRC2:TIDIG_COMP_CNT: 0
	.section	.text._ZN7rocprim17ROCPRIM_400000_NS6detail17trampoline_kernelINS0_14default_configENS1_35adjacent_difference_config_selectorILb1EyEEZNS1_24adjacent_difference_implIS3_Lb1ELb0EPKyPyN6thrust23THRUST_200600_302600_NS4plusIyEEEE10hipError_tPvRmT2_T3_mT4_P12ihipStream_tbEUlT_E_NS1_11comp_targetILNS1_3genE2ELNS1_11target_archE906ELNS1_3gpuE6ELNS1_3repE0EEENS1_30default_config_static_selectorELNS0_4arch9wavefront6targetE0EEEvT1_,"axG",@progbits,_ZN7rocprim17ROCPRIM_400000_NS6detail17trampoline_kernelINS0_14default_configENS1_35adjacent_difference_config_selectorILb1EyEEZNS1_24adjacent_difference_implIS3_Lb1ELb0EPKyPyN6thrust23THRUST_200600_302600_NS4plusIyEEEE10hipError_tPvRmT2_T3_mT4_P12ihipStream_tbEUlT_E_NS1_11comp_targetILNS1_3genE2ELNS1_11target_archE906ELNS1_3gpuE6ELNS1_3repE0EEENS1_30default_config_static_selectorELNS0_4arch9wavefront6targetE0EEEvT1_,comdat
	.protected	_ZN7rocprim17ROCPRIM_400000_NS6detail17trampoline_kernelINS0_14default_configENS1_35adjacent_difference_config_selectorILb1EyEEZNS1_24adjacent_difference_implIS3_Lb1ELb0EPKyPyN6thrust23THRUST_200600_302600_NS4plusIyEEEE10hipError_tPvRmT2_T3_mT4_P12ihipStream_tbEUlT_E_NS1_11comp_targetILNS1_3genE2ELNS1_11target_archE906ELNS1_3gpuE6ELNS1_3repE0EEENS1_30default_config_static_selectorELNS0_4arch9wavefront6targetE0EEEvT1_ ; -- Begin function _ZN7rocprim17ROCPRIM_400000_NS6detail17trampoline_kernelINS0_14default_configENS1_35adjacent_difference_config_selectorILb1EyEEZNS1_24adjacent_difference_implIS3_Lb1ELb0EPKyPyN6thrust23THRUST_200600_302600_NS4plusIyEEEE10hipError_tPvRmT2_T3_mT4_P12ihipStream_tbEUlT_E_NS1_11comp_targetILNS1_3genE2ELNS1_11target_archE906ELNS1_3gpuE6ELNS1_3repE0EEENS1_30default_config_static_selectorELNS0_4arch9wavefront6targetE0EEEvT1_
	.globl	_ZN7rocprim17ROCPRIM_400000_NS6detail17trampoline_kernelINS0_14default_configENS1_35adjacent_difference_config_selectorILb1EyEEZNS1_24adjacent_difference_implIS3_Lb1ELb0EPKyPyN6thrust23THRUST_200600_302600_NS4plusIyEEEE10hipError_tPvRmT2_T3_mT4_P12ihipStream_tbEUlT_E_NS1_11comp_targetILNS1_3genE2ELNS1_11target_archE906ELNS1_3gpuE6ELNS1_3repE0EEENS1_30default_config_static_selectorELNS0_4arch9wavefront6targetE0EEEvT1_
	.p2align	8
	.type	_ZN7rocprim17ROCPRIM_400000_NS6detail17trampoline_kernelINS0_14default_configENS1_35adjacent_difference_config_selectorILb1EyEEZNS1_24adjacent_difference_implIS3_Lb1ELb0EPKyPyN6thrust23THRUST_200600_302600_NS4plusIyEEEE10hipError_tPvRmT2_T3_mT4_P12ihipStream_tbEUlT_E_NS1_11comp_targetILNS1_3genE2ELNS1_11target_archE906ELNS1_3gpuE6ELNS1_3repE0EEENS1_30default_config_static_selectorELNS0_4arch9wavefront6targetE0EEEvT1_,@function
_ZN7rocprim17ROCPRIM_400000_NS6detail17trampoline_kernelINS0_14default_configENS1_35adjacent_difference_config_selectorILb1EyEEZNS1_24adjacent_difference_implIS3_Lb1ELb0EPKyPyN6thrust23THRUST_200600_302600_NS4plusIyEEEE10hipError_tPvRmT2_T3_mT4_P12ihipStream_tbEUlT_E_NS1_11comp_targetILNS1_3genE2ELNS1_11target_archE906ELNS1_3gpuE6ELNS1_3repE0EEENS1_30default_config_static_selectorELNS0_4arch9wavefront6targetE0EEEvT1_: ; @_ZN7rocprim17ROCPRIM_400000_NS6detail17trampoline_kernelINS0_14default_configENS1_35adjacent_difference_config_selectorILb1EyEEZNS1_24adjacent_difference_implIS3_Lb1ELb0EPKyPyN6thrust23THRUST_200600_302600_NS4plusIyEEEE10hipError_tPvRmT2_T3_mT4_P12ihipStream_tbEUlT_E_NS1_11comp_targetILNS1_3genE2ELNS1_11target_archE906ELNS1_3gpuE6ELNS1_3repE0EEENS1_30default_config_static_selectorELNS0_4arch9wavefront6targetE0EEEvT1_
; %bb.0:
	.section	.rodata,"a",@progbits
	.p2align	6, 0x0
	.amdhsa_kernel _ZN7rocprim17ROCPRIM_400000_NS6detail17trampoline_kernelINS0_14default_configENS1_35adjacent_difference_config_selectorILb1EyEEZNS1_24adjacent_difference_implIS3_Lb1ELb0EPKyPyN6thrust23THRUST_200600_302600_NS4plusIyEEEE10hipError_tPvRmT2_T3_mT4_P12ihipStream_tbEUlT_E_NS1_11comp_targetILNS1_3genE2ELNS1_11target_archE906ELNS1_3gpuE6ELNS1_3repE0EEENS1_30default_config_static_selectorELNS0_4arch9wavefront6targetE0EEEvT1_
		.amdhsa_group_segment_fixed_size 0
		.amdhsa_private_segment_fixed_size 0
		.amdhsa_kernarg_size 56
		.amdhsa_user_sgpr_count 15
		.amdhsa_user_sgpr_dispatch_ptr 0
		.amdhsa_user_sgpr_queue_ptr 0
		.amdhsa_user_sgpr_kernarg_segment_ptr 1
		.amdhsa_user_sgpr_dispatch_id 0
		.amdhsa_user_sgpr_private_segment_size 0
		.amdhsa_wavefront_size32 1
		.amdhsa_uses_dynamic_stack 0
		.amdhsa_enable_private_segment 0
		.amdhsa_system_sgpr_workgroup_id_x 1
		.amdhsa_system_sgpr_workgroup_id_y 0
		.amdhsa_system_sgpr_workgroup_id_z 0
		.amdhsa_system_sgpr_workgroup_info 0
		.amdhsa_system_vgpr_workitem_id 0
		.amdhsa_next_free_vgpr 1
		.amdhsa_next_free_sgpr 1
		.amdhsa_reserve_vcc 0
		.amdhsa_float_round_mode_32 0
		.amdhsa_float_round_mode_16_64 0
		.amdhsa_float_denorm_mode_32 3
		.amdhsa_float_denorm_mode_16_64 3
		.amdhsa_dx10_clamp 1
		.amdhsa_ieee_mode 1
		.amdhsa_fp16_overflow 0
		.amdhsa_workgroup_processor_mode 1
		.amdhsa_memory_ordered 1
		.amdhsa_forward_progress 0
		.amdhsa_shared_vgpr_count 0
		.amdhsa_exception_fp_ieee_invalid_op 0
		.amdhsa_exception_fp_denorm_src 0
		.amdhsa_exception_fp_ieee_div_zero 0
		.amdhsa_exception_fp_ieee_overflow 0
		.amdhsa_exception_fp_ieee_underflow 0
		.amdhsa_exception_fp_ieee_inexact 0
		.amdhsa_exception_int_div_zero 0
	.end_amdhsa_kernel
	.section	.text._ZN7rocprim17ROCPRIM_400000_NS6detail17trampoline_kernelINS0_14default_configENS1_35adjacent_difference_config_selectorILb1EyEEZNS1_24adjacent_difference_implIS3_Lb1ELb0EPKyPyN6thrust23THRUST_200600_302600_NS4plusIyEEEE10hipError_tPvRmT2_T3_mT4_P12ihipStream_tbEUlT_E_NS1_11comp_targetILNS1_3genE2ELNS1_11target_archE906ELNS1_3gpuE6ELNS1_3repE0EEENS1_30default_config_static_selectorELNS0_4arch9wavefront6targetE0EEEvT1_,"axG",@progbits,_ZN7rocprim17ROCPRIM_400000_NS6detail17trampoline_kernelINS0_14default_configENS1_35adjacent_difference_config_selectorILb1EyEEZNS1_24adjacent_difference_implIS3_Lb1ELb0EPKyPyN6thrust23THRUST_200600_302600_NS4plusIyEEEE10hipError_tPvRmT2_T3_mT4_P12ihipStream_tbEUlT_E_NS1_11comp_targetILNS1_3genE2ELNS1_11target_archE906ELNS1_3gpuE6ELNS1_3repE0EEENS1_30default_config_static_selectorELNS0_4arch9wavefront6targetE0EEEvT1_,comdat
.Lfunc_end645:
	.size	_ZN7rocprim17ROCPRIM_400000_NS6detail17trampoline_kernelINS0_14default_configENS1_35adjacent_difference_config_selectorILb1EyEEZNS1_24adjacent_difference_implIS3_Lb1ELb0EPKyPyN6thrust23THRUST_200600_302600_NS4plusIyEEEE10hipError_tPvRmT2_T3_mT4_P12ihipStream_tbEUlT_E_NS1_11comp_targetILNS1_3genE2ELNS1_11target_archE906ELNS1_3gpuE6ELNS1_3repE0EEENS1_30default_config_static_selectorELNS0_4arch9wavefront6targetE0EEEvT1_, .Lfunc_end645-_ZN7rocprim17ROCPRIM_400000_NS6detail17trampoline_kernelINS0_14default_configENS1_35adjacent_difference_config_selectorILb1EyEEZNS1_24adjacent_difference_implIS3_Lb1ELb0EPKyPyN6thrust23THRUST_200600_302600_NS4plusIyEEEE10hipError_tPvRmT2_T3_mT4_P12ihipStream_tbEUlT_E_NS1_11comp_targetILNS1_3genE2ELNS1_11target_archE906ELNS1_3gpuE6ELNS1_3repE0EEENS1_30default_config_static_selectorELNS0_4arch9wavefront6targetE0EEEvT1_
                                        ; -- End function
	.section	.AMDGPU.csdata,"",@progbits
; Kernel info:
; codeLenInByte = 0
; NumSgprs: 0
; NumVgprs: 0
; ScratchSize: 0
; MemoryBound: 0
; FloatMode: 240
; IeeeMode: 1
; LDSByteSize: 0 bytes/workgroup (compile time only)
; SGPRBlocks: 0
; VGPRBlocks: 0
; NumSGPRsForWavesPerEU: 1
; NumVGPRsForWavesPerEU: 1
; Occupancy: 16
; WaveLimiterHint : 0
; COMPUTE_PGM_RSRC2:SCRATCH_EN: 0
; COMPUTE_PGM_RSRC2:USER_SGPR: 15
; COMPUTE_PGM_RSRC2:TRAP_HANDLER: 0
; COMPUTE_PGM_RSRC2:TGID_X_EN: 1
; COMPUTE_PGM_RSRC2:TGID_Y_EN: 0
; COMPUTE_PGM_RSRC2:TGID_Z_EN: 0
; COMPUTE_PGM_RSRC2:TIDIG_COMP_CNT: 0
	.section	.text._ZN7rocprim17ROCPRIM_400000_NS6detail17trampoline_kernelINS0_14default_configENS1_35adjacent_difference_config_selectorILb1EyEEZNS1_24adjacent_difference_implIS3_Lb1ELb0EPKyPyN6thrust23THRUST_200600_302600_NS4plusIyEEEE10hipError_tPvRmT2_T3_mT4_P12ihipStream_tbEUlT_E_NS1_11comp_targetILNS1_3genE9ELNS1_11target_archE1100ELNS1_3gpuE3ELNS1_3repE0EEENS1_30default_config_static_selectorELNS0_4arch9wavefront6targetE0EEEvT1_,"axG",@progbits,_ZN7rocprim17ROCPRIM_400000_NS6detail17trampoline_kernelINS0_14default_configENS1_35adjacent_difference_config_selectorILb1EyEEZNS1_24adjacent_difference_implIS3_Lb1ELb0EPKyPyN6thrust23THRUST_200600_302600_NS4plusIyEEEE10hipError_tPvRmT2_T3_mT4_P12ihipStream_tbEUlT_E_NS1_11comp_targetILNS1_3genE9ELNS1_11target_archE1100ELNS1_3gpuE3ELNS1_3repE0EEENS1_30default_config_static_selectorELNS0_4arch9wavefront6targetE0EEEvT1_,comdat
	.protected	_ZN7rocprim17ROCPRIM_400000_NS6detail17trampoline_kernelINS0_14default_configENS1_35adjacent_difference_config_selectorILb1EyEEZNS1_24adjacent_difference_implIS3_Lb1ELb0EPKyPyN6thrust23THRUST_200600_302600_NS4plusIyEEEE10hipError_tPvRmT2_T3_mT4_P12ihipStream_tbEUlT_E_NS1_11comp_targetILNS1_3genE9ELNS1_11target_archE1100ELNS1_3gpuE3ELNS1_3repE0EEENS1_30default_config_static_selectorELNS0_4arch9wavefront6targetE0EEEvT1_ ; -- Begin function _ZN7rocprim17ROCPRIM_400000_NS6detail17trampoline_kernelINS0_14default_configENS1_35adjacent_difference_config_selectorILb1EyEEZNS1_24adjacent_difference_implIS3_Lb1ELb0EPKyPyN6thrust23THRUST_200600_302600_NS4plusIyEEEE10hipError_tPvRmT2_T3_mT4_P12ihipStream_tbEUlT_E_NS1_11comp_targetILNS1_3genE9ELNS1_11target_archE1100ELNS1_3gpuE3ELNS1_3repE0EEENS1_30default_config_static_selectorELNS0_4arch9wavefront6targetE0EEEvT1_
	.globl	_ZN7rocprim17ROCPRIM_400000_NS6detail17trampoline_kernelINS0_14default_configENS1_35adjacent_difference_config_selectorILb1EyEEZNS1_24adjacent_difference_implIS3_Lb1ELb0EPKyPyN6thrust23THRUST_200600_302600_NS4plusIyEEEE10hipError_tPvRmT2_T3_mT4_P12ihipStream_tbEUlT_E_NS1_11comp_targetILNS1_3genE9ELNS1_11target_archE1100ELNS1_3gpuE3ELNS1_3repE0EEENS1_30default_config_static_selectorELNS0_4arch9wavefront6targetE0EEEvT1_
	.p2align	8
	.type	_ZN7rocprim17ROCPRIM_400000_NS6detail17trampoline_kernelINS0_14default_configENS1_35adjacent_difference_config_selectorILb1EyEEZNS1_24adjacent_difference_implIS3_Lb1ELb0EPKyPyN6thrust23THRUST_200600_302600_NS4plusIyEEEE10hipError_tPvRmT2_T3_mT4_P12ihipStream_tbEUlT_E_NS1_11comp_targetILNS1_3genE9ELNS1_11target_archE1100ELNS1_3gpuE3ELNS1_3repE0EEENS1_30default_config_static_selectorELNS0_4arch9wavefront6targetE0EEEvT1_,@function
_ZN7rocprim17ROCPRIM_400000_NS6detail17trampoline_kernelINS0_14default_configENS1_35adjacent_difference_config_selectorILb1EyEEZNS1_24adjacent_difference_implIS3_Lb1ELb0EPKyPyN6thrust23THRUST_200600_302600_NS4plusIyEEEE10hipError_tPvRmT2_T3_mT4_P12ihipStream_tbEUlT_E_NS1_11comp_targetILNS1_3genE9ELNS1_11target_archE1100ELNS1_3gpuE3ELNS1_3repE0EEENS1_30default_config_static_selectorELNS0_4arch9wavefront6targetE0EEEvT1_: ; @_ZN7rocprim17ROCPRIM_400000_NS6detail17trampoline_kernelINS0_14default_configENS1_35adjacent_difference_config_selectorILb1EyEEZNS1_24adjacent_difference_implIS3_Lb1ELb0EPKyPyN6thrust23THRUST_200600_302600_NS4plusIyEEEE10hipError_tPvRmT2_T3_mT4_P12ihipStream_tbEUlT_E_NS1_11comp_targetILNS1_3genE9ELNS1_11target_archE1100ELNS1_3gpuE3ELNS1_3repE0EEENS1_30default_config_static_selectorELNS0_4arch9wavefront6targetE0EEEvT1_
; %bb.0:
	s_load_b256 s[4:11], s[0:1], 0x0
	s_mov_b32 s2, 0x411a7a30
	s_mov_b32 s16, s15
	s_waitcnt lgkmcnt(0)
	s_lshl_b64 s[6:7], s[6:7], 3
	s_delay_alu instid0(SALU_CYCLE_1) | instskip(SKIP_4) | instid1(VALU_DEP_1)
	s_add_u32 s23, s4, s6
	s_addc_u32 s24, s5, s7
	s_add_u32 s2, 0x76, s2
	s_addc_u32 s3, 0, 0
	v_add_co_u32 v1, s2, 0x20000000, s2
	s_cmp_lg_u32 s2, 0
	s_addc_u32 s3, s3, 0x11a7b9
	s_delay_alu instid0(VALU_DEP_1) | instskip(SKIP_1) | instid1(VALU_DEP_1)
	v_readfirstlane_b32 s2, v1
	s_mul_i32 s4, s3, 0xfffff180
	s_mul_hi_u32 s5, s2, 0xfffff180
	s_mul_i32 s12, s2, 0xfffff180
	s_sub_i32 s5, s5, s2
	s_mul_hi_u32 s13, s2, s12
	s_add_i32 s5, s5, s4
	s_mul_hi_u32 s14, s3, s12
	s_mul_i32 s4, s3, s12
	s_mul_hi_u32 s12, s2, s5
	s_mul_i32 s2, s2, s5
	s_mul_hi_u32 s15, s3, s5
	s_add_u32 s2, s13, s2
	s_addc_u32 s12, 0, s12
	s_add_u32 s2, s2, s4
	s_mul_i32 s5, s3, s5
	s_addc_u32 s2, s12, s14
	s_addc_u32 s4, s15, 0
	s_add_u32 s2, s2, s5
	s_addc_u32 s4, 0, s4
	v_add_co_u32 v1, s2, v1, s2
	s_delay_alu instid0(VALU_DEP_1) | instskip(SKIP_1) | instid1(VALU_DEP_1)
	s_cmp_lg_u32 s2, 0
	s_addc_u32 s2, s3, s4
	v_readfirstlane_b32 s3, v1
	s_mul_i32 s5, s10, s2
	s_mul_hi_u32 s4, s10, s2
	s_mul_hi_u32 s12, s11, s2
	s_mul_i32 s2, s11, s2
	s_mul_hi_u32 s13, s10, s3
	s_mul_hi_u32 s14, s11, s3
	s_mul_i32 s3, s11, s3
	s_add_u32 s5, s13, s5
	s_addc_u32 s4, 0, s4
	s_add_u32 s3, s5, s3
	s_addc_u32 s3, s4, s14
	s_addc_u32 s4, s12, 0
	s_add_u32 s5, s3, s2
	s_addc_u32 s4, 0, s4
	s_mul_i32 s3, s5, 0xe80
	s_add_u32 s2, s5, 1
	v_sub_co_u32 v1, s3, s10, s3
	s_mul_hi_u32 s12, s5, 0xe80
	s_addc_u32 s13, s4, 0
	s_mul_i32 s14, s4, 0xe80
	s_delay_alu instid0(VALU_DEP_1)
	v_subrev_co_u32 v2, s15, 0xe80, v1
	s_add_u32 s17, s5, 2
	s_addc_u32 s18, s4, 0
	s_add_i32 s12, s12, s14
	s_cmp_lg_u32 s3, 0
	v_readfirstlane_b32 s3, v2
	s_subb_u32 s12, s11, s12
	s_cmp_lg_u32 s15, 0
	s_subb_u32 s14, s12, 0
	s_delay_alu instid0(VALU_DEP_1) | instskip(SKIP_4) | instid1(SALU_CYCLE_1)
	s_cmpk_gt_u32 s3, 0xe7f
	s_cselect_b32 s3, -1, 0
	s_cmp_eq_u32 s14, 0
	v_readfirstlane_b32 s14, v1
	s_cselect_b32 s3, s3, -1
	s_cmp_lg_u32 s3, 0
	s_cselect_b32 s15, s17, s2
	s_cselect_b32 s13, s18, s13
	s_cmpk_gt_u32 s14, 0xe7f
	s_mov_b32 s17, 0
	s_cselect_b32 s2, -1, 0
	s_cmp_eq_u32 s12, 0
	s_cselect_b32 s2, s2, -1
	s_delay_alu instid0(SALU_CYCLE_1)
	s_cmp_lg_u32 s2, 0
	s_load_b128 s[0:3], s[0:1], 0x28
	s_cselect_b32 s13, s13, s4
	s_cselect_b32 s12, s15, s5
	s_mul_i32 s4, s13, 0xe80
	s_mul_hi_u32 s5, s12, 0xe80
	s_mul_i32 s14, s12, 0xe80
	s_add_i32 s5, s5, s4
	s_sub_u32 s4, s10, s14
	s_subb_u32 s5, s11, s5
	s_delay_alu instid0(SALU_CYCLE_1) | instskip(SKIP_2) | instid1(SALU_CYCLE_1)
	s_cmp_lg_u64 s[4:5], 0
	s_mov_b32 s5, -1
	s_cselect_b32 s4, -1, 0
	v_cndmask_b32_e64 v1, 0, 1, s4
	s_delay_alu instid0(VALU_DEP_1) | instskip(NEXT) | instid1(VALU_DEP_1)
	v_readfirstlane_b32 s4, v1
	s_add_u32 s12, s12, s4
	s_addc_u32 s13, s13, 0
	s_waitcnt lgkmcnt(0)
	s_add_u32 s14, s2, s16
	s_addc_u32 s15, s3, 0
	s_add_u32 s18, s12, -1
	s_addc_u32 s19, s13, -1
	s_mul_i32 s4, s16, 0xe80
	v_cmp_ge_u64_e64 s22, s[14:15], s[18:19]
	s_mul_i32 s11, s18, 0xfffff180
	s_delay_alu instid0(VALU_DEP_1)
	s_and_b32 vcc_lo, exec_lo, s22
	s_cbranch_vccz .LBB646_60
; %bb.1:
	s_mov_b32 s5, s17
	s_add_i32 s25, s11, s10
	s_lshl_b64 s[20:21], s[4:5], 3
	s_mov_b32 s5, exec_lo
	s_add_u32 s20, s23, s20
	s_addc_u32 s21, s24, s21
                                        ; implicit-def: $vgpr1_vgpr2
	v_cmpx_gt_u32_e64 s25, v0
	s_cbranch_execz .LBB646_3
; %bb.2:
	v_lshlrev_b32_e32 v1, 3, v0
	global_load_b64 v[1:2], v1, s[20:21]
.LBB646_3:
	s_or_b32 exec_lo, exec_lo, s5
	v_or_b32_e32 v3, 0x80, v0
	s_delay_alu instid0(VALU_DEP_1)
	v_cmp_gt_u32_e32 vcc_lo, s25, v3
                                        ; implicit-def: $vgpr3_vgpr4
	s_and_saveexec_b32 s5, vcc_lo
	s_cbranch_execz .LBB646_5
; %bb.4:
	v_lshlrev_b32_e32 v3, 3, v0
	global_load_b64 v[3:4], v3, s[20:21] offset:1024
.LBB646_5:
	s_or_b32 exec_lo, exec_lo, s5
	v_or_b32_e32 v5, 0x100, v0
	s_delay_alu instid0(VALU_DEP_1)
	v_cmp_gt_u32_e32 vcc_lo, s25, v5
                                        ; implicit-def: $vgpr5_vgpr6
	s_and_saveexec_b32 s5, vcc_lo
	s_cbranch_execz .LBB646_7
; %bb.6:
	v_lshlrev_b32_e32 v5, 3, v0
	global_load_b64 v[5:6], v5, s[20:21] offset:2048
.LBB646_7:
	s_or_b32 exec_lo, exec_lo, s5
	v_or_b32_e32 v7, 0x180, v0
	s_delay_alu instid0(VALU_DEP_1)
	v_cmp_gt_u32_e32 vcc_lo, s25, v7
                                        ; implicit-def: $vgpr7_vgpr8
	s_and_saveexec_b32 s5, vcc_lo
	s_cbranch_execz .LBB646_9
; %bb.8:
	v_lshlrev_b32_e32 v7, 3, v0
	global_load_b64 v[7:8], v7, s[20:21] offset:3072
.LBB646_9:
	s_or_b32 exec_lo, exec_lo, s5
	v_or_b32_e32 v11, 0x200, v0
	s_mov_b32 s5, exec_lo
                                        ; implicit-def: $vgpr9_vgpr10
	s_delay_alu instid0(VALU_DEP_1)
	v_cmpx_gt_u32_e64 s25, v11
	s_cbranch_execz .LBB646_11
; %bb.10:
	v_lshlrev_b32_e32 v9, 3, v11
	global_load_b64 v[9:10], v9, s[20:21]
.LBB646_11:
	s_or_b32 exec_lo, exec_lo, s5
	v_or_b32_e32 v13, 0x280, v0
	s_mov_b32 s5, exec_lo
                                        ; implicit-def: $vgpr11_vgpr12
	s_delay_alu instid0(VALU_DEP_1)
	v_cmpx_gt_u32_e64 s25, v13
	s_cbranch_execz .LBB646_13
; %bb.12:
	v_lshlrev_b32_e32 v11, 3, v13
	global_load_b64 v[11:12], v11, s[20:21]
.LBB646_13:
	s_or_b32 exec_lo, exec_lo, s5
	v_or_b32_e32 v15, 0x300, v0
	s_mov_b32 s5, exec_lo
                                        ; implicit-def: $vgpr13_vgpr14
	s_delay_alu instid0(VALU_DEP_1)
	v_cmpx_gt_u32_e64 s25, v15
	s_cbranch_execz .LBB646_15
; %bb.14:
	v_lshlrev_b32_e32 v13, 3, v15
	global_load_b64 v[13:14], v13, s[20:21]
.LBB646_15:
	s_or_b32 exec_lo, exec_lo, s5
	v_or_b32_e32 v17, 0x380, v0
	s_mov_b32 s5, exec_lo
                                        ; implicit-def: $vgpr15_vgpr16
	s_delay_alu instid0(VALU_DEP_1)
	v_cmpx_gt_u32_e64 s25, v17
	s_cbranch_execz .LBB646_17
; %bb.16:
	v_lshlrev_b32_e32 v15, 3, v17
	global_load_b64 v[15:16], v15, s[20:21]
.LBB646_17:
	s_or_b32 exec_lo, exec_lo, s5
	v_or_b32_e32 v19, 0x400, v0
	s_mov_b32 s5, exec_lo
                                        ; implicit-def: $vgpr17_vgpr18
	s_delay_alu instid0(VALU_DEP_1)
	v_cmpx_gt_u32_e64 s25, v19
	s_cbranch_execz .LBB646_19
; %bb.18:
	v_lshlrev_b32_e32 v17, 3, v19
	global_load_b64 v[17:18], v17, s[20:21]
.LBB646_19:
	s_or_b32 exec_lo, exec_lo, s5
	v_or_b32_e32 v21, 0x480, v0
	s_mov_b32 s5, exec_lo
                                        ; implicit-def: $vgpr19_vgpr20
	s_delay_alu instid0(VALU_DEP_1)
	v_cmpx_gt_u32_e64 s25, v21
	s_cbranch_execz .LBB646_21
; %bb.20:
	v_lshlrev_b32_e32 v19, 3, v21
	global_load_b64 v[19:20], v19, s[20:21]
.LBB646_21:
	s_or_b32 exec_lo, exec_lo, s5
	v_or_b32_e32 v23, 0x500, v0
	s_mov_b32 s5, exec_lo
                                        ; implicit-def: $vgpr21_vgpr22
	s_delay_alu instid0(VALU_DEP_1)
	v_cmpx_gt_u32_e64 s25, v23
	s_cbranch_execz .LBB646_23
; %bb.22:
	v_lshlrev_b32_e32 v21, 3, v23
	global_load_b64 v[21:22], v21, s[20:21]
.LBB646_23:
	s_or_b32 exec_lo, exec_lo, s5
	v_or_b32_e32 v25, 0x580, v0
	s_mov_b32 s5, exec_lo
                                        ; implicit-def: $vgpr23_vgpr24
	s_delay_alu instid0(VALU_DEP_1)
	v_cmpx_gt_u32_e64 s25, v25
	s_cbranch_execz .LBB646_25
; %bb.24:
	v_lshlrev_b32_e32 v23, 3, v25
	global_load_b64 v[23:24], v23, s[20:21]
.LBB646_25:
	s_or_b32 exec_lo, exec_lo, s5
	v_or_b32_e32 v27, 0x600, v0
	s_mov_b32 s5, exec_lo
                                        ; implicit-def: $vgpr25_vgpr26
	s_delay_alu instid0(VALU_DEP_1)
	v_cmpx_gt_u32_e64 s25, v27
	s_cbranch_execz .LBB646_27
; %bb.26:
	v_lshlrev_b32_e32 v25, 3, v27
	global_load_b64 v[25:26], v25, s[20:21]
.LBB646_27:
	s_or_b32 exec_lo, exec_lo, s5
	v_or_b32_e32 v29, 0x680, v0
	s_mov_b32 s5, exec_lo
                                        ; implicit-def: $vgpr27_vgpr28
	s_delay_alu instid0(VALU_DEP_1)
	v_cmpx_gt_u32_e64 s25, v29
	s_cbranch_execz .LBB646_29
; %bb.28:
	v_lshlrev_b32_e32 v27, 3, v29
	global_load_b64 v[27:28], v27, s[20:21]
.LBB646_29:
	s_or_b32 exec_lo, exec_lo, s5
	v_or_b32_e32 v31, 0x700, v0
	s_mov_b32 s5, exec_lo
                                        ; implicit-def: $vgpr29_vgpr30
	s_delay_alu instid0(VALU_DEP_1)
	v_cmpx_gt_u32_e64 s25, v31
	s_cbranch_execz .LBB646_31
; %bb.30:
	v_lshlrev_b32_e32 v29, 3, v31
	global_load_b64 v[29:30], v29, s[20:21]
.LBB646_31:
	s_or_b32 exec_lo, exec_lo, s5
	v_or_b32_e32 v33, 0x780, v0
	s_mov_b32 s5, exec_lo
                                        ; implicit-def: $vgpr31_vgpr32
	s_delay_alu instid0(VALU_DEP_1)
	v_cmpx_gt_u32_e64 s25, v33
	s_cbranch_execz .LBB646_33
; %bb.32:
	v_lshlrev_b32_e32 v31, 3, v33
	global_load_b64 v[31:32], v31, s[20:21]
.LBB646_33:
	s_or_b32 exec_lo, exec_lo, s5
	v_or_b32_e32 v35, 0x800, v0
	s_mov_b32 s5, exec_lo
                                        ; implicit-def: $vgpr33_vgpr34
	s_delay_alu instid0(VALU_DEP_1)
	v_cmpx_gt_u32_e64 s25, v35
	s_cbranch_execz .LBB646_35
; %bb.34:
	v_lshlrev_b32_e32 v33, 3, v35
	global_load_b64 v[33:34], v33, s[20:21]
.LBB646_35:
	s_or_b32 exec_lo, exec_lo, s5
	v_or_b32_e32 v37, 0x880, v0
	s_mov_b32 s5, exec_lo
                                        ; implicit-def: $vgpr35_vgpr36
	s_delay_alu instid0(VALU_DEP_1)
	v_cmpx_gt_u32_e64 s25, v37
	s_cbranch_execz .LBB646_37
; %bb.36:
	v_lshlrev_b32_e32 v35, 3, v37
	global_load_b64 v[35:36], v35, s[20:21]
.LBB646_37:
	s_or_b32 exec_lo, exec_lo, s5
	v_or_b32_e32 v39, 0x900, v0
	s_mov_b32 s5, exec_lo
                                        ; implicit-def: $vgpr37_vgpr38
	s_delay_alu instid0(VALU_DEP_1)
	v_cmpx_gt_u32_e64 s25, v39
	s_cbranch_execz .LBB646_39
; %bb.38:
	v_lshlrev_b32_e32 v37, 3, v39
	global_load_b64 v[37:38], v37, s[20:21]
.LBB646_39:
	s_or_b32 exec_lo, exec_lo, s5
	v_or_b32_e32 v41, 0x980, v0
	s_mov_b32 s5, exec_lo
                                        ; implicit-def: $vgpr39_vgpr40
	s_delay_alu instid0(VALU_DEP_1)
	v_cmpx_gt_u32_e64 s25, v41
	s_cbranch_execz .LBB646_41
; %bb.40:
	v_lshlrev_b32_e32 v39, 3, v41
	global_load_b64 v[39:40], v39, s[20:21]
.LBB646_41:
	s_or_b32 exec_lo, exec_lo, s5
	v_or_b32_e32 v43, 0xa00, v0
	s_mov_b32 s5, exec_lo
                                        ; implicit-def: $vgpr41_vgpr42
	s_delay_alu instid0(VALU_DEP_1)
	v_cmpx_gt_u32_e64 s25, v43
	s_cbranch_execz .LBB646_43
; %bb.42:
	v_lshlrev_b32_e32 v41, 3, v43
	global_load_b64 v[41:42], v41, s[20:21]
.LBB646_43:
	s_or_b32 exec_lo, exec_lo, s5
	v_or_b32_e32 v45, 0xa80, v0
	s_mov_b32 s5, exec_lo
                                        ; implicit-def: $vgpr43_vgpr44
	s_delay_alu instid0(VALU_DEP_1)
	v_cmpx_gt_u32_e64 s25, v45
	s_cbranch_execz .LBB646_45
; %bb.44:
	v_lshlrev_b32_e32 v43, 3, v45
	global_load_b64 v[43:44], v43, s[20:21]
.LBB646_45:
	s_or_b32 exec_lo, exec_lo, s5
	v_or_b32_e32 v47, 0xb00, v0
	s_mov_b32 s5, exec_lo
                                        ; implicit-def: $vgpr45_vgpr46
	s_delay_alu instid0(VALU_DEP_1)
	v_cmpx_gt_u32_e64 s25, v47
	s_cbranch_execz .LBB646_47
; %bb.46:
	v_lshlrev_b32_e32 v45, 3, v47
	global_load_b64 v[45:46], v45, s[20:21]
.LBB646_47:
	s_or_b32 exec_lo, exec_lo, s5
	v_or_b32_e32 v49, 0xb80, v0
	s_mov_b32 s5, exec_lo
                                        ; implicit-def: $vgpr47_vgpr48
	s_delay_alu instid0(VALU_DEP_1)
	v_cmpx_gt_u32_e64 s25, v49
	s_cbranch_execz .LBB646_49
; %bb.48:
	v_lshlrev_b32_e32 v47, 3, v49
	global_load_b64 v[47:48], v47, s[20:21]
.LBB646_49:
	s_or_b32 exec_lo, exec_lo, s5
	v_or_b32_e32 v51, 0xc00, v0
	s_mov_b32 s5, exec_lo
                                        ; implicit-def: $vgpr49_vgpr50
	s_delay_alu instid0(VALU_DEP_1)
	v_cmpx_gt_u32_e64 s25, v51
	s_cbranch_execz .LBB646_51
; %bb.50:
	v_lshlrev_b32_e32 v49, 3, v51
	global_load_b64 v[49:50], v49, s[20:21]
.LBB646_51:
	s_or_b32 exec_lo, exec_lo, s5
	v_or_b32_e32 v53, 0xc80, v0
	s_mov_b32 s5, exec_lo
                                        ; implicit-def: $vgpr51_vgpr52
	s_delay_alu instid0(VALU_DEP_1)
	v_cmpx_gt_u32_e64 s25, v53
	s_cbranch_execz .LBB646_53
; %bb.52:
	v_lshlrev_b32_e32 v51, 3, v53
	global_load_b64 v[51:52], v51, s[20:21]
.LBB646_53:
	s_or_b32 exec_lo, exec_lo, s5
	v_or_b32_e32 v55, 0xd00, v0
	s_mov_b32 s5, exec_lo
                                        ; implicit-def: $vgpr53_vgpr54
	s_delay_alu instid0(VALU_DEP_1)
	v_cmpx_gt_u32_e64 s25, v55
	s_cbranch_execz .LBB646_55
; %bb.54:
	v_lshlrev_b32_e32 v53, 3, v55
	global_load_b64 v[53:54], v53, s[20:21]
.LBB646_55:
	s_or_b32 exec_lo, exec_lo, s5
	v_or_b32_e32 v57, 0xd80, v0
	s_mov_b32 s5, exec_lo
                                        ; implicit-def: $vgpr55_vgpr56
	s_delay_alu instid0(VALU_DEP_1)
	v_cmpx_gt_u32_e64 s25, v57
	s_cbranch_execz .LBB646_57
; %bb.56:
	v_lshlrev_b32_e32 v55, 3, v57
	global_load_b64 v[55:56], v55, s[20:21]
.LBB646_57:
	s_or_b32 exec_lo, exec_lo, s5
	v_or_b32_e32 v59, 0xe00, v0
	s_mov_b32 s5, exec_lo
                                        ; implicit-def: $vgpr57_vgpr58
	s_delay_alu instid0(VALU_DEP_1)
	v_cmpx_gt_u32_e64 s25, v59
	s_cbranch_execz .LBB646_59
; %bb.58:
	v_lshlrev_b32_e32 v57, 3, v59
	global_load_b64 v[57:58], v57, s[20:21]
.LBB646_59:
	s_or_b32 exec_lo, exec_lo, s5
	v_lshlrev_b32_e32 v59, 3, v0
	s_mov_b32 s5, 0
	s_waitcnt vmcnt(0)
	ds_store_2addr_stride64_b64 v59, v[1:2], v[3:4] offset1:2
	ds_store_2addr_stride64_b64 v59, v[5:6], v[7:8] offset0:4 offset1:6
	ds_store_2addr_stride64_b64 v59, v[9:10], v[11:12] offset0:8 offset1:10
	;; [unrolled: 1-line block ×13, first 2 shown]
	ds_store_b64 v59, v[57:58] offset:28672
	s_waitcnt lgkmcnt(0)
	s_barrier
.LBB646_60:
	v_lshlrev_b32_e32 v117, 3, v0
	s_and_b32 vcc_lo, exec_lo, s5
	s_cbranch_vccz .LBB646_62
; %bb.61:
	s_mov_b32 s5, 0
	s_delay_alu instid0(SALU_CYCLE_1) | instskip(NEXT) | instid1(SALU_CYCLE_1)
	s_lshl_b64 s[20:21], s[4:5], 3
	s_add_u32 s20, s23, s20
	s_addc_u32 s21, s24, s21
	v_add_co_u32 v49, s5, s20, v117
	s_delay_alu instid0(VALU_DEP_1)
	v_add_co_ci_u32_e64 v50, null, s21, 0, s5
	s_clause 0x3
	global_load_b64 v[1:2], v117, s[20:21]
	global_load_b64 v[3:4], v117, s[20:21] offset:1024
	global_load_b64 v[5:6], v117, s[20:21] offset:2048
	;; [unrolled: 1-line block ×3, first 2 shown]
	v_add_co_u32 v9, vcc_lo, 0x1000, v49
	v_add_co_ci_u32_e32 v10, vcc_lo, 0, v50, vcc_lo
	v_add_co_u32 v11, vcc_lo, v49, 0x2000
	v_add_co_ci_u32_e32 v12, vcc_lo, 0, v50, vcc_lo
	;; [unrolled: 2-line block ×10, first 2 shown]
	s_clause 0x18
	global_load_b64 v[15:16], v[11:12], off offset:-4096
	global_load_b64 v[17:18], v[9:10], off offset:1024
	global_load_b64 v[19:20], v[9:10], off offset:2048
	;; [unrolled: 1-line block ×12, first 2 shown]
	global_load_b64 v[11:12], v[11:12], off
	global_load_b64 v[43:44], v[25:26], off offset:-4096
	global_load_b64 v[25:26], v[25:26], off
	global_load_b64 v[45:46], v[39:40], off offset:-4096
	global_load_b64 v[39:40], v[39:40], off
	global_load_b64 v[51:52], v[41:42], off offset:1024
	global_load_b64 v[53:54], v[41:42], off offset:2048
	;; [unrolled: 1-line block ×6, first 2 shown]
	global_load_b64 v[49:50], v[49:50], off
	s_waitcnt vmcnt(27)
	ds_store_2addr_stride64_b64 v117, v[1:2], v[3:4] offset1:2
	s_waitcnt vmcnt(25)
	ds_store_2addr_stride64_b64 v117, v[5:6], v[7:8] offset0:4 offset1:6
	s_waitcnt vmcnt(23)
	ds_store_2addr_stride64_b64 v117, v[15:16], v[17:18] offset0:8 offset1:10
	;; [unrolled: 2-line block ×4, first 2 shown]
	ds_store_2addr_stride64_b64 v117, v[29:30], v[13:14] offset0:20 offset1:22
	s_waitcnt vmcnt(10)
	ds_store_2addr_stride64_b64 v117, v[43:44], v[31:32] offset0:24 offset1:26
	ds_store_2addr_stride64_b64 v117, v[33:34], v[23:24] offset0:28 offset1:30
	s_waitcnt vmcnt(9)
	ds_store_2addr_stride64_b64 v117, v[25:26], v[35:36] offset0:32 offset1:34
	ds_store_2addr_stride64_b64 v117, v[37:38], v[27:28] offset0:36 offset1:38
	s_waitcnt vmcnt(6)
	ds_store_2addr_stride64_b64 v117, v[45:46], v[51:52] offset0:40 offset1:42
	s_waitcnt vmcnt(4)
	ds_store_2addr_stride64_b64 v117, v[53:54], v[41:42] offset0:44 offset1:46
	s_waitcnt vmcnt(3)
	ds_store_2addr_stride64_b64 v117, v[39:40], v[55:56] offset0:48 offset1:50
	;; [unrolled: 2-line block ×3, first 2 shown]
	s_waitcnt vmcnt(0)
	ds_store_b64 v117, v[49:50] offset:28672
	s_waitcnt lgkmcnt(0)
	s_barrier
.LBB646_62:
	v_mul_u32_u24_e32 v1, 29, v0
	buffer_gl0_inv
	s_cmp_eq_u64 s[14:15], 0
	v_lshlrev_b32_e32 v53, 3, v1
	ds_load_b64 v[57:58], v53 offset:224
	ds_load_2addr_b64 v[1:4], v53 offset0:26 offset1:27
	ds_load_2addr_b64 v[5:8], v53 offset0:24 offset1:25
	ds_load_2addr_b64 v[9:12], v53 offset1:1
	ds_load_2addr_b64 v[13:16], v53 offset0:2 offset1:3
	ds_load_2addr_b64 v[17:20], v53 offset0:4 offset1:5
	;; [unrolled: 1-line block ×11, first 2 shown]
	s_waitcnt lgkmcnt(0)
	s_barrier
	buffer_gl0_inv
	s_cbranch_scc1 .LBB646_67
; %bb.63:
	s_lshl_b64 s[2:3], s[2:3], 3
	s_delay_alu instid0(SALU_CYCLE_1) | instskip(SKIP_2) | instid1(SALU_CYCLE_1)
	s_add_u32 s2, s0, s2
	s_addc_u32 s3, s1, s3
	s_lshl_b64 s[0:1], s[16:17], 3
	s_add_u32 s0, s2, s0
	s_addc_u32 s1, s3, s1
	s_add_u32 s0, s0, -8
	s_addc_u32 s1, s1, -1
	s_cmp_eq_u64 s[14:15], s[18:19]
	s_load_b64 s[0:1], s[0:1], 0x0
	s_cbranch_scc1 .LBB646_68
; %bb.64:
	s_waitcnt lgkmcnt(0)
	v_dual_mov_b32 v60, s1 :: v_dual_mov_b32 v59, s0
	s_mov_b32 s2, 0
	s_mov_b32 s3, exec_lo
	ds_store_b64 v117, v[57:58]
	s_waitcnt lgkmcnt(0)
	s_barrier
	buffer_gl0_inv
	v_cmpx_ne_u32_e32 0, v0
	s_cbranch_execz .LBB646_66
; %bb.65:
	v_add_nc_u32_e32 v59, -8, v117
	ds_load_b64 v[59:60], v59
.LBB646_66:
	s_or_b32 exec_lo, exec_lo, s3
	s_waitcnt lgkmcnt(0)
	v_add_co_u32 v59, vcc_lo, v59, v9
	v_add_co_ci_u32_e32 v60, vcc_lo, v60, v10, vcc_lo
	s_branch .LBB646_69
.LBB646_67:
                                        ; implicit-def: $vgpr59_vgpr60
                                        ; implicit-def: $vgpr115_vgpr116
                                        ; implicit-def: $vgpr109_vgpr110
                                        ; implicit-def: $vgpr113_vgpr114
                                        ; implicit-def: $vgpr103_vgpr104
                                        ; implicit-def: $vgpr111_vgpr112
                                        ; implicit-def: $vgpr99_vgpr100
                                        ; implicit-def: $vgpr107_vgpr108
                                        ; implicit-def: $vgpr97_vgpr98
                                        ; implicit-def: $vgpr105_vgpr106
                                        ; implicit-def: $vgpr95_vgpr96
                                        ; implicit-def: $vgpr101_vgpr102
                                        ; implicit-def: $vgpr93_vgpr94
                                        ; implicit-def: $vgpr91_vgpr92
                                        ; implicit-def: $vgpr89_vgpr90
                                        ; implicit-def: $vgpr87_vgpr88
                                        ; implicit-def: $vgpr85_vgpr86
                                        ; implicit-def: $vgpr83_vgpr84
                                        ; implicit-def: $vgpr81_vgpr82
                                        ; implicit-def: $vgpr79_vgpr80
                                        ; implicit-def: $vgpr77_vgpr78
                                        ; implicit-def: $vgpr75_vgpr76
                                        ; implicit-def: $vgpr73_vgpr74
                                        ; implicit-def: $vgpr69_vgpr70
                                        ; implicit-def: $vgpr67_vgpr68
                                        ; implicit-def: $vgpr65_vgpr66
                                        ; implicit-def: $vgpr63_vgpr64
                                        ; implicit-def: $vgpr61_vgpr62
                                        ; implicit-def: $vgpr71_vgpr72
	s_branch .LBB646_74
.LBB646_68:
	s_mov_b32 s2, -1
                                        ; implicit-def: $vgpr59_vgpr60
.LBB646_69:
	v_dual_mov_b32 v116, v10 :: v_dual_mov_b32 v115, v9
	v_dual_mov_b32 v110, v12 :: v_dual_mov_b32 v109, v11
	;; [unrolled: 1-line block ×28, first 2 shown]
	s_and_b32 vcc_lo, exec_lo, s2
	s_cbranch_vccz .LBB646_73
; %bb.70:
	v_mul_u32_u24_e32 v109, 29, v0
	s_waitcnt lgkmcnt(0)
	v_dual_mov_b32 v60, s1 :: v_dual_mov_b32 v59, s0
	s_mov_b32 s0, exec_lo
	ds_store_b64 v117, v[57:58]
	s_waitcnt lgkmcnt(0)
	s_barrier
	buffer_gl0_inv
	v_cmpx_ne_u32_e32 0, v0
	s_cbranch_execz .LBB646_72
; %bb.71:
	v_add_nc_u32_e32 v59, -8, v117
	ds_load_b64 v[59:60], v59
.LBB646_72:
	s_or_b32 exec_lo, exec_lo, s0
	v_add_nc_u32_e32 v61, 28, v109
	s_mul_i32 s1, s14, 0xfffff180
	v_add_nc_u32_e32 v63, 26, v109
	s_add_i32 s1, s1, s10
	v_add_nc_u32_e32 v67, 24, v109
	v_cmp_gt_u32_e32 vcc_lo, s1, v61
	v_add_nc_u32_e32 v62, 27, v109
	v_add_nc_u32_e32 v73, 22, v109
	;; [unrolled: 1-line block ×3, first 2 shown]
	v_dual_cndmask_b32 v72, 0, v4 :: v_dual_add_nc_u32 v81, 18, v109
	v_cndmask_b32_e32 v71, 0, v3, vcc_lo
	v_cmp_gt_u32_e32 vcc_lo, s1, v63
	v_add_nc_u32_e32 v85, 16, v109
	v_cmp_gt_u32_e64 s0, s1, v62
	v_add_nc_u32_e32 v89, 14, v109
	v_dual_cndmask_b32 v64, 0, v8 :: v_dual_add_nc_u32 v93, 12, v109
	v_cndmask_b32_e32 v63, 0, v7, vcc_lo
	v_cmp_gt_u32_e32 vcc_lo, s1, v67
	v_add_nc_u32_e32 v65, 25, v109
	v_cndmask_b32_e64 v62, 0, v2, s0
	v_cndmask_b32_e64 v61, 0, v1, s0
	v_dual_cndmask_b32 v68, 0, v56 :: v_dual_add_nc_u32 v79, 19, v109
	v_cndmask_b32_e32 v67, 0, v55, vcc_lo
	v_cmp_gt_u32_e32 vcc_lo, s1, v73
	v_cmp_gt_u32_e64 s0, s1, v65
	v_add_nc_u32_e32 v83, 17, v109
	v_add_nc_u32_e32 v87, 15, v109
	v_dual_cndmask_b32 v74, 0, v52 :: v_dual_add_nc_u32 v91, 13, v109
	v_dual_cndmask_b32 v73, 0, v51 :: v_dual_add_nc_u32 v96, 10, v109
	v_cmp_gt_u32_e32 vcc_lo, s1, v77
	v_cndmask_b32_e64 v66, 0, v6, s0
	v_cndmask_b32_e64 v65, 0, v5, s0
	v_add_nc_u32_e32 v95, 11, v109
	v_dual_cndmask_b32 v78, 0, v48 :: v_dual_add_nc_u32 v97, 8, v109
	v_dual_cndmask_b32 v77, 0, v47 :: v_dual_add_nc_u32 v100, 6, v109
	v_cmp_gt_u32_e32 vcc_lo, s1, v81
	v_add_nc_u32_e32 v69, 23, v109
	v_add_nc_u32_e32 v99, 7, v109
	;; [unrolled: 1-line block ×4, first 2 shown]
	v_dual_cndmask_b32 v82, 0, v44 :: v_dual_cndmask_b32 v81, 0, v43
	v_cmp_gt_u32_e32 vcc_lo, s1, v85
	v_cmp_gt_u32_e64 s0, s1, v69
	v_dual_cndmask_b32 v86, 0, v40 :: v_dual_add_nc_u32 v115, 1, v109
	v_cndmask_b32_e32 v85, 0, v39, vcc_lo
	v_cmp_gt_u32_e32 vcc_lo, s1, v89
	s_delay_alu instid0(VALU_DEP_4) | instskip(SKIP_4) | instid1(VALU_DEP_1)
	v_cndmask_b32_e64 v70, 0, v54, s0
	v_cndmask_b32_e64 v69, 0, v53, s0
	v_dual_cndmask_b32 v90, 0, v36 :: v_dual_cndmask_b32 v89, 0, v35
	v_cmp_gt_u32_e32 vcc_lo, s1, v93
	v_dual_cndmask_b32 v94, 0, v32 :: v_dual_add_nc_u32 v75, 21, v109
	v_cmp_gt_u32_e64 s0, s1, v75
	v_cndmask_b32_e32 v93, 0, v31, vcc_lo
	v_cmp_gt_u32_e32 vcc_lo, s1, v96
	s_delay_alu instid0(VALU_DEP_3) | instskip(SKIP_3) | instid1(VALU_DEP_2)
	v_cndmask_b32_e64 v76, 0, v50, s0
	v_cndmask_b32_e64 v75, 0, v49, s0
	v_cmp_gt_u32_e64 s0, s1, v79
	v_cndmask_b32_e32 v96, 0, v28, vcc_lo
	v_cndmask_b32_e64 v80, 0, v46, s0
	v_cndmask_b32_e64 v79, 0, v45, s0
	v_cmp_gt_u32_e64 s0, s1, v83
	s_delay_alu instid0(VALU_DEP_1) | instskip(SKIP_2) | instid1(VALU_DEP_1)
	v_cndmask_b32_e64 v84, 0, v42, s0
	v_cndmask_b32_e64 v83, 0, v41, s0
	v_cmp_gt_u32_e64 s0, s1, v87
	v_cndmask_b32_e64 v88, 0, v38, s0
	v_cndmask_b32_e64 v87, 0, v37, s0
	v_cmp_gt_u32_e64 s0, s1, v91
	s_delay_alu instid0(VALU_DEP_1) | instskip(SKIP_3) | instid1(VALU_DEP_2)
	v_cndmask_b32_e64 v92, 0, v34, s0
	v_cndmask_b32_e64 v91, 0, v33, s0
	v_cmp_gt_u32_e64 s0, s1, v95
	v_add_nc_u32_e32 v95, 9, v109
	v_cndmask_b32_e64 v102, 0, v30, s0
	v_cndmask_b32_e64 v101, 0, v29, s0
	s_delay_alu instid0(VALU_DEP_3) | instskip(SKIP_2) | instid1(VALU_DEP_3)
	v_cmp_gt_u32_e64 s0, s1, v95
	v_cndmask_b32_e32 v95, 0, v27, vcc_lo
	v_cmp_gt_u32_e32 vcc_lo, s1, v97
	v_cndmask_b32_e64 v106, 0, v26, s0
	v_cndmask_b32_e64 v105, 0, v25, s0
	v_cndmask_b32_e32 v98, 0, v24, vcc_lo
	v_cmp_gt_u32_e64 s0, s1, v99
	v_cndmask_b32_e32 v97, 0, v23, vcc_lo
	v_add_nc_u32_e32 v99, 5, v109
	v_cmp_gt_u32_e32 vcc_lo, s1, v100
	s_delay_alu instid0(VALU_DEP_4) | instskip(SKIP_1) | instid1(VALU_DEP_4)
	v_cndmask_b32_e64 v108, 0, v22, s0
	v_cndmask_b32_e64 v107, 0, v21, s0
	v_cmp_gt_u32_e64 s0, s1, v99
	v_dual_cndmask_b32 v100, 0, v20 :: v_dual_cndmask_b32 v99, 0, v19
	v_cmp_gt_u32_e32 vcc_lo, s1, v103
	s_delay_alu instid0(VALU_DEP_3)
	v_cndmask_b32_e64 v112, 0, v18, s0
	v_cndmask_b32_e64 v111, 0, v17, s0
	v_cmp_gt_u32_e64 s0, s1, v110
	v_dual_cndmask_b32 v104, 0, v16 :: v_dual_cndmask_b32 v103, 0, v15
	v_cmp_gt_u32_e32 vcc_lo, s1, v109
	v_add_nc_u32_e32 v110, 2, v109
	s_delay_alu instid0(VALU_DEP_4)
	v_cndmask_b32_e64 v114, 0, v14, s0
	v_cndmask_b32_e64 v113, 0, v13, s0
	s_waitcnt lgkmcnt(0)
	v_cndmask_b32_e32 v59, 0, v59, vcc_lo
	v_cmp_gt_u32_e64 s0, s1, v110
	v_cmp_gt_u32_e64 s1, s1, v115
	v_cndmask_b32_e32 v60, 0, v60, vcc_lo
	s_delay_alu instid0(VALU_DEP_4) | instskip(NEXT) | instid1(VALU_DEP_4)
	v_add_co_u32 v59, vcc_lo, v59, v9
	v_cndmask_b32_e64 v110, 0, v12, s0
	v_cndmask_b32_e64 v109, 0, v11, s0
	;; [unrolled: 1-line block ×4, first 2 shown]
	v_add_co_ci_u32_e32 v60, vcc_lo, v60, v10, vcc_lo
.LBB646_73:
	s_waitcnt lgkmcnt(0)
	s_cbranch_execnz .LBB646_84
.LBB646_74:
	v_cmp_ne_u32_e32 vcc_lo, 0, v0
	s_cmp_eq_u64 s[12:13], 1
	s_cbranch_scc1 .LBB646_78
; %bb.75:
	v_dual_mov_b32 v60, v10 :: v_dual_mov_b32 v59, v9
	s_mov_b32 s0, 0
	ds_store_b64 v117, v[57:58]
	s_waitcnt lgkmcnt(0)
	s_barrier
	buffer_gl0_inv
	s_and_saveexec_b32 s1, vcc_lo
	s_cbranch_execz .LBB646_77
; %bb.76:
	v_add_nc_u32_e32 v59, -8, v117
	ds_load_b64 v[59:60], v59
	s_waitcnt lgkmcnt(0)
	v_add_co_u32 v59, vcc_lo, v59, v9
	v_add_co_ci_u32_e32 v60, vcc_lo, v60, v10, vcc_lo
.LBB646_77:
	s_or_b32 exec_lo, exec_lo, s1
	s_branch .LBB646_79
.LBB646_78:
	s_mov_b32 s0, -1
                                        ; implicit-def: $vgpr59_vgpr60
.LBB646_79:
	v_dual_mov_b32 v110, v12 :: v_dual_mov_b32 v109, v11
	v_dual_mov_b32 v114, v14 :: v_dual_mov_b32 v113, v13
	;; [unrolled: 1-line block ×27, first 2 shown]
	s_and_not1_b32 vcc_lo, exec_lo, s0
	s_cbranch_vccnz .LBB646_83
; %bb.80:
	v_mad_u32_u24 v59, v0, 29, 28
	v_mad_u32_u24 v60, v0, 29, 27
	;; [unrolled: 1-line block ×3, first 2 shown]
	v_mul_u32_u24_e32 v115, 29, v0
	ds_store_b64 v117, v[57:58]
	v_cmp_gt_u32_e32 vcc_lo, s10, v59
	v_mad_u32_u24 v59, v0, 29, 25
	v_cmp_gt_u32_e64 s0, s10, v60
	v_mad_u32_u24 v60, v0, 29, 24
	v_cmp_gt_u32_e64 s1, s10, v115
	v_dual_cndmask_b32 v72, 0, v4 :: v_dual_cndmask_b32 v71, 0, v3
	v_cmp_gt_u32_e32 vcc_lo, s10, v61
	v_cndmask_b32_e64 v62, 0, v2, s0
	v_cndmask_b32_e64 v61, 0, v1, s0
	v_cmp_gt_u32_e64 s0, s10, v59
	v_mad_u32_u24 v59, v0, 29, 23
	v_dual_cndmask_b32 v64, 0, v8 :: v_dual_cndmask_b32 v63, 0, v7
	v_cmp_gt_u32_e32 vcc_lo, s10, v60
	v_mad_u32_u24 v60, v0, 29, 22
	v_cndmask_b32_e64 v66, 0, v6, s0
	v_cndmask_b32_e64 v65, 0, v5, s0
	v_cmp_gt_u32_e64 s0, s10, v59
	v_mad_u32_u24 v59, v0, 29, 21
	v_dual_cndmask_b32 v68, 0, v56 :: v_dual_cndmask_b32 v67, 0, v55
	v_cmp_gt_u32_e32 vcc_lo, s10, v60
	v_mad_u32_u24 v60, v0, 29, 20
	v_cndmask_b32_e64 v70, 0, v54, s0
	v_cndmask_b32_e64 v69, 0, v53, s0
	v_cmp_gt_u32_e64 s0, s10, v59
	v_mad_u32_u24 v59, v0, 29, 19
	v_dual_cndmask_b32 v74, 0, v52 :: v_dual_cndmask_b32 v73, 0, v51
	v_cmp_gt_u32_e32 vcc_lo, s10, v60
	v_mad_u32_u24 v60, v0, 29, 18
	v_cndmask_b32_e64 v76, 0, v50, s0
	v_cndmask_b32_e64 v75, 0, v49, s0
	v_cmp_gt_u32_e64 s0, s10, v59
	v_mad_u32_u24 v59, v0, 29, 17
	v_dual_cndmask_b32 v78, 0, v48 :: v_dual_cndmask_b32 v77, 0, v47
	v_cmp_gt_u32_e32 vcc_lo, s10, v60
	v_mad_u32_u24 v60, v0, 29, 16
	v_cndmask_b32_e64 v80, 0, v46, s0
	v_cndmask_b32_e64 v79, 0, v45, s0
	v_cmp_gt_u32_e64 s0, s10, v59
	v_mad_u32_u24 v59, v0, 29, 15
	v_dual_cndmask_b32 v82, 0, v44 :: v_dual_cndmask_b32 v81, 0, v43
	v_cmp_gt_u32_e32 vcc_lo, s10, v60
	v_mad_u32_u24 v60, v0, 29, 14
	v_cndmask_b32_e64 v84, 0, v42, s0
	v_cndmask_b32_e64 v83, 0, v41, s0
	v_cmp_gt_u32_e64 s0, s10, v59
	v_mad_u32_u24 v59, v0, 29, 13
	v_dual_cndmask_b32 v86, 0, v40 :: v_dual_cndmask_b32 v85, 0, v39
	v_cmp_gt_u32_e32 vcc_lo, s10, v60
	v_mad_u32_u24 v60, v0, 29, 12
	v_cndmask_b32_e64 v88, 0, v38, s0
	v_cndmask_b32_e64 v87, 0, v37, s0
	v_cmp_gt_u32_e64 s0, s10, v59
	v_mad_u32_u24 v59, v0, 29, 11
	v_dual_cndmask_b32 v90, 0, v36 :: v_dual_cndmask_b32 v89, 0, v35
	v_cmp_gt_u32_e32 vcc_lo, s10, v60
	v_mad_u32_u24 v60, v0, 29, 10
	v_cndmask_b32_e64 v92, 0, v34, s0
	v_cndmask_b32_e64 v91, 0, v33, s0
	v_cmp_gt_u32_e64 s0, s10, v59
	v_mad_u32_u24 v59, v0, 29, 9
	v_dual_cndmask_b32 v94, 0, v32 :: v_dual_cndmask_b32 v93, 0, v31
	v_cmp_gt_u32_e32 vcc_lo, s10, v60
	v_mad_u32_u24 v60, v0, 29, 8
	v_cndmask_b32_e64 v102, 0, v30, s0
	v_cndmask_b32_e64 v101, 0, v29, s0
	v_cmp_gt_u32_e64 s0, s10, v59
	v_mad_u32_u24 v59, v0, 29, 7
	v_dual_cndmask_b32 v96, 0, v28 :: v_dual_cndmask_b32 v95, 0, v27
	v_cmp_gt_u32_e32 vcc_lo, s10, v60
	v_mad_u32_u24 v60, v0, 29, 6
	v_cndmask_b32_e64 v106, 0, v26, s0
	v_cndmask_b32_e64 v105, 0, v25, s0
	v_cmp_gt_u32_e64 s0, s10, v59
	v_mad_u32_u24 v59, v0, 29, 5
	v_dual_cndmask_b32 v98, 0, v24 :: v_dual_cndmask_b32 v97, 0, v23
	v_cmp_gt_u32_e32 vcc_lo, s10, v60
	v_mad_u32_u24 v60, v0, 29, 4
	v_cndmask_b32_e64 v108, 0, v22, s0
	v_cndmask_b32_e64 v107, 0, v21, s0
	v_cmp_gt_u32_e64 s0, s10, v59
	v_mad_u32_u24 v59, v0, 29, 3
	v_dual_cndmask_b32 v100, 0, v20 :: v_dual_cndmask_b32 v99, 0, v19
	v_cmp_gt_u32_e32 vcc_lo, s10, v60
	v_mad_u32_u24 v60, v0, 29, 2
	v_cndmask_b32_e64 v112, 0, v18, s0
	v_cndmask_b32_e64 v111, 0, v17, s0
	v_cmp_gt_u32_e64 s0, s10, v59
	v_mad_u32_u24 v59, v0, 29, 1
	v_dual_cndmask_b32 v104, 0, v16 :: v_dual_cndmask_b32 v103, 0, v15
	v_cmp_gt_u32_e32 vcc_lo, s10, v60
	s_delay_alu instid0(VALU_DEP_4)
	v_cndmask_b32_e64 v114, 0, v14, s0
	v_cndmask_b32_e64 v113, 0, v13, s0
	v_cmp_gt_u32_e64 s0, s10, v59
	s_waitcnt lgkmcnt(0)
	v_dual_cndmask_b32 v110, 0, v12 :: v_dual_cndmask_b32 v109, 0, v11
	v_cmp_ne_u32_e32 vcc_lo, 0, v0
	s_delay_alu instid0(VALU_DEP_3) | instskip(SKIP_4) | instid1(SALU_CYCLE_1)
	v_cndmask_b32_e64 v116, 0, v10, s0
	v_cndmask_b32_e64 v115, 0, v9, s0
	s_barrier
	buffer_gl0_inv
	s_and_b32 s1, vcc_lo, s1
	s_and_saveexec_b32 s0, s1
	s_cbranch_execz .LBB646_82
; %bb.81:
	v_add_nc_u32_e32 v59, -8, v117
	ds_load_b64 v[59:60], v59
	s_waitcnt lgkmcnt(0)
	v_add_co_u32 v9, vcc_lo, v59, v9
	v_add_co_ci_u32_e32 v10, vcc_lo, v60, v10, vcc_lo
.LBB646_82:
	s_or_b32 exec_lo, exec_lo, s0
	s_delay_alu instid0(VALU_DEP_1)
	v_dual_mov_b32 v60, v10 :: v_dual_mov_b32 v59, v9
	v_dual_mov_b32 v9, v115 :: v_dual_mov_b32 v10, v116
.LBB646_83:
	s_delay_alu instid0(VALU_DEP_1)
	v_dual_mov_b32 v116, v10 :: v_dual_mov_b32 v115, v9
.LBB646_84:
	s_delay_alu instid0(VALU_DEP_2) | instskip(SKIP_1) | instid1(VALU_DEP_3)
	v_add_co_u32 v57, vcc_lo, v71, v57
	v_add_co_ci_u32_e32 v58, vcc_lo, v72, v58, vcc_lo
	v_add_co_u32 v115, vcc_lo, v115, v11
	s_delay_alu instid0(VALU_DEP_4)
	v_add_co_ci_u32_e32 v116, vcc_lo, v116, v12, vcc_lo
	v_add_co_u32 v109, vcc_lo, v109, v13
	v_add_co_ci_u32_e32 v110, vcc_lo, v110, v14, vcc_lo
	v_add_co_u32 v113, vcc_lo, v113, v15
	;; [unrolled: 2-line block ×26, first 2 shown]
	v_add_co_ci_u32_e32 v62, vcc_lo, v62, v4, vcc_lo
	v_mul_u32_u24_e32 v118, 0xe8, v0
	v_mul_i32_i24_e32 v119, 0xffffff20, v0
	s_add_u32 s1, s8, s6
	s_addc_u32 s0, s9, s7
	s_and_b32 vcc_lo, exec_lo, s22
	s_barrier
	buffer_gl0_inv
	s_cbranch_vccz .LBB646_142
; %bb.85:
	v_mad_u32_u24 v1, 0xe8, v0, v119
	ds_store_2addr_b64 v118, v[59:60], v[115:116] offset1:1
	ds_store_2addr_b64 v118, v[109:110], v[113:114] offset0:2 offset1:3
	ds_store_2addr_b64 v118, v[103:104], v[111:112] offset0:4 offset1:5
	;; [unrolled: 1-line block ×13, first 2 shown]
	ds_store_b64 v118, v[57:58] offset:224
	s_waitcnt lgkmcnt(0)
	s_barrier
	buffer_gl0_inv
	ds_load_2addr_stride64_b64 v[53:56], v1 offset0:2 offset1:4
	ds_load_2addr_stride64_b64 v[49:52], v1 offset0:6 offset1:8
	;; [unrolled: 1-line block ×14, first 2 shown]
	s_mov_b32 s5, 0
	s_add_i32 s11, s11, s10
	s_lshl_b64 s[2:3], s[4:5], 3
	s_delay_alu instid0(SALU_CYCLE_1) | instskip(SKIP_2) | instid1(VALU_DEP_1)
	s_add_u32 s2, s1, s2
	s_addc_u32 s3, s0, s3
	v_add_co_u32 v73, s2, s2, v117
	v_add_co_ci_u32_e64 v74, null, s3, 0, s2
	s_mov_b32 s2, exec_lo
	v_cmpx_gt_u32_e64 s11, v0
	s_cbranch_execz .LBB646_87
; %bb.86:
	v_add_nc_u32_e32 v120, v118, v119
	ds_load_b64 v[120:121], v120
	s_waitcnt lgkmcnt(0)
	global_store_b64 v[73:74], v[120:121], off
.LBB646_87:
	s_or_b32 exec_lo, exec_lo, s2
	v_or_b32_e32 v120, 0x80, v0
	s_mov_b32 s2, exec_lo
	s_delay_alu instid0(VALU_DEP_1)
	v_cmpx_gt_u32_e64 s11, v120
	s_cbranch_execz .LBB646_89
; %bb.88:
	s_waitcnt lgkmcnt(13)
	global_store_b64 v[73:74], v[53:54], off offset:1024
.LBB646_89:
	s_or_b32 exec_lo, exec_lo, s2
	s_waitcnt lgkmcnt(13)
	v_or_b32_e32 v53, 0x100, v0
	s_mov_b32 s2, exec_lo
	s_delay_alu instid0(VALU_DEP_1)
	v_cmpx_gt_u32_e64 s11, v53
	s_cbranch_execz .LBB646_91
; %bb.90:
	global_store_b64 v[73:74], v[55:56], off offset:2048
.LBB646_91:
	s_or_b32 exec_lo, exec_lo, s2
	v_or_b32_e32 v53, 0x180, v0
	s_mov_b32 s2, exec_lo
	s_delay_alu instid0(VALU_DEP_1)
	v_cmpx_gt_u32_e64 s11, v53
	s_cbranch_execz .LBB646_93
; %bb.92:
	s_waitcnt lgkmcnt(12)
	global_store_b64 v[73:74], v[49:50], off offset:3072
.LBB646_93:
	s_or_b32 exec_lo, exec_lo, s2
	s_waitcnt lgkmcnt(12)
	v_or_b32_e32 v49, 0x200, v0
	s_mov_b32 s2, exec_lo
	s_delay_alu instid0(VALU_DEP_1)
	v_cmpx_gt_u32_e64 s11, v49
	s_cbranch_execz .LBB646_95
; %bb.94:
	v_add_co_u32 v49, vcc_lo, 0x1000, v73
	v_add_co_ci_u32_e32 v50, vcc_lo, 0, v74, vcc_lo
	global_store_b64 v[49:50], v[51:52], off
.LBB646_95:
	s_or_b32 exec_lo, exec_lo, s2
	v_or_b32_e32 v49, 0x280, v0
	s_mov_b32 s2, exec_lo
	s_delay_alu instid0(VALU_DEP_1)
	v_cmpx_gt_u32_e64 s11, v49
	s_cbranch_execz .LBB646_97
; %bb.96:
	v_add_co_u32 v49, vcc_lo, 0x1000, v73
	v_add_co_ci_u32_e32 v50, vcc_lo, 0, v74, vcc_lo
	s_waitcnt lgkmcnt(11)
	global_store_b64 v[49:50], v[45:46], off offset:1024
.LBB646_97:
	s_or_b32 exec_lo, exec_lo, s2
	s_waitcnt lgkmcnt(11)
	v_or_b32_e32 v45, 0x300, v0
	s_mov_b32 s2, exec_lo
	s_delay_alu instid0(VALU_DEP_1)
	v_cmpx_gt_u32_e64 s11, v45
	s_cbranch_execz .LBB646_99
; %bb.98:
	v_add_co_u32 v45, vcc_lo, 0x1000, v73
	v_add_co_ci_u32_e32 v46, vcc_lo, 0, v74, vcc_lo
	global_store_b64 v[45:46], v[47:48], off offset:2048
.LBB646_99:
	s_or_b32 exec_lo, exec_lo, s2
	v_or_b32_e32 v45, 0x380, v0
	s_mov_b32 s2, exec_lo
	s_delay_alu instid0(VALU_DEP_1)
	v_cmpx_gt_u32_e64 s11, v45
	s_cbranch_execz .LBB646_101
; %bb.100:
	v_add_co_u32 v45, vcc_lo, 0x1000, v73
	v_add_co_ci_u32_e32 v46, vcc_lo, 0, v74, vcc_lo
	s_waitcnt lgkmcnt(10)
	global_store_b64 v[45:46], v[41:42], off offset:3072
.LBB646_101:
	s_or_b32 exec_lo, exec_lo, s2
	s_waitcnt lgkmcnt(10)
	v_or_b32_e32 v41, 0x400, v0
	s_mov_b32 s2, exec_lo
	s_delay_alu instid0(VALU_DEP_1)
	v_cmpx_gt_u32_e64 s11, v41
	s_cbranch_execz .LBB646_103
; %bb.102:
	v_add_co_u32 v41, vcc_lo, 0x2000, v73
	v_add_co_ci_u32_e32 v42, vcc_lo, 0, v74, vcc_lo
	global_store_b64 v[41:42], v[43:44], off
.LBB646_103:
	s_or_b32 exec_lo, exec_lo, s2
	v_or_b32_e32 v41, 0x480, v0
	s_mov_b32 s2, exec_lo
	s_delay_alu instid0(VALU_DEP_1)
	v_cmpx_gt_u32_e64 s11, v41
	s_cbranch_execz .LBB646_105
; %bb.104:
	v_add_co_u32 v41, vcc_lo, 0x2000, v73
	v_add_co_ci_u32_e32 v42, vcc_lo, 0, v74, vcc_lo
	s_waitcnt lgkmcnt(9)
	global_store_b64 v[41:42], v[37:38], off offset:1024
.LBB646_105:
	s_or_b32 exec_lo, exec_lo, s2
	s_waitcnt lgkmcnt(9)
	v_or_b32_e32 v37, 0x500, v0
	s_mov_b32 s2, exec_lo
	s_delay_alu instid0(VALU_DEP_1)
	v_cmpx_gt_u32_e64 s11, v37
	s_cbranch_execz .LBB646_107
; %bb.106:
	v_add_co_u32 v37, vcc_lo, 0x2000, v73
	v_add_co_ci_u32_e32 v38, vcc_lo, 0, v74, vcc_lo
	global_store_b64 v[37:38], v[39:40], off offset:2048
.LBB646_107:
	s_or_b32 exec_lo, exec_lo, s2
	v_or_b32_e32 v37, 0x580, v0
	s_mov_b32 s2, exec_lo
	s_delay_alu instid0(VALU_DEP_1)
	v_cmpx_gt_u32_e64 s11, v37
	s_cbranch_execz .LBB646_109
; %bb.108:
	v_add_co_u32 v37, vcc_lo, 0x2000, v73
	v_add_co_ci_u32_e32 v38, vcc_lo, 0, v74, vcc_lo
	s_waitcnt lgkmcnt(8)
	global_store_b64 v[37:38], v[33:34], off offset:3072
.LBB646_109:
	;; [unrolled: 48-line block ×6, first 2 shown]
	s_or_b32 exec_lo, exec_lo, s2
	s_waitcnt lgkmcnt(0)
	v_or_b32_e32 v1, 0xe00, v0
	s_delay_alu instid0(VALU_DEP_1)
	v_cmp_gt_u32_e64 s2, s11, v1
	s_branch .LBB646_144
.LBB646_142:
	s_mov_b32 s2, 0
                                        ; implicit-def: $vgpr3_vgpr4
                                        ; implicit-def: $vgpr73_vgpr74
	s_cbranch_execz .LBB646_144
; %bb.143:
	v_mad_u32_u24 v0, 0xe8, v0, v119
	ds_store_2addr_b64 v118, v[59:60], v[115:116] offset1:1
	ds_store_2addr_b64 v118, v[109:110], v[113:114] offset0:2 offset1:3
	ds_store_2addr_b64 v118, v[103:104], v[111:112] offset0:4 offset1:5
	;; [unrolled: 1-line block ×13, first 2 shown]
	ds_store_b64 v118, v[57:58] offset:224
	s_waitcnt lgkmcnt(0)
	s_waitcnt_vscnt null, 0x0
	s_barrier
	buffer_gl0_inv
	ds_load_2addr_stride64_b64 v[5:8], v0 offset1:2
	s_mov_b32 s5, 0
	ds_load_2addr_stride64_b64 v[9:12], v0 offset0:4 offset1:6
	ds_load_2addr_stride64_b64 v[13:16], v0 offset0:8 offset1:10
	;; [unrolled: 1-line block ×13, first 2 shown]
	ds_load_b64 v[3:4], v0 offset:28672
	s_lshl_b64 s[4:5], s[4:5], 3
	s_delay_alu instid0(SALU_CYCLE_1) | instskip(SKIP_2) | instid1(VALU_DEP_1)
	s_add_u32 s4, s1, s4
	s_addc_u32 s5, s0, s5
	v_add_co_u32 v73, s0, s4, v117
	v_add_co_ci_u32_e64 v74, null, s5, 0, s0
	s_or_b32 s2, s2, exec_lo
	s_delay_alu instid0(VALU_DEP_2) | instskip(NEXT) | instid1(VALU_DEP_2)
	v_add_co_u32 v0, vcc_lo, 0x1000, v73
	v_add_co_ci_u32_e32 v1, vcc_lo, 0, v74, vcc_lo
	s_waitcnt lgkmcnt(14)
	s_clause 0x1
	global_store_b64 v117, v[5:6], s[4:5]
	global_store_b64 v117, v[7:8], s[4:5] offset:1024
	s_waitcnt lgkmcnt(13)
	s_clause 0x1
	global_store_b64 v117, v[9:10], s[4:5] offset:2048
	global_store_b64 v117, v[11:12], s[4:5] offset:3072
	v_add_co_u32 v5, vcc_lo, v73, 0x2000
	v_add_co_ci_u32_e32 v6, vcc_lo, 0, v74, vcc_lo
	v_add_co_u32 v7, vcc_lo, 0x2000, v73
	v_add_co_ci_u32_e32 v8, vcc_lo, 0, v74, vcc_lo
	s_waitcnt lgkmcnt(10)
	s_clause 0x4
	global_store_b64 v[5:6], v[21:22], off
	global_store_b64 v[0:1], v[15:16], off offset:1024
	global_store_b64 v[0:1], v[17:18], off offset:2048
	;; [unrolled: 1-line block ×4, first 2 shown]
	v_add_co_u32 v0, vcc_lo, 0x3000, v73
	v_add_co_ci_u32_e32 v1, vcc_lo, 0, v74, vcc_lo
	v_add_co_u32 v9, vcc_lo, v73, 0x4000
	v_add_co_ci_u32_e32 v10, vcc_lo, 0, v74, vcc_lo
	;; [unrolled: 2-line block ×3, first 2 shown]
	s_waitcnt lgkmcnt(9)
	s_clause 0x1
	global_store_b64 v[7:8], v[25:26], off offset:2048
	global_store_b64 v[7:8], v[27:28], off offset:3072
	s_waitcnt lgkmcnt(8)
	global_store_b64 v[0:1], v[31:32], off offset:1024
	s_waitcnt lgkmcnt(7)
	s_clause 0x1
	global_store_b64 v[0:1], v[33:34], off offset:2048
	global_store_b64 v[0:1], v[35:36], off offset:3072
	s_waitcnt lgkmcnt(6)
	global_store_b64 v[11:12], v[39:40], off offset:1024
	s_waitcnt lgkmcnt(5)
	s_clause 0x1
	global_store_b64 v[11:12], v[41:42], off offset:2048
	global_store_b64 v[11:12], v[43:44], off offset:3072
	v_add_co_u32 v0, vcc_lo, 0x5000, v73
	v_add_co_ci_u32_e32 v1, vcc_lo, 0, v74, vcc_lo
	v_add_co_u32 v7, vcc_lo, v73, 0x6000
	v_add_co_ci_u32_e32 v8, vcc_lo, 0, v74, vcc_lo
	;; [unrolled: 2-line block ×3, first 2 shown]
	s_clause 0x1
	global_store_b64 v[9:10], v[29:30], off offset:-4096
	global_store_b64 v[9:10], v[37:38], off
	s_waitcnt lgkmcnt(4)
	global_store_b64 v[7:8], v[45:46], off offset:-4096
	s_waitcnt lgkmcnt(2)
	s_clause 0x4
	global_store_b64 v[7:8], v[53:54], off
	global_store_b64 v[0:1], v[47:48], off offset:1024
	global_store_b64 v[0:1], v[49:50], off offset:2048
	;; [unrolled: 1-line block ×4, first 2 shown]
	s_waitcnt lgkmcnt(1)
	s_clause 0x2
	global_store_b64 v[11:12], v[57:58], off offset:2048
	global_store_b64 v[5:6], v[13:14], off offset:-4096
	global_store_b64 v[11:12], v[59:60], off offset:3072
.LBB646_144:
	s_delay_alu instid0(VALU_DEP_1)
	s_and_saveexec_b32 s0, s2
	s_cbranch_execnz .LBB646_146
; %bb.145:
	s_nop 0
	s_sendmsg sendmsg(MSG_DEALLOC_VGPRS)
	s_endpgm
.LBB646_146:
	v_add_co_u32 v0, vcc_lo, 0x7000, v73
	v_add_co_ci_u32_e32 v1, vcc_lo, 0, v74, vcc_lo
	s_waitcnt lgkmcnt(0)
	global_store_b64 v[0:1], v[3:4], off
	s_nop 0
	s_sendmsg sendmsg(MSG_DEALLOC_VGPRS)
	s_endpgm
	.section	.rodata,"a",@progbits
	.p2align	6, 0x0
	.amdhsa_kernel _ZN7rocprim17ROCPRIM_400000_NS6detail17trampoline_kernelINS0_14default_configENS1_35adjacent_difference_config_selectorILb1EyEEZNS1_24adjacent_difference_implIS3_Lb1ELb0EPKyPyN6thrust23THRUST_200600_302600_NS4plusIyEEEE10hipError_tPvRmT2_T3_mT4_P12ihipStream_tbEUlT_E_NS1_11comp_targetILNS1_3genE9ELNS1_11target_archE1100ELNS1_3gpuE3ELNS1_3repE0EEENS1_30default_config_static_selectorELNS0_4arch9wavefront6targetE0EEEvT1_
		.amdhsa_group_segment_fixed_size 29696
		.amdhsa_private_segment_fixed_size 0
		.amdhsa_kernarg_size 56
		.amdhsa_user_sgpr_count 15
		.amdhsa_user_sgpr_dispatch_ptr 0
		.amdhsa_user_sgpr_queue_ptr 0
		.amdhsa_user_sgpr_kernarg_segment_ptr 1
		.amdhsa_user_sgpr_dispatch_id 0
		.amdhsa_user_sgpr_private_segment_size 0
		.amdhsa_wavefront_size32 1
		.amdhsa_uses_dynamic_stack 0
		.amdhsa_enable_private_segment 0
		.amdhsa_system_sgpr_workgroup_id_x 1
		.amdhsa_system_sgpr_workgroup_id_y 0
		.amdhsa_system_sgpr_workgroup_id_z 0
		.amdhsa_system_sgpr_workgroup_info 0
		.amdhsa_system_vgpr_workitem_id 0
		.amdhsa_next_free_vgpr 122
		.amdhsa_next_free_sgpr 26
		.amdhsa_reserve_vcc 1
		.amdhsa_float_round_mode_32 0
		.amdhsa_float_round_mode_16_64 0
		.amdhsa_float_denorm_mode_32 3
		.amdhsa_float_denorm_mode_16_64 3
		.amdhsa_dx10_clamp 1
		.amdhsa_ieee_mode 1
		.amdhsa_fp16_overflow 0
		.amdhsa_workgroup_processor_mode 1
		.amdhsa_memory_ordered 1
		.amdhsa_forward_progress 0
		.amdhsa_shared_vgpr_count 0
		.amdhsa_exception_fp_ieee_invalid_op 0
		.amdhsa_exception_fp_denorm_src 0
		.amdhsa_exception_fp_ieee_div_zero 0
		.amdhsa_exception_fp_ieee_overflow 0
		.amdhsa_exception_fp_ieee_underflow 0
		.amdhsa_exception_fp_ieee_inexact 0
		.amdhsa_exception_int_div_zero 0
	.end_amdhsa_kernel
	.section	.text._ZN7rocprim17ROCPRIM_400000_NS6detail17trampoline_kernelINS0_14default_configENS1_35adjacent_difference_config_selectorILb1EyEEZNS1_24adjacent_difference_implIS3_Lb1ELb0EPKyPyN6thrust23THRUST_200600_302600_NS4plusIyEEEE10hipError_tPvRmT2_T3_mT4_P12ihipStream_tbEUlT_E_NS1_11comp_targetILNS1_3genE9ELNS1_11target_archE1100ELNS1_3gpuE3ELNS1_3repE0EEENS1_30default_config_static_selectorELNS0_4arch9wavefront6targetE0EEEvT1_,"axG",@progbits,_ZN7rocprim17ROCPRIM_400000_NS6detail17trampoline_kernelINS0_14default_configENS1_35adjacent_difference_config_selectorILb1EyEEZNS1_24adjacent_difference_implIS3_Lb1ELb0EPKyPyN6thrust23THRUST_200600_302600_NS4plusIyEEEE10hipError_tPvRmT2_T3_mT4_P12ihipStream_tbEUlT_E_NS1_11comp_targetILNS1_3genE9ELNS1_11target_archE1100ELNS1_3gpuE3ELNS1_3repE0EEENS1_30default_config_static_selectorELNS0_4arch9wavefront6targetE0EEEvT1_,comdat
.Lfunc_end646:
	.size	_ZN7rocprim17ROCPRIM_400000_NS6detail17trampoline_kernelINS0_14default_configENS1_35adjacent_difference_config_selectorILb1EyEEZNS1_24adjacent_difference_implIS3_Lb1ELb0EPKyPyN6thrust23THRUST_200600_302600_NS4plusIyEEEE10hipError_tPvRmT2_T3_mT4_P12ihipStream_tbEUlT_E_NS1_11comp_targetILNS1_3genE9ELNS1_11target_archE1100ELNS1_3gpuE3ELNS1_3repE0EEENS1_30default_config_static_selectorELNS0_4arch9wavefront6targetE0EEEvT1_, .Lfunc_end646-_ZN7rocprim17ROCPRIM_400000_NS6detail17trampoline_kernelINS0_14default_configENS1_35adjacent_difference_config_selectorILb1EyEEZNS1_24adjacent_difference_implIS3_Lb1ELb0EPKyPyN6thrust23THRUST_200600_302600_NS4plusIyEEEE10hipError_tPvRmT2_T3_mT4_P12ihipStream_tbEUlT_E_NS1_11comp_targetILNS1_3genE9ELNS1_11target_archE1100ELNS1_3gpuE3ELNS1_3repE0EEENS1_30default_config_static_selectorELNS0_4arch9wavefront6targetE0EEEvT1_
                                        ; -- End function
	.section	.AMDGPU.csdata,"",@progbits
; Kernel info:
; codeLenInByte = 8252
; NumSgprs: 28
; NumVgprs: 122
; ScratchSize: 0
; MemoryBound: 0
; FloatMode: 240
; IeeeMode: 1
; LDSByteSize: 29696 bytes/workgroup (compile time only)
; SGPRBlocks: 3
; VGPRBlocks: 15
; NumSGPRsForWavesPerEU: 28
; NumVGPRsForWavesPerEU: 122
; Occupancy: 4
; WaveLimiterHint : 1
; COMPUTE_PGM_RSRC2:SCRATCH_EN: 0
; COMPUTE_PGM_RSRC2:USER_SGPR: 15
; COMPUTE_PGM_RSRC2:TRAP_HANDLER: 0
; COMPUTE_PGM_RSRC2:TGID_X_EN: 1
; COMPUTE_PGM_RSRC2:TGID_Y_EN: 0
; COMPUTE_PGM_RSRC2:TGID_Z_EN: 0
; COMPUTE_PGM_RSRC2:TIDIG_COMP_CNT: 0
	.section	.text._ZN7rocprim17ROCPRIM_400000_NS6detail17trampoline_kernelINS0_14default_configENS1_35adjacent_difference_config_selectorILb1EyEEZNS1_24adjacent_difference_implIS3_Lb1ELb0EPKyPyN6thrust23THRUST_200600_302600_NS4plusIyEEEE10hipError_tPvRmT2_T3_mT4_P12ihipStream_tbEUlT_E_NS1_11comp_targetILNS1_3genE8ELNS1_11target_archE1030ELNS1_3gpuE2ELNS1_3repE0EEENS1_30default_config_static_selectorELNS0_4arch9wavefront6targetE0EEEvT1_,"axG",@progbits,_ZN7rocprim17ROCPRIM_400000_NS6detail17trampoline_kernelINS0_14default_configENS1_35adjacent_difference_config_selectorILb1EyEEZNS1_24adjacent_difference_implIS3_Lb1ELb0EPKyPyN6thrust23THRUST_200600_302600_NS4plusIyEEEE10hipError_tPvRmT2_T3_mT4_P12ihipStream_tbEUlT_E_NS1_11comp_targetILNS1_3genE8ELNS1_11target_archE1030ELNS1_3gpuE2ELNS1_3repE0EEENS1_30default_config_static_selectorELNS0_4arch9wavefront6targetE0EEEvT1_,comdat
	.protected	_ZN7rocprim17ROCPRIM_400000_NS6detail17trampoline_kernelINS0_14default_configENS1_35adjacent_difference_config_selectorILb1EyEEZNS1_24adjacent_difference_implIS3_Lb1ELb0EPKyPyN6thrust23THRUST_200600_302600_NS4plusIyEEEE10hipError_tPvRmT2_T3_mT4_P12ihipStream_tbEUlT_E_NS1_11comp_targetILNS1_3genE8ELNS1_11target_archE1030ELNS1_3gpuE2ELNS1_3repE0EEENS1_30default_config_static_selectorELNS0_4arch9wavefront6targetE0EEEvT1_ ; -- Begin function _ZN7rocprim17ROCPRIM_400000_NS6detail17trampoline_kernelINS0_14default_configENS1_35adjacent_difference_config_selectorILb1EyEEZNS1_24adjacent_difference_implIS3_Lb1ELb0EPKyPyN6thrust23THRUST_200600_302600_NS4plusIyEEEE10hipError_tPvRmT2_T3_mT4_P12ihipStream_tbEUlT_E_NS1_11comp_targetILNS1_3genE8ELNS1_11target_archE1030ELNS1_3gpuE2ELNS1_3repE0EEENS1_30default_config_static_selectorELNS0_4arch9wavefront6targetE0EEEvT1_
	.globl	_ZN7rocprim17ROCPRIM_400000_NS6detail17trampoline_kernelINS0_14default_configENS1_35adjacent_difference_config_selectorILb1EyEEZNS1_24adjacent_difference_implIS3_Lb1ELb0EPKyPyN6thrust23THRUST_200600_302600_NS4plusIyEEEE10hipError_tPvRmT2_T3_mT4_P12ihipStream_tbEUlT_E_NS1_11comp_targetILNS1_3genE8ELNS1_11target_archE1030ELNS1_3gpuE2ELNS1_3repE0EEENS1_30default_config_static_selectorELNS0_4arch9wavefront6targetE0EEEvT1_
	.p2align	8
	.type	_ZN7rocprim17ROCPRIM_400000_NS6detail17trampoline_kernelINS0_14default_configENS1_35adjacent_difference_config_selectorILb1EyEEZNS1_24adjacent_difference_implIS3_Lb1ELb0EPKyPyN6thrust23THRUST_200600_302600_NS4plusIyEEEE10hipError_tPvRmT2_T3_mT4_P12ihipStream_tbEUlT_E_NS1_11comp_targetILNS1_3genE8ELNS1_11target_archE1030ELNS1_3gpuE2ELNS1_3repE0EEENS1_30default_config_static_selectorELNS0_4arch9wavefront6targetE0EEEvT1_,@function
_ZN7rocprim17ROCPRIM_400000_NS6detail17trampoline_kernelINS0_14default_configENS1_35adjacent_difference_config_selectorILb1EyEEZNS1_24adjacent_difference_implIS3_Lb1ELb0EPKyPyN6thrust23THRUST_200600_302600_NS4plusIyEEEE10hipError_tPvRmT2_T3_mT4_P12ihipStream_tbEUlT_E_NS1_11comp_targetILNS1_3genE8ELNS1_11target_archE1030ELNS1_3gpuE2ELNS1_3repE0EEENS1_30default_config_static_selectorELNS0_4arch9wavefront6targetE0EEEvT1_: ; @_ZN7rocprim17ROCPRIM_400000_NS6detail17trampoline_kernelINS0_14default_configENS1_35adjacent_difference_config_selectorILb1EyEEZNS1_24adjacent_difference_implIS3_Lb1ELb0EPKyPyN6thrust23THRUST_200600_302600_NS4plusIyEEEE10hipError_tPvRmT2_T3_mT4_P12ihipStream_tbEUlT_E_NS1_11comp_targetILNS1_3genE8ELNS1_11target_archE1030ELNS1_3gpuE2ELNS1_3repE0EEENS1_30default_config_static_selectorELNS0_4arch9wavefront6targetE0EEEvT1_
; %bb.0:
	.section	.rodata,"a",@progbits
	.p2align	6, 0x0
	.amdhsa_kernel _ZN7rocprim17ROCPRIM_400000_NS6detail17trampoline_kernelINS0_14default_configENS1_35adjacent_difference_config_selectorILb1EyEEZNS1_24adjacent_difference_implIS3_Lb1ELb0EPKyPyN6thrust23THRUST_200600_302600_NS4plusIyEEEE10hipError_tPvRmT2_T3_mT4_P12ihipStream_tbEUlT_E_NS1_11comp_targetILNS1_3genE8ELNS1_11target_archE1030ELNS1_3gpuE2ELNS1_3repE0EEENS1_30default_config_static_selectorELNS0_4arch9wavefront6targetE0EEEvT1_
		.amdhsa_group_segment_fixed_size 0
		.amdhsa_private_segment_fixed_size 0
		.amdhsa_kernarg_size 56
		.amdhsa_user_sgpr_count 15
		.amdhsa_user_sgpr_dispatch_ptr 0
		.amdhsa_user_sgpr_queue_ptr 0
		.amdhsa_user_sgpr_kernarg_segment_ptr 1
		.amdhsa_user_sgpr_dispatch_id 0
		.amdhsa_user_sgpr_private_segment_size 0
		.amdhsa_wavefront_size32 1
		.amdhsa_uses_dynamic_stack 0
		.amdhsa_enable_private_segment 0
		.amdhsa_system_sgpr_workgroup_id_x 1
		.amdhsa_system_sgpr_workgroup_id_y 0
		.amdhsa_system_sgpr_workgroup_id_z 0
		.amdhsa_system_sgpr_workgroup_info 0
		.amdhsa_system_vgpr_workitem_id 0
		.amdhsa_next_free_vgpr 1
		.amdhsa_next_free_sgpr 1
		.amdhsa_reserve_vcc 0
		.amdhsa_float_round_mode_32 0
		.amdhsa_float_round_mode_16_64 0
		.amdhsa_float_denorm_mode_32 3
		.amdhsa_float_denorm_mode_16_64 3
		.amdhsa_dx10_clamp 1
		.amdhsa_ieee_mode 1
		.amdhsa_fp16_overflow 0
		.amdhsa_workgroup_processor_mode 1
		.amdhsa_memory_ordered 1
		.amdhsa_forward_progress 0
		.amdhsa_shared_vgpr_count 0
		.amdhsa_exception_fp_ieee_invalid_op 0
		.amdhsa_exception_fp_denorm_src 0
		.amdhsa_exception_fp_ieee_div_zero 0
		.amdhsa_exception_fp_ieee_overflow 0
		.amdhsa_exception_fp_ieee_underflow 0
		.amdhsa_exception_fp_ieee_inexact 0
		.amdhsa_exception_int_div_zero 0
	.end_amdhsa_kernel
	.section	.text._ZN7rocprim17ROCPRIM_400000_NS6detail17trampoline_kernelINS0_14default_configENS1_35adjacent_difference_config_selectorILb1EyEEZNS1_24adjacent_difference_implIS3_Lb1ELb0EPKyPyN6thrust23THRUST_200600_302600_NS4plusIyEEEE10hipError_tPvRmT2_T3_mT4_P12ihipStream_tbEUlT_E_NS1_11comp_targetILNS1_3genE8ELNS1_11target_archE1030ELNS1_3gpuE2ELNS1_3repE0EEENS1_30default_config_static_selectorELNS0_4arch9wavefront6targetE0EEEvT1_,"axG",@progbits,_ZN7rocprim17ROCPRIM_400000_NS6detail17trampoline_kernelINS0_14default_configENS1_35adjacent_difference_config_selectorILb1EyEEZNS1_24adjacent_difference_implIS3_Lb1ELb0EPKyPyN6thrust23THRUST_200600_302600_NS4plusIyEEEE10hipError_tPvRmT2_T3_mT4_P12ihipStream_tbEUlT_E_NS1_11comp_targetILNS1_3genE8ELNS1_11target_archE1030ELNS1_3gpuE2ELNS1_3repE0EEENS1_30default_config_static_selectorELNS0_4arch9wavefront6targetE0EEEvT1_,comdat
.Lfunc_end647:
	.size	_ZN7rocprim17ROCPRIM_400000_NS6detail17trampoline_kernelINS0_14default_configENS1_35adjacent_difference_config_selectorILb1EyEEZNS1_24adjacent_difference_implIS3_Lb1ELb0EPKyPyN6thrust23THRUST_200600_302600_NS4plusIyEEEE10hipError_tPvRmT2_T3_mT4_P12ihipStream_tbEUlT_E_NS1_11comp_targetILNS1_3genE8ELNS1_11target_archE1030ELNS1_3gpuE2ELNS1_3repE0EEENS1_30default_config_static_selectorELNS0_4arch9wavefront6targetE0EEEvT1_, .Lfunc_end647-_ZN7rocprim17ROCPRIM_400000_NS6detail17trampoline_kernelINS0_14default_configENS1_35adjacent_difference_config_selectorILb1EyEEZNS1_24adjacent_difference_implIS3_Lb1ELb0EPKyPyN6thrust23THRUST_200600_302600_NS4plusIyEEEE10hipError_tPvRmT2_T3_mT4_P12ihipStream_tbEUlT_E_NS1_11comp_targetILNS1_3genE8ELNS1_11target_archE1030ELNS1_3gpuE2ELNS1_3repE0EEENS1_30default_config_static_selectorELNS0_4arch9wavefront6targetE0EEEvT1_
                                        ; -- End function
	.section	.AMDGPU.csdata,"",@progbits
; Kernel info:
; codeLenInByte = 0
; NumSgprs: 0
; NumVgprs: 0
; ScratchSize: 0
; MemoryBound: 0
; FloatMode: 240
; IeeeMode: 1
; LDSByteSize: 0 bytes/workgroup (compile time only)
; SGPRBlocks: 0
; VGPRBlocks: 0
; NumSGPRsForWavesPerEU: 1
; NumVGPRsForWavesPerEU: 1
; Occupancy: 16
; WaveLimiterHint : 0
; COMPUTE_PGM_RSRC2:SCRATCH_EN: 0
; COMPUTE_PGM_RSRC2:USER_SGPR: 15
; COMPUTE_PGM_RSRC2:TRAP_HANDLER: 0
; COMPUTE_PGM_RSRC2:TGID_X_EN: 1
; COMPUTE_PGM_RSRC2:TGID_Y_EN: 0
; COMPUTE_PGM_RSRC2:TGID_Z_EN: 0
; COMPUTE_PGM_RSRC2:TIDIG_COMP_CNT: 0
	.section	.text._ZN7rocprim17ROCPRIM_400000_NS6detail17trampoline_kernelINS0_14default_configENS1_35adjacent_difference_config_selectorILb0EjEEZNS1_24adjacent_difference_implIS3_Lb0ELb0EPKjPjN6thrust23THRUST_200600_302600_NS4plusIjEEEE10hipError_tPvRmT2_T3_mT4_P12ihipStream_tbEUlT_E_NS1_11comp_targetILNS1_3genE0ELNS1_11target_archE4294967295ELNS1_3gpuE0ELNS1_3repE0EEENS1_30default_config_static_selectorELNS0_4arch9wavefront6targetE0EEEvT1_,"axG",@progbits,_ZN7rocprim17ROCPRIM_400000_NS6detail17trampoline_kernelINS0_14default_configENS1_35adjacent_difference_config_selectorILb0EjEEZNS1_24adjacent_difference_implIS3_Lb0ELb0EPKjPjN6thrust23THRUST_200600_302600_NS4plusIjEEEE10hipError_tPvRmT2_T3_mT4_P12ihipStream_tbEUlT_E_NS1_11comp_targetILNS1_3genE0ELNS1_11target_archE4294967295ELNS1_3gpuE0ELNS1_3repE0EEENS1_30default_config_static_selectorELNS0_4arch9wavefront6targetE0EEEvT1_,comdat
	.protected	_ZN7rocprim17ROCPRIM_400000_NS6detail17trampoline_kernelINS0_14default_configENS1_35adjacent_difference_config_selectorILb0EjEEZNS1_24adjacent_difference_implIS3_Lb0ELb0EPKjPjN6thrust23THRUST_200600_302600_NS4plusIjEEEE10hipError_tPvRmT2_T3_mT4_P12ihipStream_tbEUlT_E_NS1_11comp_targetILNS1_3genE0ELNS1_11target_archE4294967295ELNS1_3gpuE0ELNS1_3repE0EEENS1_30default_config_static_selectorELNS0_4arch9wavefront6targetE0EEEvT1_ ; -- Begin function _ZN7rocprim17ROCPRIM_400000_NS6detail17trampoline_kernelINS0_14default_configENS1_35adjacent_difference_config_selectorILb0EjEEZNS1_24adjacent_difference_implIS3_Lb0ELb0EPKjPjN6thrust23THRUST_200600_302600_NS4plusIjEEEE10hipError_tPvRmT2_T3_mT4_P12ihipStream_tbEUlT_E_NS1_11comp_targetILNS1_3genE0ELNS1_11target_archE4294967295ELNS1_3gpuE0ELNS1_3repE0EEENS1_30default_config_static_selectorELNS0_4arch9wavefront6targetE0EEEvT1_
	.globl	_ZN7rocprim17ROCPRIM_400000_NS6detail17trampoline_kernelINS0_14default_configENS1_35adjacent_difference_config_selectorILb0EjEEZNS1_24adjacent_difference_implIS3_Lb0ELb0EPKjPjN6thrust23THRUST_200600_302600_NS4plusIjEEEE10hipError_tPvRmT2_T3_mT4_P12ihipStream_tbEUlT_E_NS1_11comp_targetILNS1_3genE0ELNS1_11target_archE4294967295ELNS1_3gpuE0ELNS1_3repE0EEENS1_30default_config_static_selectorELNS0_4arch9wavefront6targetE0EEEvT1_
	.p2align	8
	.type	_ZN7rocprim17ROCPRIM_400000_NS6detail17trampoline_kernelINS0_14default_configENS1_35adjacent_difference_config_selectorILb0EjEEZNS1_24adjacent_difference_implIS3_Lb0ELb0EPKjPjN6thrust23THRUST_200600_302600_NS4plusIjEEEE10hipError_tPvRmT2_T3_mT4_P12ihipStream_tbEUlT_E_NS1_11comp_targetILNS1_3genE0ELNS1_11target_archE4294967295ELNS1_3gpuE0ELNS1_3repE0EEENS1_30default_config_static_selectorELNS0_4arch9wavefront6targetE0EEEvT1_,@function
_ZN7rocprim17ROCPRIM_400000_NS6detail17trampoline_kernelINS0_14default_configENS1_35adjacent_difference_config_selectorILb0EjEEZNS1_24adjacent_difference_implIS3_Lb0ELb0EPKjPjN6thrust23THRUST_200600_302600_NS4plusIjEEEE10hipError_tPvRmT2_T3_mT4_P12ihipStream_tbEUlT_E_NS1_11comp_targetILNS1_3genE0ELNS1_11target_archE4294967295ELNS1_3gpuE0ELNS1_3repE0EEENS1_30default_config_static_selectorELNS0_4arch9wavefront6targetE0EEEvT1_: ; @_ZN7rocprim17ROCPRIM_400000_NS6detail17trampoline_kernelINS0_14default_configENS1_35adjacent_difference_config_selectorILb0EjEEZNS1_24adjacent_difference_implIS3_Lb0ELb0EPKjPjN6thrust23THRUST_200600_302600_NS4plusIjEEEE10hipError_tPvRmT2_T3_mT4_P12ihipStream_tbEUlT_E_NS1_11comp_targetILNS1_3genE0ELNS1_11target_archE4294967295ELNS1_3gpuE0ELNS1_3repE0EEENS1_30default_config_static_selectorELNS0_4arch9wavefront6targetE0EEEvT1_
; %bb.0:
	.section	.rodata,"a",@progbits
	.p2align	6, 0x0
	.amdhsa_kernel _ZN7rocprim17ROCPRIM_400000_NS6detail17trampoline_kernelINS0_14default_configENS1_35adjacent_difference_config_selectorILb0EjEEZNS1_24adjacent_difference_implIS3_Lb0ELb0EPKjPjN6thrust23THRUST_200600_302600_NS4plusIjEEEE10hipError_tPvRmT2_T3_mT4_P12ihipStream_tbEUlT_E_NS1_11comp_targetILNS1_3genE0ELNS1_11target_archE4294967295ELNS1_3gpuE0ELNS1_3repE0EEENS1_30default_config_static_selectorELNS0_4arch9wavefront6targetE0EEEvT1_
		.amdhsa_group_segment_fixed_size 0
		.amdhsa_private_segment_fixed_size 0
		.amdhsa_kernarg_size 56
		.amdhsa_user_sgpr_count 15
		.amdhsa_user_sgpr_dispatch_ptr 0
		.amdhsa_user_sgpr_queue_ptr 0
		.amdhsa_user_sgpr_kernarg_segment_ptr 1
		.amdhsa_user_sgpr_dispatch_id 0
		.amdhsa_user_sgpr_private_segment_size 0
		.amdhsa_wavefront_size32 1
		.amdhsa_uses_dynamic_stack 0
		.amdhsa_enable_private_segment 0
		.amdhsa_system_sgpr_workgroup_id_x 1
		.amdhsa_system_sgpr_workgroup_id_y 0
		.amdhsa_system_sgpr_workgroup_id_z 0
		.amdhsa_system_sgpr_workgroup_info 0
		.amdhsa_system_vgpr_workitem_id 0
		.amdhsa_next_free_vgpr 1
		.amdhsa_next_free_sgpr 1
		.amdhsa_reserve_vcc 0
		.amdhsa_float_round_mode_32 0
		.amdhsa_float_round_mode_16_64 0
		.amdhsa_float_denorm_mode_32 3
		.amdhsa_float_denorm_mode_16_64 3
		.amdhsa_dx10_clamp 1
		.amdhsa_ieee_mode 1
		.amdhsa_fp16_overflow 0
		.amdhsa_workgroup_processor_mode 1
		.amdhsa_memory_ordered 1
		.amdhsa_forward_progress 0
		.amdhsa_shared_vgpr_count 0
		.amdhsa_exception_fp_ieee_invalid_op 0
		.amdhsa_exception_fp_denorm_src 0
		.amdhsa_exception_fp_ieee_div_zero 0
		.amdhsa_exception_fp_ieee_overflow 0
		.amdhsa_exception_fp_ieee_underflow 0
		.amdhsa_exception_fp_ieee_inexact 0
		.amdhsa_exception_int_div_zero 0
	.end_amdhsa_kernel
	.section	.text._ZN7rocprim17ROCPRIM_400000_NS6detail17trampoline_kernelINS0_14default_configENS1_35adjacent_difference_config_selectorILb0EjEEZNS1_24adjacent_difference_implIS3_Lb0ELb0EPKjPjN6thrust23THRUST_200600_302600_NS4plusIjEEEE10hipError_tPvRmT2_T3_mT4_P12ihipStream_tbEUlT_E_NS1_11comp_targetILNS1_3genE0ELNS1_11target_archE4294967295ELNS1_3gpuE0ELNS1_3repE0EEENS1_30default_config_static_selectorELNS0_4arch9wavefront6targetE0EEEvT1_,"axG",@progbits,_ZN7rocprim17ROCPRIM_400000_NS6detail17trampoline_kernelINS0_14default_configENS1_35adjacent_difference_config_selectorILb0EjEEZNS1_24adjacent_difference_implIS3_Lb0ELb0EPKjPjN6thrust23THRUST_200600_302600_NS4plusIjEEEE10hipError_tPvRmT2_T3_mT4_P12ihipStream_tbEUlT_E_NS1_11comp_targetILNS1_3genE0ELNS1_11target_archE4294967295ELNS1_3gpuE0ELNS1_3repE0EEENS1_30default_config_static_selectorELNS0_4arch9wavefront6targetE0EEEvT1_,comdat
.Lfunc_end648:
	.size	_ZN7rocprim17ROCPRIM_400000_NS6detail17trampoline_kernelINS0_14default_configENS1_35adjacent_difference_config_selectorILb0EjEEZNS1_24adjacent_difference_implIS3_Lb0ELb0EPKjPjN6thrust23THRUST_200600_302600_NS4plusIjEEEE10hipError_tPvRmT2_T3_mT4_P12ihipStream_tbEUlT_E_NS1_11comp_targetILNS1_3genE0ELNS1_11target_archE4294967295ELNS1_3gpuE0ELNS1_3repE0EEENS1_30default_config_static_selectorELNS0_4arch9wavefront6targetE0EEEvT1_, .Lfunc_end648-_ZN7rocprim17ROCPRIM_400000_NS6detail17trampoline_kernelINS0_14default_configENS1_35adjacent_difference_config_selectorILb0EjEEZNS1_24adjacent_difference_implIS3_Lb0ELb0EPKjPjN6thrust23THRUST_200600_302600_NS4plusIjEEEE10hipError_tPvRmT2_T3_mT4_P12ihipStream_tbEUlT_E_NS1_11comp_targetILNS1_3genE0ELNS1_11target_archE4294967295ELNS1_3gpuE0ELNS1_3repE0EEENS1_30default_config_static_selectorELNS0_4arch9wavefront6targetE0EEEvT1_
                                        ; -- End function
	.section	.AMDGPU.csdata,"",@progbits
; Kernel info:
; codeLenInByte = 0
; NumSgprs: 0
; NumVgprs: 0
; ScratchSize: 0
; MemoryBound: 0
; FloatMode: 240
; IeeeMode: 1
; LDSByteSize: 0 bytes/workgroup (compile time only)
; SGPRBlocks: 0
; VGPRBlocks: 0
; NumSGPRsForWavesPerEU: 1
; NumVGPRsForWavesPerEU: 1
; Occupancy: 16
; WaveLimiterHint : 0
; COMPUTE_PGM_RSRC2:SCRATCH_EN: 0
; COMPUTE_PGM_RSRC2:USER_SGPR: 15
; COMPUTE_PGM_RSRC2:TRAP_HANDLER: 0
; COMPUTE_PGM_RSRC2:TGID_X_EN: 1
; COMPUTE_PGM_RSRC2:TGID_Y_EN: 0
; COMPUTE_PGM_RSRC2:TGID_Z_EN: 0
; COMPUTE_PGM_RSRC2:TIDIG_COMP_CNT: 0
	.section	.text._ZN7rocprim17ROCPRIM_400000_NS6detail17trampoline_kernelINS0_14default_configENS1_35adjacent_difference_config_selectorILb0EjEEZNS1_24adjacent_difference_implIS3_Lb0ELb0EPKjPjN6thrust23THRUST_200600_302600_NS4plusIjEEEE10hipError_tPvRmT2_T3_mT4_P12ihipStream_tbEUlT_E_NS1_11comp_targetILNS1_3genE10ELNS1_11target_archE1201ELNS1_3gpuE5ELNS1_3repE0EEENS1_30default_config_static_selectorELNS0_4arch9wavefront6targetE0EEEvT1_,"axG",@progbits,_ZN7rocprim17ROCPRIM_400000_NS6detail17trampoline_kernelINS0_14default_configENS1_35adjacent_difference_config_selectorILb0EjEEZNS1_24adjacent_difference_implIS3_Lb0ELb0EPKjPjN6thrust23THRUST_200600_302600_NS4plusIjEEEE10hipError_tPvRmT2_T3_mT4_P12ihipStream_tbEUlT_E_NS1_11comp_targetILNS1_3genE10ELNS1_11target_archE1201ELNS1_3gpuE5ELNS1_3repE0EEENS1_30default_config_static_selectorELNS0_4arch9wavefront6targetE0EEEvT1_,comdat
	.protected	_ZN7rocprim17ROCPRIM_400000_NS6detail17trampoline_kernelINS0_14default_configENS1_35adjacent_difference_config_selectorILb0EjEEZNS1_24adjacent_difference_implIS3_Lb0ELb0EPKjPjN6thrust23THRUST_200600_302600_NS4plusIjEEEE10hipError_tPvRmT2_T3_mT4_P12ihipStream_tbEUlT_E_NS1_11comp_targetILNS1_3genE10ELNS1_11target_archE1201ELNS1_3gpuE5ELNS1_3repE0EEENS1_30default_config_static_selectorELNS0_4arch9wavefront6targetE0EEEvT1_ ; -- Begin function _ZN7rocprim17ROCPRIM_400000_NS6detail17trampoline_kernelINS0_14default_configENS1_35adjacent_difference_config_selectorILb0EjEEZNS1_24adjacent_difference_implIS3_Lb0ELb0EPKjPjN6thrust23THRUST_200600_302600_NS4plusIjEEEE10hipError_tPvRmT2_T3_mT4_P12ihipStream_tbEUlT_E_NS1_11comp_targetILNS1_3genE10ELNS1_11target_archE1201ELNS1_3gpuE5ELNS1_3repE0EEENS1_30default_config_static_selectorELNS0_4arch9wavefront6targetE0EEEvT1_
	.globl	_ZN7rocprim17ROCPRIM_400000_NS6detail17trampoline_kernelINS0_14default_configENS1_35adjacent_difference_config_selectorILb0EjEEZNS1_24adjacent_difference_implIS3_Lb0ELb0EPKjPjN6thrust23THRUST_200600_302600_NS4plusIjEEEE10hipError_tPvRmT2_T3_mT4_P12ihipStream_tbEUlT_E_NS1_11comp_targetILNS1_3genE10ELNS1_11target_archE1201ELNS1_3gpuE5ELNS1_3repE0EEENS1_30default_config_static_selectorELNS0_4arch9wavefront6targetE0EEEvT1_
	.p2align	8
	.type	_ZN7rocprim17ROCPRIM_400000_NS6detail17trampoline_kernelINS0_14default_configENS1_35adjacent_difference_config_selectorILb0EjEEZNS1_24adjacent_difference_implIS3_Lb0ELb0EPKjPjN6thrust23THRUST_200600_302600_NS4plusIjEEEE10hipError_tPvRmT2_T3_mT4_P12ihipStream_tbEUlT_E_NS1_11comp_targetILNS1_3genE10ELNS1_11target_archE1201ELNS1_3gpuE5ELNS1_3repE0EEENS1_30default_config_static_selectorELNS0_4arch9wavefront6targetE0EEEvT1_,@function
_ZN7rocprim17ROCPRIM_400000_NS6detail17trampoline_kernelINS0_14default_configENS1_35adjacent_difference_config_selectorILb0EjEEZNS1_24adjacent_difference_implIS3_Lb0ELb0EPKjPjN6thrust23THRUST_200600_302600_NS4plusIjEEEE10hipError_tPvRmT2_T3_mT4_P12ihipStream_tbEUlT_E_NS1_11comp_targetILNS1_3genE10ELNS1_11target_archE1201ELNS1_3gpuE5ELNS1_3repE0EEENS1_30default_config_static_selectorELNS0_4arch9wavefront6targetE0EEEvT1_: ; @_ZN7rocprim17ROCPRIM_400000_NS6detail17trampoline_kernelINS0_14default_configENS1_35adjacent_difference_config_selectorILb0EjEEZNS1_24adjacent_difference_implIS3_Lb0ELb0EPKjPjN6thrust23THRUST_200600_302600_NS4plusIjEEEE10hipError_tPvRmT2_T3_mT4_P12ihipStream_tbEUlT_E_NS1_11comp_targetILNS1_3genE10ELNS1_11target_archE1201ELNS1_3gpuE5ELNS1_3repE0EEENS1_30default_config_static_selectorELNS0_4arch9wavefront6targetE0EEEvT1_
; %bb.0:
	.section	.rodata,"a",@progbits
	.p2align	6, 0x0
	.amdhsa_kernel _ZN7rocprim17ROCPRIM_400000_NS6detail17trampoline_kernelINS0_14default_configENS1_35adjacent_difference_config_selectorILb0EjEEZNS1_24adjacent_difference_implIS3_Lb0ELb0EPKjPjN6thrust23THRUST_200600_302600_NS4plusIjEEEE10hipError_tPvRmT2_T3_mT4_P12ihipStream_tbEUlT_E_NS1_11comp_targetILNS1_3genE10ELNS1_11target_archE1201ELNS1_3gpuE5ELNS1_3repE0EEENS1_30default_config_static_selectorELNS0_4arch9wavefront6targetE0EEEvT1_
		.amdhsa_group_segment_fixed_size 0
		.amdhsa_private_segment_fixed_size 0
		.amdhsa_kernarg_size 56
		.amdhsa_user_sgpr_count 15
		.amdhsa_user_sgpr_dispatch_ptr 0
		.amdhsa_user_sgpr_queue_ptr 0
		.amdhsa_user_sgpr_kernarg_segment_ptr 1
		.amdhsa_user_sgpr_dispatch_id 0
		.amdhsa_user_sgpr_private_segment_size 0
		.amdhsa_wavefront_size32 1
		.amdhsa_uses_dynamic_stack 0
		.amdhsa_enable_private_segment 0
		.amdhsa_system_sgpr_workgroup_id_x 1
		.amdhsa_system_sgpr_workgroup_id_y 0
		.amdhsa_system_sgpr_workgroup_id_z 0
		.amdhsa_system_sgpr_workgroup_info 0
		.amdhsa_system_vgpr_workitem_id 0
		.amdhsa_next_free_vgpr 1
		.amdhsa_next_free_sgpr 1
		.amdhsa_reserve_vcc 0
		.amdhsa_float_round_mode_32 0
		.amdhsa_float_round_mode_16_64 0
		.amdhsa_float_denorm_mode_32 3
		.amdhsa_float_denorm_mode_16_64 3
		.amdhsa_dx10_clamp 1
		.amdhsa_ieee_mode 1
		.amdhsa_fp16_overflow 0
		.amdhsa_workgroup_processor_mode 1
		.amdhsa_memory_ordered 1
		.amdhsa_forward_progress 0
		.amdhsa_shared_vgpr_count 0
		.amdhsa_exception_fp_ieee_invalid_op 0
		.amdhsa_exception_fp_denorm_src 0
		.amdhsa_exception_fp_ieee_div_zero 0
		.amdhsa_exception_fp_ieee_overflow 0
		.amdhsa_exception_fp_ieee_underflow 0
		.amdhsa_exception_fp_ieee_inexact 0
		.amdhsa_exception_int_div_zero 0
	.end_amdhsa_kernel
	.section	.text._ZN7rocprim17ROCPRIM_400000_NS6detail17trampoline_kernelINS0_14default_configENS1_35adjacent_difference_config_selectorILb0EjEEZNS1_24adjacent_difference_implIS3_Lb0ELb0EPKjPjN6thrust23THRUST_200600_302600_NS4plusIjEEEE10hipError_tPvRmT2_T3_mT4_P12ihipStream_tbEUlT_E_NS1_11comp_targetILNS1_3genE10ELNS1_11target_archE1201ELNS1_3gpuE5ELNS1_3repE0EEENS1_30default_config_static_selectorELNS0_4arch9wavefront6targetE0EEEvT1_,"axG",@progbits,_ZN7rocprim17ROCPRIM_400000_NS6detail17trampoline_kernelINS0_14default_configENS1_35adjacent_difference_config_selectorILb0EjEEZNS1_24adjacent_difference_implIS3_Lb0ELb0EPKjPjN6thrust23THRUST_200600_302600_NS4plusIjEEEE10hipError_tPvRmT2_T3_mT4_P12ihipStream_tbEUlT_E_NS1_11comp_targetILNS1_3genE10ELNS1_11target_archE1201ELNS1_3gpuE5ELNS1_3repE0EEENS1_30default_config_static_selectorELNS0_4arch9wavefront6targetE0EEEvT1_,comdat
.Lfunc_end649:
	.size	_ZN7rocprim17ROCPRIM_400000_NS6detail17trampoline_kernelINS0_14default_configENS1_35adjacent_difference_config_selectorILb0EjEEZNS1_24adjacent_difference_implIS3_Lb0ELb0EPKjPjN6thrust23THRUST_200600_302600_NS4plusIjEEEE10hipError_tPvRmT2_T3_mT4_P12ihipStream_tbEUlT_E_NS1_11comp_targetILNS1_3genE10ELNS1_11target_archE1201ELNS1_3gpuE5ELNS1_3repE0EEENS1_30default_config_static_selectorELNS0_4arch9wavefront6targetE0EEEvT1_, .Lfunc_end649-_ZN7rocprim17ROCPRIM_400000_NS6detail17trampoline_kernelINS0_14default_configENS1_35adjacent_difference_config_selectorILb0EjEEZNS1_24adjacent_difference_implIS3_Lb0ELb0EPKjPjN6thrust23THRUST_200600_302600_NS4plusIjEEEE10hipError_tPvRmT2_T3_mT4_P12ihipStream_tbEUlT_E_NS1_11comp_targetILNS1_3genE10ELNS1_11target_archE1201ELNS1_3gpuE5ELNS1_3repE0EEENS1_30default_config_static_selectorELNS0_4arch9wavefront6targetE0EEEvT1_
                                        ; -- End function
	.section	.AMDGPU.csdata,"",@progbits
; Kernel info:
; codeLenInByte = 0
; NumSgprs: 0
; NumVgprs: 0
; ScratchSize: 0
; MemoryBound: 0
; FloatMode: 240
; IeeeMode: 1
; LDSByteSize: 0 bytes/workgroup (compile time only)
; SGPRBlocks: 0
; VGPRBlocks: 0
; NumSGPRsForWavesPerEU: 1
; NumVGPRsForWavesPerEU: 1
; Occupancy: 16
; WaveLimiterHint : 0
; COMPUTE_PGM_RSRC2:SCRATCH_EN: 0
; COMPUTE_PGM_RSRC2:USER_SGPR: 15
; COMPUTE_PGM_RSRC2:TRAP_HANDLER: 0
; COMPUTE_PGM_RSRC2:TGID_X_EN: 1
; COMPUTE_PGM_RSRC2:TGID_Y_EN: 0
; COMPUTE_PGM_RSRC2:TGID_Z_EN: 0
; COMPUTE_PGM_RSRC2:TIDIG_COMP_CNT: 0
	.section	.text._ZN7rocprim17ROCPRIM_400000_NS6detail17trampoline_kernelINS0_14default_configENS1_35adjacent_difference_config_selectorILb0EjEEZNS1_24adjacent_difference_implIS3_Lb0ELb0EPKjPjN6thrust23THRUST_200600_302600_NS4plusIjEEEE10hipError_tPvRmT2_T3_mT4_P12ihipStream_tbEUlT_E_NS1_11comp_targetILNS1_3genE5ELNS1_11target_archE942ELNS1_3gpuE9ELNS1_3repE0EEENS1_30default_config_static_selectorELNS0_4arch9wavefront6targetE0EEEvT1_,"axG",@progbits,_ZN7rocprim17ROCPRIM_400000_NS6detail17trampoline_kernelINS0_14default_configENS1_35adjacent_difference_config_selectorILb0EjEEZNS1_24adjacent_difference_implIS3_Lb0ELb0EPKjPjN6thrust23THRUST_200600_302600_NS4plusIjEEEE10hipError_tPvRmT2_T3_mT4_P12ihipStream_tbEUlT_E_NS1_11comp_targetILNS1_3genE5ELNS1_11target_archE942ELNS1_3gpuE9ELNS1_3repE0EEENS1_30default_config_static_selectorELNS0_4arch9wavefront6targetE0EEEvT1_,comdat
	.protected	_ZN7rocprim17ROCPRIM_400000_NS6detail17trampoline_kernelINS0_14default_configENS1_35adjacent_difference_config_selectorILb0EjEEZNS1_24adjacent_difference_implIS3_Lb0ELb0EPKjPjN6thrust23THRUST_200600_302600_NS4plusIjEEEE10hipError_tPvRmT2_T3_mT4_P12ihipStream_tbEUlT_E_NS1_11comp_targetILNS1_3genE5ELNS1_11target_archE942ELNS1_3gpuE9ELNS1_3repE0EEENS1_30default_config_static_selectorELNS0_4arch9wavefront6targetE0EEEvT1_ ; -- Begin function _ZN7rocprim17ROCPRIM_400000_NS6detail17trampoline_kernelINS0_14default_configENS1_35adjacent_difference_config_selectorILb0EjEEZNS1_24adjacent_difference_implIS3_Lb0ELb0EPKjPjN6thrust23THRUST_200600_302600_NS4plusIjEEEE10hipError_tPvRmT2_T3_mT4_P12ihipStream_tbEUlT_E_NS1_11comp_targetILNS1_3genE5ELNS1_11target_archE942ELNS1_3gpuE9ELNS1_3repE0EEENS1_30default_config_static_selectorELNS0_4arch9wavefront6targetE0EEEvT1_
	.globl	_ZN7rocprim17ROCPRIM_400000_NS6detail17trampoline_kernelINS0_14default_configENS1_35adjacent_difference_config_selectorILb0EjEEZNS1_24adjacent_difference_implIS3_Lb0ELb0EPKjPjN6thrust23THRUST_200600_302600_NS4plusIjEEEE10hipError_tPvRmT2_T3_mT4_P12ihipStream_tbEUlT_E_NS1_11comp_targetILNS1_3genE5ELNS1_11target_archE942ELNS1_3gpuE9ELNS1_3repE0EEENS1_30default_config_static_selectorELNS0_4arch9wavefront6targetE0EEEvT1_
	.p2align	8
	.type	_ZN7rocprim17ROCPRIM_400000_NS6detail17trampoline_kernelINS0_14default_configENS1_35adjacent_difference_config_selectorILb0EjEEZNS1_24adjacent_difference_implIS3_Lb0ELb0EPKjPjN6thrust23THRUST_200600_302600_NS4plusIjEEEE10hipError_tPvRmT2_T3_mT4_P12ihipStream_tbEUlT_E_NS1_11comp_targetILNS1_3genE5ELNS1_11target_archE942ELNS1_3gpuE9ELNS1_3repE0EEENS1_30default_config_static_selectorELNS0_4arch9wavefront6targetE0EEEvT1_,@function
_ZN7rocprim17ROCPRIM_400000_NS6detail17trampoline_kernelINS0_14default_configENS1_35adjacent_difference_config_selectorILb0EjEEZNS1_24adjacent_difference_implIS3_Lb0ELb0EPKjPjN6thrust23THRUST_200600_302600_NS4plusIjEEEE10hipError_tPvRmT2_T3_mT4_P12ihipStream_tbEUlT_E_NS1_11comp_targetILNS1_3genE5ELNS1_11target_archE942ELNS1_3gpuE9ELNS1_3repE0EEENS1_30default_config_static_selectorELNS0_4arch9wavefront6targetE0EEEvT1_: ; @_ZN7rocprim17ROCPRIM_400000_NS6detail17trampoline_kernelINS0_14default_configENS1_35adjacent_difference_config_selectorILb0EjEEZNS1_24adjacent_difference_implIS3_Lb0ELb0EPKjPjN6thrust23THRUST_200600_302600_NS4plusIjEEEE10hipError_tPvRmT2_T3_mT4_P12ihipStream_tbEUlT_E_NS1_11comp_targetILNS1_3genE5ELNS1_11target_archE942ELNS1_3gpuE9ELNS1_3repE0EEENS1_30default_config_static_selectorELNS0_4arch9wavefront6targetE0EEEvT1_
; %bb.0:
	.section	.rodata,"a",@progbits
	.p2align	6, 0x0
	.amdhsa_kernel _ZN7rocprim17ROCPRIM_400000_NS6detail17trampoline_kernelINS0_14default_configENS1_35adjacent_difference_config_selectorILb0EjEEZNS1_24adjacent_difference_implIS3_Lb0ELb0EPKjPjN6thrust23THRUST_200600_302600_NS4plusIjEEEE10hipError_tPvRmT2_T3_mT4_P12ihipStream_tbEUlT_E_NS1_11comp_targetILNS1_3genE5ELNS1_11target_archE942ELNS1_3gpuE9ELNS1_3repE0EEENS1_30default_config_static_selectorELNS0_4arch9wavefront6targetE0EEEvT1_
		.amdhsa_group_segment_fixed_size 0
		.amdhsa_private_segment_fixed_size 0
		.amdhsa_kernarg_size 56
		.amdhsa_user_sgpr_count 15
		.amdhsa_user_sgpr_dispatch_ptr 0
		.amdhsa_user_sgpr_queue_ptr 0
		.amdhsa_user_sgpr_kernarg_segment_ptr 1
		.amdhsa_user_sgpr_dispatch_id 0
		.amdhsa_user_sgpr_private_segment_size 0
		.amdhsa_wavefront_size32 1
		.amdhsa_uses_dynamic_stack 0
		.amdhsa_enable_private_segment 0
		.amdhsa_system_sgpr_workgroup_id_x 1
		.amdhsa_system_sgpr_workgroup_id_y 0
		.amdhsa_system_sgpr_workgroup_id_z 0
		.amdhsa_system_sgpr_workgroup_info 0
		.amdhsa_system_vgpr_workitem_id 0
		.amdhsa_next_free_vgpr 1
		.amdhsa_next_free_sgpr 1
		.amdhsa_reserve_vcc 0
		.amdhsa_float_round_mode_32 0
		.amdhsa_float_round_mode_16_64 0
		.amdhsa_float_denorm_mode_32 3
		.amdhsa_float_denorm_mode_16_64 3
		.amdhsa_dx10_clamp 1
		.amdhsa_ieee_mode 1
		.amdhsa_fp16_overflow 0
		.amdhsa_workgroup_processor_mode 1
		.amdhsa_memory_ordered 1
		.amdhsa_forward_progress 0
		.amdhsa_shared_vgpr_count 0
		.amdhsa_exception_fp_ieee_invalid_op 0
		.amdhsa_exception_fp_denorm_src 0
		.amdhsa_exception_fp_ieee_div_zero 0
		.amdhsa_exception_fp_ieee_overflow 0
		.amdhsa_exception_fp_ieee_underflow 0
		.amdhsa_exception_fp_ieee_inexact 0
		.amdhsa_exception_int_div_zero 0
	.end_amdhsa_kernel
	.section	.text._ZN7rocprim17ROCPRIM_400000_NS6detail17trampoline_kernelINS0_14default_configENS1_35adjacent_difference_config_selectorILb0EjEEZNS1_24adjacent_difference_implIS3_Lb0ELb0EPKjPjN6thrust23THRUST_200600_302600_NS4plusIjEEEE10hipError_tPvRmT2_T3_mT4_P12ihipStream_tbEUlT_E_NS1_11comp_targetILNS1_3genE5ELNS1_11target_archE942ELNS1_3gpuE9ELNS1_3repE0EEENS1_30default_config_static_selectorELNS0_4arch9wavefront6targetE0EEEvT1_,"axG",@progbits,_ZN7rocprim17ROCPRIM_400000_NS6detail17trampoline_kernelINS0_14default_configENS1_35adjacent_difference_config_selectorILb0EjEEZNS1_24adjacent_difference_implIS3_Lb0ELb0EPKjPjN6thrust23THRUST_200600_302600_NS4plusIjEEEE10hipError_tPvRmT2_T3_mT4_P12ihipStream_tbEUlT_E_NS1_11comp_targetILNS1_3genE5ELNS1_11target_archE942ELNS1_3gpuE9ELNS1_3repE0EEENS1_30default_config_static_selectorELNS0_4arch9wavefront6targetE0EEEvT1_,comdat
.Lfunc_end650:
	.size	_ZN7rocprim17ROCPRIM_400000_NS6detail17trampoline_kernelINS0_14default_configENS1_35adjacent_difference_config_selectorILb0EjEEZNS1_24adjacent_difference_implIS3_Lb0ELb0EPKjPjN6thrust23THRUST_200600_302600_NS4plusIjEEEE10hipError_tPvRmT2_T3_mT4_P12ihipStream_tbEUlT_E_NS1_11comp_targetILNS1_3genE5ELNS1_11target_archE942ELNS1_3gpuE9ELNS1_3repE0EEENS1_30default_config_static_selectorELNS0_4arch9wavefront6targetE0EEEvT1_, .Lfunc_end650-_ZN7rocprim17ROCPRIM_400000_NS6detail17trampoline_kernelINS0_14default_configENS1_35adjacent_difference_config_selectorILb0EjEEZNS1_24adjacent_difference_implIS3_Lb0ELb0EPKjPjN6thrust23THRUST_200600_302600_NS4plusIjEEEE10hipError_tPvRmT2_T3_mT4_P12ihipStream_tbEUlT_E_NS1_11comp_targetILNS1_3genE5ELNS1_11target_archE942ELNS1_3gpuE9ELNS1_3repE0EEENS1_30default_config_static_selectorELNS0_4arch9wavefront6targetE0EEEvT1_
                                        ; -- End function
	.section	.AMDGPU.csdata,"",@progbits
; Kernel info:
; codeLenInByte = 0
; NumSgprs: 0
; NumVgprs: 0
; ScratchSize: 0
; MemoryBound: 0
; FloatMode: 240
; IeeeMode: 1
; LDSByteSize: 0 bytes/workgroup (compile time only)
; SGPRBlocks: 0
; VGPRBlocks: 0
; NumSGPRsForWavesPerEU: 1
; NumVGPRsForWavesPerEU: 1
; Occupancy: 16
; WaveLimiterHint : 0
; COMPUTE_PGM_RSRC2:SCRATCH_EN: 0
; COMPUTE_PGM_RSRC2:USER_SGPR: 15
; COMPUTE_PGM_RSRC2:TRAP_HANDLER: 0
; COMPUTE_PGM_RSRC2:TGID_X_EN: 1
; COMPUTE_PGM_RSRC2:TGID_Y_EN: 0
; COMPUTE_PGM_RSRC2:TGID_Z_EN: 0
; COMPUTE_PGM_RSRC2:TIDIG_COMP_CNT: 0
	.section	.text._ZN7rocprim17ROCPRIM_400000_NS6detail17trampoline_kernelINS0_14default_configENS1_35adjacent_difference_config_selectorILb0EjEEZNS1_24adjacent_difference_implIS3_Lb0ELb0EPKjPjN6thrust23THRUST_200600_302600_NS4plusIjEEEE10hipError_tPvRmT2_T3_mT4_P12ihipStream_tbEUlT_E_NS1_11comp_targetILNS1_3genE4ELNS1_11target_archE910ELNS1_3gpuE8ELNS1_3repE0EEENS1_30default_config_static_selectorELNS0_4arch9wavefront6targetE0EEEvT1_,"axG",@progbits,_ZN7rocprim17ROCPRIM_400000_NS6detail17trampoline_kernelINS0_14default_configENS1_35adjacent_difference_config_selectorILb0EjEEZNS1_24adjacent_difference_implIS3_Lb0ELb0EPKjPjN6thrust23THRUST_200600_302600_NS4plusIjEEEE10hipError_tPvRmT2_T3_mT4_P12ihipStream_tbEUlT_E_NS1_11comp_targetILNS1_3genE4ELNS1_11target_archE910ELNS1_3gpuE8ELNS1_3repE0EEENS1_30default_config_static_selectorELNS0_4arch9wavefront6targetE0EEEvT1_,comdat
	.protected	_ZN7rocprim17ROCPRIM_400000_NS6detail17trampoline_kernelINS0_14default_configENS1_35adjacent_difference_config_selectorILb0EjEEZNS1_24adjacent_difference_implIS3_Lb0ELb0EPKjPjN6thrust23THRUST_200600_302600_NS4plusIjEEEE10hipError_tPvRmT2_T3_mT4_P12ihipStream_tbEUlT_E_NS1_11comp_targetILNS1_3genE4ELNS1_11target_archE910ELNS1_3gpuE8ELNS1_3repE0EEENS1_30default_config_static_selectorELNS0_4arch9wavefront6targetE0EEEvT1_ ; -- Begin function _ZN7rocprim17ROCPRIM_400000_NS6detail17trampoline_kernelINS0_14default_configENS1_35adjacent_difference_config_selectorILb0EjEEZNS1_24adjacent_difference_implIS3_Lb0ELb0EPKjPjN6thrust23THRUST_200600_302600_NS4plusIjEEEE10hipError_tPvRmT2_T3_mT4_P12ihipStream_tbEUlT_E_NS1_11comp_targetILNS1_3genE4ELNS1_11target_archE910ELNS1_3gpuE8ELNS1_3repE0EEENS1_30default_config_static_selectorELNS0_4arch9wavefront6targetE0EEEvT1_
	.globl	_ZN7rocprim17ROCPRIM_400000_NS6detail17trampoline_kernelINS0_14default_configENS1_35adjacent_difference_config_selectorILb0EjEEZNS1_24adjacent_difference_implIS3_Lb0ELb0EPKjPjN6thrust23THRUST_200600_302600_NS4plusIjEEEE10hipError_tPvRmT2_T3_mT4_P12ihipStream_tbEUlT_E_NS1_11comp_targetILNS1_3genE4ELNS1_11target_archE910ELNS1_3gpuE8ELNS1_3repE0EEENS1_30default_config_static_selectorELNS0_4arch9wavefront6targetE0EEEvT1_
	.p2align	8
	.type	_ZN7rocprim17ROCPRIM_400000_NS6detail17trampoline_kernelINS0_14default_configENS1_35adjacent_difference_config_selectorILb0EjEEZNS1_24adjacent_difference_implIS3_Lb0ELb0EPKjPjN6thrust23THRUST_200600_302600_NS4plusIjEEEE10hipError_tPvRmT2_T3_mT4_P12ihipStream_tbEUlT_E_NS1_11comp_targetILNS1_3genE4ELNS1_11target_archE910ELNS1_3gpuE8ELNS1_3repE0EEENS1_30default_config_static_selectorELNS0_4arch9wavefront6targetE0EEEvT1_,@function
_ZN7rocprim17ROCPRIM_400000_NS6detail17trampoline_kernelINS0_14default_configENS1_35adjacent_difference_config_selectorILb0EjEEZNS1_24adjacent_difference_implIS3_Lb0ELb0EPKjPjN6thrust23THRUST_200600_302600_NS4plusIjEEEE10hipError_tPvRmT2_T3_mT4_P12ihipStream_tbEUlT_E_NS1_11comp_targetILNS1_3genE4ELNS1_11target_archE910ELNS1_3gpuE8ELNS1_3repE0EEENS1_30default_config_static_selectorELNS0_4arch9wavefront6targetE0EEEvT1_: ; @_ZN7rocprim17ROCPRIM_400000_NS6detail17trampoline_kernelINS0_14default_configENS1_35adjacent_difference_config_selectorILb0EjEEZNS1_24adjacent_difference_implIS3_Lb0ELb0EPKjPjN6thrust23THRUST_200600_302600_NS4plusIjEEEE10hipError_tPvRmT2_T3_mT4_P12ihipStream_tbEUlT_E_NS1_11comp_targetILNS1_3genE4ELNS1_11target_archE910ELNS1_3gpuE8ELNS1_3repE0EEENS1_30default_config_static_selectorELNS0_4arch9wavefront6targetE0EEEvT1_
; %bb.0:
	.section	.rodata,"a",@progbits
	.p2align	6, 0x0
	.amdhsa_kernel _ZN7rocprim17ROCPRIM_400000_NS6detail17trampoline_kernelINS0_14default_configENS1_35adjacent_difference_config_selectorILb0EjEEZNS1_24adjacent_difference_implIS3_Lb0ELb0EPKjPjN6thrust23THRUST_200600_302600_NS4plusIjEEEE10hipError_tPvRmT2_T3_mT4_P12ihipStream_tbEUlT_E_NS1_11comp_targetILNS1_3genE4ELNS1_11target_archE910ELNS1_3gpuE8ELNS1_3repE0EEENS1_30default_config_static_selectorELNS0_4arch9wavefront6targetE0EEEvT1_
		.amdhsa_group_segment_fixed_size 0
		.amdhsa_private_segment_fixed_size 0
		.amdhsa_kernarg_size 56
		.amdhsa_user_sgpr_count 15
		.amdhsa_user_sgpr_dispatch_ptr 0
		.amdhsa_user_sgpr_queue_ptr 0
		.amdhsa_user_sgpr_kernarg_segment_ptr 1
		.amdhsa_user_sgpr_dispatch_id 0
		.amdhsa_user_sgpr_private_segment_size 0
		.amdhsa_wavefront_size32 1
		.amdhsa_uses_dynamic_stack 0
		.amdhsa_enable_private_segment 0
		.amdhsa_system_sgpr_workgroup_id_x 1
		.amdhsa_system_sgpr_workgroup_id_y 0
		.amdhsa_system_sgpr_workgroup_id_z 0
		.amdhsa_system_sgpr_workgroup_info 0
		.amdhsa_system_vgpr_workitem_id 0
		.amdhsa_next_free_vgpr 1
		.amdhsa_next_free_sgpr 1
		.amdhsa_reserve_vcc 0
		.amdhsa_float_round_mode_32 0
		.amdhsa_float_round_mode_16_64 0
		.amdhsa_float_denorm_mode_32 3
		.amdhsa_float_denorm_mode_16_64 3
		.amdhsa_dx10_clamp 1
		.amdhsa_ieee_mode 1
		.amdhsa_fp16_overflow 0
		.amdhsa_workgroup_processor_mode 1
		.amdhsa_memory_ordered 1
		.amdhsa_forward_progress 0
		.amdhsa_shared_vgpr_count 0
		.amdhsa_exception_fp_ieee_invalid_op 0
		.amdhsa_exception_fp_denorm_src 0
		.amdhsa_exception_fp_ieee_div_zero 0
		.amdhsa_exception_fp_ieee_overflow 0
		.amdhsa_exception_fp_ieee_underflow 0
		.amdhsa_exception_fp_ieee_inexact 0
		.amdhsa_exception_int_div_zero 0
	.end_amdhsa_kernel
	.section	.text._ZN7rocprim17ROCPRIM_400000_NS6detail17trampoline_kernelINS0_14default_configENS1_35adjacent_difference_config_selectorILb0EjEEZNS1_24adjacent_difference_implIS3_Lb0ELb0EPKjPjN6thrust23THRUST_200600_302600_NS4plusIjEEEE10hipError_tPvRmT2_T3_mT4_P12ihipStream_tbEUlT_E_NS1_11comp_targetILNS1_3genE4ELNS1_11target_archE910ELNS1_3gpuE8ELNS1_3repE0EEENS1_30default_config_static_selectorELNS0_4arch9wavefront6targetE0EEEvT1_,"axG",@progbits,_ZN7rocprim17ROCPRIM_400000_NS6detail17trampoline_kernelINS0_14default_configENS1_35adjacent_difference_config_selectorILb0EjEEZNS1_24adjacent_difference_implIS3_Lb0ELb0EPKjPjN6thrust23THRUST_200600_302600_NS4plusIjEEEE10hipError_tPvRmT2_T3_mT4_P12ihipStream_tbEUlT_E_NS1_11comp_targetILNS1_3genE4ELNS1_11target_archE910ELNS1_3gpuE8ELNS1_3repE0EEENS1_30default_config_static_selectorELNS0_4arch9wavefront6targetE0EEEvT1_,comdat
.Lfunc_end651:
	.size	_ZN7rocprim17ROCPRIM_400000_NS6detail17trampoline_kernelINS0_14default_configENS1_35adjacent_difference_config_selectorILb0EjEEZNS1_24adjacent_difference_implIS3_Lb0ELb0EPKjPjN6thrust23THRUST_200600_302600_NS4plusIjEEEE10hipError_tPvRmT2_T3_mT4_P12ihipStream_tbEUlT_E_NS1_11comp_targetILNS1_3genE4ELNS1_11target_archE910ELNS1_3gpuE8ELNS1_3repE0EEENS1_30default_config_static_selectorELNS0_4arch9wavefront6targetE0EEEvT1_, .Lfunc_end651-_ZN7rocprim17ROCPRIM_400000_NS6detail17trampoline_kernelINS0_14default_configENS1_35adjacent_difference_config_selectorILb0EjEEZNS1_24adjacent_difference_implIS3_Lb0ELb0EPKjPjN6thrust23THRUST_200600_302600_NS4plusIjEEEE10hipError_tPvRmT2_T3_mT4_P12ihipStream_tbEUlT_E_NS1_11comp_targetILNS1_3genE4ELNS1_11target_archE910ELNS1_3gpuE8ELNS1_3repE0EEENS1_30default_config_static_selectorELNS0_4arch9wavefront6targetE0EEEvT1_
                                        ; -- End function
	.section	.AMDGPU.csdata,"",@progbits
; Kernel info:
; codeLenInByte = 0
; NumSgprs: 0
; NumVgprs: 0
; ScratchSize: 0
; MemoryBound: 0
; FloatMode: 240
; IeeeMode: 1
; LDSByteSize: 0 bytes/workgroup (compile time only)
; SGPRBlocks: 0
; VGPRBlocks: 0
; NumSGPRsForWavesPerEU: 1
; NumVGPRsForWavesPerEU: 1
; Occupancy: 16
; WaveLimiterHint : 0
; COMPUTE_PGM_RSRC2:SCRATCH_EN: 0
; COMPUTE_PGM_RSRC2:USER_SGPR: 15
; COMPUTE_PGM_RSRC2:TRAP_HANDLER: 0
; COMPUTE_PGM_RSRC2:TGID_X_EN: 1
; COMPUTE_PGM_RSRC2:TGID_Y_EN: 0
; COMPUTE_PGM_RSRC2:TGID_Z_EN: 0
; COMPUTE_PGM_RSRC2:TIDIG_COMP_CNT: 0
	.section	.text._ZN7rocprim17ROCPRIM_400000_NS6detail17trampoline_kernelINS0_14default_configENS1_35adjacent_difference_config_selectorILb0EjEEZNS1_24adjacent_difference_implIS3_Lb0ELb0EPKjPjN6thrust23THRUST_200600_302600_NS4plusIjEEEE10hipError_tPvRmT2_T3_mT4_P12ihipStream_tbEUlT_E_NS1_11comp_targetILNS1_3genE3ELNS1_11target_archE908ELNS1_3gpuE7ELNS1_3repE0EEENS1_30default_config_static_selectorELNS0_4arch9wavefront6targetE0EEEvT1_,"axG",@progbits,_ZN7rocprim17ROCPRIM_400000_NS6detail17trampoline_kernelINS0_14default_configENS1_35adjacent_difference_config_selectorILb0EjEEZNS1_24adjacent_difference_implIS3_Lb0ELb0EPKjPjN6thrust23THRUST_200600_302600_NS4plusIjEEEE10hipError_tPvRmT2_T3_mT4_P12ihipStream_tbEUlT_E_NS1_11comp_targetILNS1_3genE3ELNS1_11target_archE908ELNS1_3gpuE7ELNS1_3repE0EEENS1_30default_config_static_selectorELNS0_4arch9wavefront6targetE0EEEvT1_,comdat
	.protected	_ZN7rocprim17ROCPRIM_400000_NS6detail17trampoline_kernelINS0_14default_configENS1_35adjacent_difference_config_selectorILb0EjEEZNS1_24adjacent_difference_implIS3_Lb0ELb0EPKjPjN6thrust23THRUST_200600_302600_NS4plusIjEEEE10hipError_tPvRmT2_T3_mT4_P12ihipStream_tbEUlT_E_NS1_11comp_targetILNS1_3genE3ELNS1_11target_archE908ELNS1_3gpuE7ELNS1_3repE0EEENS1_30default_config_static_selectorELNS0_4arch9wavefront6targetE0EEEvT1_ ; -- Begin function _ZN7rocprim17ROCPRIM_400000_NS6detail17trampoline_kernelINS0_14default_configENS1_35adjacent_difference_config_selectorILb0EjEEZNS1_24adjacent_difference_implIS3_Lb0ELb0EPKjPjN6thrust23THRUST_200600_302600_NS4plusIjEEEE10hipError_tPvRmT2_T3_mT4_P12ihipStream_tbEUlT_E_NS1_11comp_targetILNS1_3genE3ELNS1_11target_archE908ELNS1_3gpuE7ELNS1_3repE0EEENS1_30default_config_static_selectorELNS0_4arch9wavefront6targetE0EEEvT1_
	.globl	_ZN7rocprim17ROCPRIM_400000_NS6detail17trampoline_kernelINS0_14default_configENS1_35adjacent_difference_config_selectorILb0EjEEZNS1_24adjacent_difference_implIS3_Lb0ELb0EPKjPjN6thrust23THRUST_200600_302600_NS4plusIjEEEE10hipError_tPvRmT2_T3_mT4_P12ihipStream_tbEUlT_E_NS1_11comp_targetILNS1_3genE3ELNS1_11target_archE908ELNS1_3gpuE7ELNS1_3repE0EEENS1_30default_config_static_selectorELNS0_4arch9wavefront6targetE0EEEvT1_
	.p2align	8
	.type	_ZN7rocprim17ROCPRIM_400000_NS6detail17trampoline_kernelINS0_14default_configENS1_35adjacent_difference_config_selectorILb0EjEEZNS1_24adjacent_difference_implIS3_Lb0ELb0EPKjPjN6thrust23THRUST_200600_302600_NS4plusIjEEEE10hipError_tPvRmT2_T3_mT4_P12ihipStream_tbEUlT_E_NS1_11comp_targetILNS1_3genE3ELNS1_11target_archE908ELNS1_3gpuE7ELNS1_3repE0EEENS1_30default_config_static_selectorELNS0_4arch9wavefront6targetE0EEEvT1_,@function
_ZN7rocprim17ROCPRIM_400000_NS6detail17trampoline_kernelINS0_14default_configENS1_35adjacent_difference_config_selectorILb0EjEEZNS1_24adjacent_difference_implIS3_Lb0ELb0EPKjPjN6thrust23THRUST_200600_302600_NS4plusIjEEEE10hipError_tPvRmT2_T3_mT4_P12ihipStream_tbEUlT_E_NS1_11comp_targetILNS1_3genE3ELNS1_11target_archE908ELNS1_3gpuE7ELNS1_3repE0EEENS1_30default_config_static_selectorELNS0_4arch9wavefront6targetE0EEEvT1_: ; @_ZN7rocprim17ROCPRIM_400000_NS6detail17trampoline_kernelINS0_14default_configENS1_35adjacent_difference_config_selectorILb0EjEEZNS1_24adjacent_difference_implIS3_Lb0ELb0EPKjPjN6thrust23THRUST_200600_302600_NS4plusIjEEEE10hipError_tPvRmT2_T3_mT4_P12ihipStream_tbEUlT_E_NS1_11comp_targetILNS1_3genE3ELNS1_11target_archE908ELNS1_3gpuE7ELNS1_3repE0EEENS1_30default_config_static_selectorELNS0_4arch9wavefront6targetE0EEEvT1_
; %bb.0:
	.section	.rodata,"a",@progbits
	.p2align	6, 0x0
	.amdhsa_kernel _ZN7rocprim17ROCPRIM_400000_NS6detail17trampoline_kernelINS0_14default_configENS1_35adjacent_difference_config_selectorILb0EjEEZNS1_24adjacent_difference_implIS3_Lb0ELb0EPKjPjN6thrust23THRUST_200600_302600_NS4plusIjEEEE10hipError_tPvRmT2_T3_mT4_P12ihipStream_tbEUlT_E_NS1_11comp_targetILNS1_3genE3ELNS1_11target_archE908ELNS1_3gpuE7ELNS1_3repE0EEENS1_30default_config_static_selectorELNS0_4arch9wavefront6targetE0EEEvT1_
		.amdhsa_group_segment_fixed_size 0
		.amdhsa_private_segment_fixed_size 0
		.amdhsa_kernarg_size 56
		.amdhsa_user_sgpr_count 15
		.amdhsa_user_sgpr_dispatch_ptr 0
		.amdhsa_user_sgpr_queue_ptr 0
		.amdhsa_user_sgpr_kernarg_segment_ptr 1
		.amdhsa_user_sgpr_dispatch_id 0
		.amdhsa_user_sgpr_private_segment_size 0
		.amdhsa_wavefront_size32 1
		.amdhsa_uses_dynamic_stack 0
		.amdhsa_enable_private_segment 0
		.amdhsa_system_sgpr_workgroup_id_x 1
		.amdhsa_system_sgpr_workgroup_id_y 0
		.amdhsa_system_sgpr_workgroup_id_z 0
		.amdhsa_system_sgpr_workgroup_info 0
		.amdhsa_system_vgpr_workitem_id 0
		.amdhsa_next_free_vgpr 1
		.amdhsa_next_free_sgpr 1
		.amdhsa_reserve_vcc 0
		.amdhsa_float_round_mode_32 0
		.amdhsa_float_round_mode_16_64 0
		.amdhsa_float_denorm_mode_32 3
		.amdhsa_float_denorm_mode_16_64 3
		.amdhsa_dx10_clamp 1
		.amdhsa_ieee_mode 1
		.amdhsa_fp16_overflow 0
		.amdhsa_workgroup_processor_mode 1
		.amdhsa_memory_ordered 1
		.amdhsa_forward_progress 0
		.amdhsa_shared_vgpr_count 0
		.amdhsa_exception_fp_ieee_invalid_op 0
		.amdhsa_exception_fp_denorm_src 0
		.amdhsa_exception_fp_ieee_div_zero 0
		.amdhsa_exception_fp_ieee_overflow 0
		.amdhsa_exception_fp_ieee_underflow 0
		.amdhsa_exception_fp_ieee_inexact 0
		.amdhsa_exception_int_div_zero 0
	.end_amdhsa_kernel
	.section	.text._ZN7rocprim17ROCPRIM_400000_NS6detail17trampoline_kernelINS0_14default_configENS1_35adjacent_difference_config_selectorILb0EjEEZNS1_24adjacent_difference_implIS3_Lb0ELb0EPKjPjN6thrust23THRUST_200600_302600_NS4plusIjEEEE10hipError_tPvRmT2_T3_mT4_P12ihipStream_tbEUlT_E_NS1_11comp_targetILNS1_3genE3ELNS1_11target_archE908ELNS1_3gpuE7ELNS1_3repE0EEENS1_30default_config_static_selectorELNS0_4arch9wavefront6targetE0EEEvT1_,"axG",@progbits,_ZN7rocprim17ROCPRIM_400000_NS6detail17trampoline_kernelINS0_14default_configENS1_35adjacent_difference_config_selectorILb0EjEEZNS1_24adjacent_difference_implIS3_Lb0ELb0EPKjPjN6thrust23THRUST_200600_302600_NS4plusIjEEEE10hipError_tPvRmT2_T3_mT4_P12ihipStream_tbEUlT_E_NS1_11comp_targetILNS1_3genE3ELNS1_11target_archE908ELNS1_3gpuE7ELNS1_3repE0EEENS1_30default_config_static_selectorELNS0_4arch9wavefront6targetE0EEEvT1_,comdat
.Lfunc_end652:
	.size	_ZN7rocprim17ROCPRIM_400000_NS6detail17trampoline_kernelINS0_14default_configENS1_35adjacent_difference_config_selectorILb0EjEEZNS1_24adjacent_difference_implIS3_Lb0ELb0EPKjPjN6thrust23THRUST_200600_302600_NS4plusIjEEEE10hipError_tPvRmT2_T3_mT4_P12ihipStream_tbEUlT_E_NS1_11comp_targetILNS1_3genE3ELNS1_11target_archE908ELNS1_3gpuE7ELNS1_3repE0EEENS1_30default_config_static_selectorELNS0_4arch9wavefront6targetE0EEEvT1_, .Lfunc_end652-_ZN7rocprim17ROCPRIM_400000_NS6detail17trampoline_kernelINS0_14default_configENS1_35adjacent_difference_config_selectorILb0EjEEZNS1_24adjacent_difference_implIS3_Lb0ELb0EPKjPjN6thrust23THRUST_200600_302600_NS4plusIjEEEE10hipError_tPvRmT2_T3_mT4_P12ihipStream_tbEUlT_E_NS1_11comp_targetILNS1_3genE3ELNS1_11target_archE908ELNS1_3gpuE7ELNS1_3repE0EEENS1_30default_config_static_selectorELNS0_4arch9wavefront6targetE0EEEvT1_
                                        ; -- End function
	.section	.AMDGPU.csdata,"",@progbits
; Kernel info:
; codeLenInByte = 0
; NumSgprs: 0
; NumVgprs: 0
; ScratchSize: 0
; MemoryBound: 0
; FloatMode: 240
; IeeeMode: 1
; LDSByteSize: 0 bytes/workgroup (compile time only)
; SGPRBlocks: 0
; VGPRBlocks: 0
; NumSGPRsForWavesPerEU: 1
; NumVGPRsForWavesPerEU: 1
; Occupancy: 16
; WaveLimiterHint : 0
; COMPUTE_PGM_RSRC2:SCRATCH_EN: 0
; COMPUTE_PGM_RSRC2:USER_SGPR: 15
; COMPUTE_PGM_RSRC2:TRAP_HANDLER: 0
; COMPUTE_PGM_RSRC2:TGID_X_EN: 1
; COMPUTE_PGM_RSRC2:TGID_Y_EN: 0
; COMPUTE_PGM_RSRC2:TGID_Z_EN: 0
; COMPUTE_PGM_RSRC2:TIDIG_COMP_CNT: 0
	.section	.text._ZN7rocprim17ROCPRIM_400000_NS6detail17trampoline_kernelINS0_14default_configENS1_35adjacent_difference_config_selectorILb0EjEEZNS1_24adjacent_difference_implIS3_Lb0ELb0EPKjPjN6thrust23THRUST_200600_302600_NS4plusIjEEEE10hipError_tPvRmT2_T3_mT4_P12ihipStream_tbEUlT_E_NS1_11comp_targetILNS1_3genE2ELNS1_11target_archE906ELNS1_3gpuE6ELNS1_3repE0EEENS1_30default_config_static_selectorELNS0_4arch9wavefront6targetE0EEEvT1_,"axG",@progbits,_ZN7rocprim17ROCPRIM_400000_NS6detail17trampoline_kernelINS0_14default_configENS1_35adjacent_difference_config_selectorILb0EjEEZNS1_24adjacent_difference_implIS3_Lb0ELb0EPKjPjN6thrust23THRUST_200600_302600_NS4plusIjEEEE10hipError_tPvRmT2_T3_mT4_P12ihipStream_tbEUlT_E_NS1_11comp_targetILNS1_3genE2ELNS1_11target_archE906ELNS1_3gpuE6ELNS1_3repE0EEENS1_30default_config_static_selectorELNS0_4arch9wavefront6targetE0EEEvT1_,comdat
	.protected	_ZN7rocprim17ROCPRIM_400000_NS6detail17trampoline_kernelINS0_14default_configENS1_35adjacent_difference_config_selectorILb0EjEEZNS1_24adjacent_difference_implIS3_Lb0ELb0EPKjPjN6thrust23THRUST_200600_302600_NS4plusIjEEEE10hipError_tPvRmT2_T3_mT4_P12ihipStream_tbEUlT_E_NS1_11comp_targetILNS1_3genE2ELNS1_11target_archE906ELNS1_3gpuE6ELNS1_3repE0EEENS1_30default_config_static_selectorELNS0_4arch9wavefront6targetE0EEEvT1_ ; -- Begin function _ZN7rocprim17ROCPRIM_400000_NS6detail17trampoline_kernelINS0_14default_configENS1_35adjacent_difference_config_selectorILb0EjEEZNS1_24adjacent_difference_implIS3_Lb0ELb0EPKjPjN6thrust23THRUST_200600_302600_NS4plusIjEEEE10hipError_tPvRmT2_T3_mT4_P12ihipStream_tbEUlT_E_NS1_11comp_targetILNS1_3genE2ELNS1_11target_archE906ELNS1_3gpuE6ELNS1_3repE0EEENS1_30default_config_static_selectorELNS0_4arch9wavefront6targetE0EEEvT1_
	.globl	_ZN7rocprim17ROCPRIM_400000_NS6detail17trampoline_kernelINS0_14default_configENS1_35adjacent_difference_config_selectorILb0EjEEZNS1_24adjacent_difference_implIS3_Lb0ELb0EPKjPjN6thrust23THRUST_200600_302600_NS4plusIjEEEE10hipError_tPvRmT2_T3_mT4_P12ihipStream_tbEUlT_E_NS1_11comp_targetILNS1_3genE2ELNS1_11target_archE906ELNS1_3gpuE6ELNS1_3repE0EEENS1_30default_config_static_selectorELNS0_4arch9wavefront6targetE0EEEvT1_
	.p2align	8
	.type	_ZN7rocprim17ROCPRIM_400000_NS6detail17trampoline_kernelINS0_14default_configENS1_35adjacent_difference_config_selectorILb0EjEEZNS1_24adjacent_difference_implIS3_Lb0ELb0EPKjPjN6thrust23THRUST_200600_302600_NS4plusIjEEEE10hipError_tPvRmT2_T3_mT4_P12ihipStream_tbEUlT_E_NS1_11comp_targetILNS1_3genE2ELNS1_11target_archE906ELNS1_3gpuE6ELNS1_3repE0EEENS1_30default_config_static_selectorELNS0_4arch9wavefront6targetE0EEEvT1_,@function
_ZN7rocprim17ROCPRIM_400000_NS6detail17trampoline_kernelINS0_14default_configENS1_35adjacent_difference_config_selectorILb0EjEEZNS1_24adjacent_difference_implIS3_Lb0ELb0EPKjPjN6thrust23THRUST_200600_302600_NS4plusIjEEEE10hipError_tPvRmT2_T3_mT4_P12ihipStream_tbEUlT_E_NS1_11comp_targetILNS1_3genE2ELNS1_11target_archE906ELNS1_3gpuE6ELNS1_3repE0EEENS1_30default_config_static_selectorELNS0_4arch9wavefront6targetE0EEEvT1_: ; @_ZN7rocprim17ROCPRIM_400000_NS6detail17trampoline_kernelINS0_14default_configENS1_35adjacent_difference_config_selectorILb0EjEEZNS1_24adjacent_difference_implIS3_Lb0ELb0EPKjPjN6thrust23THRUST_200600_302600_NS4plusIjEEEE10hipError_tPvRmT2_T3_mT4_P12ihipStream_tbEUlT_E_NS1_11comp_targetILNS1_3genE2ELNS1_11target_archE906ELNS1_3gpuE6ELNS1_3repE0EEENS1_30default_config_static_selectorELNS0_4arch9wavefront6targetE0EEEvT1_
; %bb.0:
	.section	.rodata,"a",@progbits
	.p2align	6, 0x0
	.amdhsa_kernel _ZN7rocprim17ROCPRIM_400000_NS6detail17trampoline_kernelINS0_14default_configENS1_35adjacent_difference_config_selectorILb0EjEEZNS1_24adjacent_difference_implIS3_Lb0ELb0EPKjPjN6thrust23THRUST_200600_302600_NS4plusIjEEEE10hipError_tPvRmT2_T3_mT4_P12ihipStream_tbEUlT_E_NS1_11comp_targetILNS1_3genE2ELNS1_11target_archE906ELNS1_3gpuE6ELNS1_3repE0EEENS1_30default_config_static_selectorELNS0_4arch9wavefront6targetE0EEEvT1_
		.amdhsa_group_segment_fixed_size 0
		.amdhsa_private_segment_fixed_size 0
		.amdhsa_kernarg_size 56
		.amdhsa_user_sgpr_count 15
		.amdhsa_user_sgpr_dispatch_ptr 0
		.amdhsa_user_sgpr_queue_ptr 0
		.amdhsa_user_sgpr_kernarg_segment_ptr 1
		.amdhsa_user_sgpr_dispatch_id 0
		.amdhsa_user_sgpr_private_segment_size 0
		.amdhsa_wavefront_size32 1
		.amdhsa_uses_dynamic_stack 0
		.amdhsa_enable_private_segment 0
		.amdhsa_system_sgpr_workgroup_id_x 1
		.amdhsa_system_sgpr_workgroup_id_y 0
		.amdhsa_system_sgpr_workgroup_id_z 0
		.amdhsa_system_sgpr_workgroup_info 0
		.amdhsa_system_vgpr_workitem_id 0
		.amdhsa_next_free_vgpr 1
		.amdhsa_next_free_sgpr 1
		.amdhsa_reserve_vcc 0
		.amdhsa_float_round_mode_32 0
		.amdhsa_float_round_mode_16_64 0
		.amdhsa_float_denorm_mode_32 3
		.amdhsa_float_denorm_mode_16_64 3
		.amdhsa_dx10_clamp 1
		.amdhsa_ieee_mode 1
		.amdhsa_fp16_overflow 0
		.amdhsa_workgroup_processor_mode 1
		.amdhsa_memory_ordered 1
		.amdhsa_forward_progress 0
		.amdhsa_shared_vgpr_count 0
		.amdhsa_exception_fp_ieee_invalid_op 0
		.amdhsa_exception_fp_denorm_src 0
		.amdhsa_exception_fp_ieee_div_zero 0
		.amdhsa_exception_fp_ieee_overflow 0
		.amdhsa_exception_fp_ieee_underflow 0
		.amdhsa_exception_fp_ieee_inexact 0
		.amdhsa_exception_int_div_zero 0
	.end_amdhsa_kernel
	.section	.text._ZN7rocprim17ROCPRIM_400000_NS6detail17trampoline_kernelINS0_14default_configENS1_35adjacent_difference_config_selectorILb0EjEEZNS1_24adjacent_difference_implIS3_Lb0ELb0EPKjPjN6thrust23THRUST_200600_302600_NS4plusIjEEEE10hipError_tPvRmT2_T3_mT4_P12ihipStream_tbEUlT_E_NS1_11comp_targetILNS1_3genE2ELNS1_11target_archE906ELNS1_3gpuE6ELNS1_3repE0EEENS1_30default_config_static_selectorELNS0_4arch9wavefront6targetE0EEEvT1_,"axG",@progbits,_ZN7rocprim17ROCPRIM_400000_NS6detail17trampoline_kernelINS0_14default_configENS1_35adjacent_difference_config_selectorILb0EjEEZNS1_24adjacent_difference_implIS3_Lb0ELb0EPKjPjN6thrust23THRUST_200600_302600_NS4plusIjEEEE10hipError_tPvRmT2_T3_mT4_P12ihipStream_tbEUlT_E_NS1_11comp_targetILNS1_3genE2ELNS1_11target_archE906ELNS1_3gpuE6ELNS1_3repE0EEENS1_30default_config_static_selectorELNS0_4arch9wavefront6targetE0EEEvT1_,comdat
.Lfunc_end653:
	.size	_ZN7rocprim17ROCPRIM_400000_NS6detail17trampoline_kernelINS0_14default_configENS1_35adjacent_difference_config_selectorILb0EjEEZNS1_24adjacent_difference_implIS3_Lb0ELb0EPKjPjN6thrust23THRUST_200600_302600_NS4plusIjEEEE10hipError_tPvRmT2_T3_mT4_P12ihipStream_tbEUlT_E_NS1_11comp_targetILNS1_3genE2ELNS1_11target_archE906ELNS1_3gpuE6ELNS1_3repE0EEENS1_30default_config_static_selectorELNS0_4arch9wavefront6targetE0EEEvT1_, .Lfunc_end653-_ZN7rocprim17ROCPRIM_400000_NS6detail17trampoline_kernelINS0_14default_configENS1_35adjacent_difference_config_selectorILb0EjEEZNS1_24adjacent_difference_implIS3_Lb0ELb0EPKjPjN6thrust23THRUST_200600_302600_NS4plusIjEEEE10hipError_tPvRmT2_T3_mT4_P12ihipStream_tbEUlT_E_NS1_11comp_targetILNS1_3genE2ELNS1_11target_archE906ELNS1_3gpuE6ELNS1_3repE0EEENS1_30default_config_static_selectorELNS0_4arch9wavefront6targetE0EEEvT1_
                                        ; -- End function
	.section	.AMDGPU.csdata,"",@progbits
; Kernel info:
; codeLenInByte = 0
; NumSgprs: 0
; NumVgprs: 0
; ScratchSize: 0
; MemoryBound: 0
; FloatMode: 240
; IeeeMode: 1
; LDSByteSize: 0 bytes/workgroup (compile time only)
; SGPRBlocks: 0
; VGPRBlocks: 0
; NumSGPRsForWavesPerEU: 1
; NumVGPRsForWavesPerEU: 1
; Occupancy: 16
; WaveLimiterHint : 0
; COMPUTE_PGM_RSRC2:SCRATCH_EN: 0
; COMPUTE_PGM_RSRC2:USER_SGPR: 15
; COMPUTE_PGM_RSRC2:TRAP_HANDLER: 0
; COMPUTE_PGM_RSRC2:TGID_X_EN: 1
; COMPUTE_PGM_RSRC2:TGID_Y_EN: 0
; COMPUTE_PGM_RSRC2:TGID_Z_EN: 0
; COMPUTE_PGM_RSRC2:TIDIG_COMP_CNT: 0
	.section	.text._ZN7rocprim17ROCPRIM_400000_NS6detail17trampoline_kernelINS0_14default_configENS1_35adjacent_difference_config_selectorILb0EjEEZNS1_24adjacent_difference_implIS3_Lb0ELb0EPKjPjN6thrust23THRUST_200600_302600_NS4plusIjEEEE10hipError_tPvRmT2_T3_mT4_P12ihipStream_tbEUlT_E_NS1_11comp_targetILNS1_3genE9ELNS1_11target_archE1100ELNS1_3gpuE3ELNS1_3repE0EEENS1_30default_config_static_selectorELNS0_4arch9wavefront6targetE0EEEvT1_,"axG",@progbits,_ZN7rocprim17ROCPRIM_400000_NS6detail17trampoline_kernelINS0_14default_configENS1_35adjacent_difference_config_selectorILb0EjEEZNS1_24adjacent_difference_implIS3_Lb0ELb0EPKjPjN6thrust23THRUST_200600_302600_NS4plusIjEEEE10hipError_tPvRmT2_T3_mT4_P12ihipStream_tbEUlT_E_NS1_11comp_targetILNS1_3genE9ELNS1_11target_archE1100ELNS1_3gpuE3ELNS1_3repE0EEENS1_30default_config_static_selectorELNS0_4arch9wavefront6targetE0EEEvT1_,comdat
	.protected	_ZN7rocprim17ROCPRIM_400000_NS6detail17trampoline_kernelINS0_14default_configENS1_35adjacent_difference_config_selectorILb0EjEEZNS1_24adjacent_difference_implIS3_Lb0ELb0EPKjPjN6thrust23THRUST_200600_302600_NS4plusIjEEEE10hipError_tPvRmT2_T3_mT4_P12ihipStream_tbEUlT_E_NS1_11comp_targetILNS1_3genE9ELNS1_11target_archE1100ELNS1_3gpuE3ELNS1_3repE0EEENS1_30default_config_static_selectorELNS0_4arch9wavefront6targetE0EEEvT1_ ; -- Begin function _ZN7rocprim17ROCPRIM_400000_NS6detail17trampoline_kernelINS0_14default_configENS1_35adjacent_difference_config_selectorILb0EjEEZNS1_24adjacent_difference_implIS3_Lb0ELb0EPKjPjN6thrust23THRUST_200600_302600_NS4plusIjEEEE10hipError_tPvRmT2_T3_mT4_P12ihipStream_tbEUlT_E_NS1_11comp_targetILNS1_3genE9ELNS1_11target_archE1100ELNS1_3gpuE3ELNS1_3repE0EEENS1_30default_config_static_selectorELNS0_4arch9wavefront6targetE0EEEvT1_
	.globl	_ZN7rocprim17ROCPRIM_400000_NS6detail17trampoline_kernelINS0_14default_configENS1_35adjacent_difference_config_selectorILb0EjEEZNS1_24adjacent_difference_implIS3_Lb0ELb0EPKjPjN6thrust23THRUST_200600_302600_NS4plusIjEEEE10hipError_tPvRmT2_T3_mT4_P12ihipStream_tbEUlT_E_NS1_11comp_targetILNS1_3genE9ELNS1_11target_archE1100ELNS1_3gpuE3ELNS1_3repE0EEENS1_30default_config_static_selectorELNS0_4arch9wavefront6targetE0EEEvT1_
	.p2align	8
	.type	_ZN7rocprim17ROCPRIM_400000_NS6detail17trampoline_kernelINS0_14default_configENS1_35adjacent_difference_config_selectorILb0EjEEZNS1_24adjacent_difference_implIS3_Lb0ELb0EPKjPjN6thrust23THRUST_200600_302600_NS4plusIjEEEE10hipError_tPvRmT2_T3_mT4_P12ihipStream_tbEUlT_E_NS1_11comp_targetILNS1_3genE9ELNS1_11target_archE1100ELNS1_3gpuE3ELNS1_3repE0EEENS1_30default_config_static_selectorELNS0_4arch9wavefront6targetE0EEEvT1_,@function
_ZN7rocprim17ROCPRIM_400000_NS6detail17trampoline_kernelINS0_14default_configENS1_35adjacent_difference_config_selectorILb0EjEEZNS1_24adjacent_difference_implIS3_Lb0ELb0EPKjPjN6thrust23THRUST_200600_302600_NS4plusIjEEEE10hipError_tPvRmT2_T3_mT4_P12ihipStream_tbEUlT_E_NS1_11comp_targetILNS1_3genE9ELNS1_11target_archE1100ELNS1_3gpuE3ELNS1_3repE0EEENS1_30default_config_static_selectorELNS0_4arch9wavefront6targetE0EEEvT1_: ; @_ZN7rocprim17ROCPRIM_400000_NS6detail17trampoline_kernelINS0_14default_configENS1_35adjacent_difference_config_selectorILb0EjEEZNS1_24adjacent_difference_implIS3_Lb0ELb0EPKjPjN6thrust23THRUST_200600_302600_NS4plusIjEEEE10hipError_tPvRmT2_T3_mT4_P12ihipStream_tbEUlT_E_NS1_11comp_targetILNS1_3genE9ELNS1_11target_archE1100ELNS1_3gpuE3ELNS1_3repE0EEENS1_30default_config_static_selectorELNS0_4arch9wavefront6targetE0EEEvT1_
; %bb.0:
	s_load_b256 s[4:11], s[0:1], 0x0
	s_mov_b32 s2, 0x2cccca00
	s_waitcnt lgkmcnt(0)
	s_lshl_b64 s[6:7], s[6:7], 2
	s_delay_alu instid0(SALU_CYCLE_1) | instskip(SKIP_4) | instid1(VALU_DEP_1)
	s_add_u32 s17, s4, s6
	s_addc_u32 s18, s5, s7
	s_add_u32 s2, 0x230, s2
	s_addc_u32 s3, 0, 0
	v_add_co_u32 v1, s2, 0xa0000000, s2
	s_cmp_lg_u32 s2, 0
	s_addc_u32 s3, s3, 0xccccc
	s_delay_alu instid0(VALU_DEP_1) | instskip(SKIP_1) | instid1(VALU_DEP_1)
	v_readfirstlane_b32 s2, v1
	s_mul_i32 s4, s3, 0xffffec00
	s_mul_hi_u32 s5, s2, 0xffffec00
	s_mul_i32 s12, s2, 0xffffec00
	s_sub_i32 s5, s5, s2
	s_mul_hi_u32 s13, s2, s12
	s_add_i32 s5, s5, s4
	s_mul_hi_u32 s14, s3, s12
	s_mul_i32 s4, s3, s12
	s_mul_hi_u32 s12, s2, s5
	s_mul_i32 s2, s2, s5
	s_mul_hi_u32 s16, s3, s5
	s_add_u32 s2, s13, s2
	s_addc_u32 s12, 0, s12
	s_add_u32 s2, s2, s4
	s_mul_i32 s5, s3, s5
	s_addc_u32 s2, s12, s14
	s_addc_u32 s4, s16, 0
	s_add_u32 s2, s2, s5
	s_addc_u32 s4, 0, s4
	v_add_co_u32 v1, s2, v1, s2
	s_delay_alu instid0(VALU_DEP_1) | instskip(SKIP_1) | instid1(VALU_DEP_1)
	s_cmp_lg_u32 s2, 0
	s_addc_u32 s2, s3, s4
	v_readfirstlane_b32 s3, v1
	s_mul_i32 s5, s10, s2
	s_mul_hi_u32 s4, s10, s2
	s_mul_hi_u32 s12, s11, s2
	s_mul_i32 s2, s11, s2
	s_mul_hi_u32 s13, s10, s3
	s_mul_hi_u32 s14, s11, s3
	s_mul_i32 s3, s11, s3
	s_add_u32 s5, s13, s5
	s_addc_u32 s4, 0, s4
	s_add_u32 s3, s5, s3
	s_addc_u32 s3, s4, s14
	s_addc_u32 s4, s12, 0
	s_add_u32 s5, s3, s2
	s_addc_u32 s4, 0, s4
	s_mul_i32 s3, s5, 0x1400
	s_add_u32 s2, s5, 1
	v_sub_co_u32 v1, s3, s10, s3
	s_mul_hi_u32 s12, s5, 0x1400
	s_addc_u32 s13, s4, 0
	s_mul_i32 s14, s4, 0x1400
	s_delay_alu instid0(VALU_DEP_1)
	v_subrev_co_u32 v2, s16, 0x1400, v1
	s_add_u32 s19, s5, 2
	s_addc_u32 s20, s4, 0
	s_add_i32 s12, s12, s14
	s_cmp_lg_u32 s3, 0
	v_readfirstlane_b32 s3, v2
	s_subb_u32 s12, s11, s12
	s_cmp_lg_u32 s16, 0
	s_subb_u32 s14, s12, 0
	s_delay_alu instid0(VALU_DEP_1) | instskip(SKIP_4) | instid1(SALU_CYCLE_1)
	s_cmpk_gt_u32 s3, 0x13ff
	s_cselect_b32 s3, -1, 0
	s_cmp_eq_u32 s14, 0
	v_readfirstlane_b32 s14, v1
	s_cselect_b32 s3, s3, -1
	s_cmp_lg_u32 s3, 0
	s_cselect_b32 s16, s19, s2
	s_cselect_b32 s13, s20, s13
	s_cmpk_gt_u32 s14, 0x13ff
	s_mov_b32 s14, -1
	s_cselect_b32 s2, -1, 0
	s_cmp_eq_u32 s12, 0
	s_cselect_b32 s2, s2, -1
	s_delay_alu instid0(SALU_CYCLE_1)
	s_cmp_lg_u32 s2, 0
	s_load_b64 s[2:3], s[0:1], 0x30
	s_cselect_b32 s4, s13, s4
	s_cselect_b32 s5, s16, s5
	s_mul_i32 s0, s4, 0x1400
	s_mul_hi_u32 s1, s5, 0x1400
	s_mul_i32 s12, s5, 0x1400
	s_add_i32 s1, s1, s0
	s_sub_u32 s0, s10, s12
	s_subb_u32 s1, s11, s1
	s_delay_alu instid0(SALU_CYCLE_1) | instskip(SKIP_1) | instid1(SALU_CYCLE_1)
	s_cmp_lg_u64 s[0:1], 0
	s_cselect_b32 s0, -1, 0
	v_cndmask_b32_e64 v1, 0, 1, s0
	s_delay_alu instid0(VALU_DEP_1) | instskip(NEXT) | instid1(VALU_DEP_1)
	v_readfirstlane_b32 s0, v1
	s_add_u32 s0, s5, s0
	s_addc_u32 s1, s4, 0
	s_waitcnt lgkmcnt(0)
	s_add_u32 s4, s2, s15
	s_addc_u32 s5, s3, 0
	s_add_u32 s12, s0, -1
	s_addc_u32 s13, s1, -1
	s_mul_i32 s2, s15, 0x1400
	v_cmp_ge_u64_e64 s16, s[4:5], s[12:13]
	s_mov_b32 s3, 0
	s_mul_i32 s11, s12, 0xffffec00
	s_delay_alu instid0(VALU_DEP_1)
	s_and_b32 vcc_lo, exec_lo, s16
	s_cbranch_vccz .LBB654_12
; %bb.1:
	s_lshl_b64 s[14:15], s[2:3], 2
	s_add_i32 s19, s11, s10
	s_add_u32 s14, s17, s14
	s_addc_u32 s15, s18, s15
	s_mov_b32 s3, exec_lo
                                        ; implicit-def: $vgpr1_vgpr2_vgpr3_vgpr4_vgpr5
	v_cmpx_gt_u32_e64 s19, v0
	s_cbranch_execz .LBB654_3
; %bb.2:
	v_lshlrev_b32_e32 v1, 2, v0
	global_load_b32 v1, v1, s[14:15]
.LBB654_3:
	s_or_b32 exec_lo, exec_lo, s3
	v_or_b32_e32 v6, 0x400, v0
	s_mov_b32 s3, exec_lo
	s_delay_alu instid0(VALU_DEP_1)
	v_cmpx_gt_u32_e64 s19, v6
	s_cbranch_execz .LBB654_5
; %bb.4:
	v_lshlrev_b32_e32 v2, 2, v6
	global_load_b32 v2, v2, s[14:15]
.LBB654_5:
	s_or_b32 exec_lo, exec_lo, s3
	v_or_b32_e32 v6, 0x800, v0
	s_mov_b32 s3, exec_lo
	s_delay_alu instid0(VALU_DEP_1)
	;; [unrolled: 10-line block ×4, first 2 shown]
	v_cmpx_gt_u32_e64 s19, v6
	s_cbranch_execz .LBB654_11
; %bb.10:
	v_lshlrev_b32_e32 v5, 2, v6
	global_load_b32 v5, v5, s[14:15]
.LBB654_11:
	s_or_b32 exec_lo, exec_lo, s3
	v_lshlrev_b32_e32 v6, 2, v0
	s_mov_b32 s14, 0
	s_waitcnt vmcnt(0)
	ds_store_2addr_stride64_b32 v6, v1, v2 offset1:16
	ds_store_2addr_stride64_b32 v6, v3, v4 offset0:32 offset1:48
	ds_store_b32 v6, v5 offset:16384
	s_waitcnt lgkmcnt(0)
	s_barrier
.LBB654_12:
	v_lshlrev_b32_e32 v8, 2, v0
	s_and_b32 vcc_lo, exec_lo, s14
	s_cbranch_vccz .LBB654_14
; %bb.13:
	s_mov_b32 s3, 0
	s_delay_alu instid0(SALU_CYCLE_1) | instskip(NEXT) | instid1(SALU_CYCLE_1)
	s_lshl_b64 s[14:15], s[2:3], 2
	s_add_u32 s14, s17, s14
	s_addc_u32 s15, s18, s15
	v_add_co_u32 v3, s3, s14, v8
	s_delay_alu instid0(VALU_DEP_1) | instskip(NEXT) | instid1(VALU_DEP_2)
	v_add_co_ci_u32_e64 v4, null, s15, 0, s3
	v_add_co_u32 v1, vcc_lo, v3, 0x2000
	s_delay_alu instid0(VALU_DEP_2)
	v_add_co_ci_u32_e32 v2, vcc_lo, 0, v4, vcc_lo
	v_add_co_u32 v3, vcc_lo, v3, 0x4000
	v_add_co_ci_u32_e32 v4, vcc_lo, 0, v4, vcc_lo
	s_clause 0x4
	global_load_b32 v5, v8, s[14:15]
	global_load_b32 v6, v[1:2], off offset:-4096
	global_load_b32 v1, v[1:2], off
	global_load_b32 v2, v[3:4], off offset:-4096
	global_load_b32 v3, v[3:4], off
	s_waitcnt vmcnt(3)
	ds_store_2addr_stride64_b32 v8, v5, v6 offset1:16
	s_waitcnt vmcnt(1)
	ds_store_2addr_stride64_b32 v8, v1, v2 offset0:32 offset1:48
	s_waitcnt vmcnt(0)
	ds_store_b32 v8, v3 offset:16384
	s_waitcnt lgkmcnt(0)
	s_barrier
.LBB654_14:
	v_mul_u32_u24_e32 v1, 5, v0
	buffer_gl0_inv
	s_cmp_eq_u64 s[4:5], 0
	v_lshlrev_b32_e32 v5, 2, v1
	ds_load_2addr_b32 v[1:2], v5 offset1:1
	ds_load_2addr_b32 v[3:4], v5 offset0:2 offset1:3
	ds_load_b32 v5, v5 offset:16
	s_waitcnt lgkmcnt(0)
	s_barrier
	buffer_gl0_inv
	s_cbranch_scc1 .LBB654_19
; %bb.15:
	s_mov_b32 s3, 0
	s_delay_alu instid0(SALU_CYCLE_1) | instskip(NEXT) | instid1(SALU_CYCLE_1)
	s_lshl_b64 s[14:15], s[2:3], 2
	s_add_u32 s3, s17, s14
	s_addc_u32 s15, s18, s15
	s_add_u32 s14, s3, -4
	s_addc_u32 s15, s15, -1
	s_cmp_eq_u64 s[4:5], s[12:13]
	s_load_b32 s3, s[14:15], 0x0
	s_cbranch_scc1 .LBB654_20
; %bb.16:
	s_waitcnt lgkmcnt(0)
	v_mov_b32_e32 v6, s3
	s_mov_b32 s5, exec_lo
	ds_store_b32 v8, v5
	s_waitcnt lgkmcnt(0)
	s_barrier
	buffer_gl0_inv
	v_cmpx_ne_u32_e32 0, v0
	s_cbranch_execz .LBB654_18
; %bb.17:
	v_add_nc_u32_e32 v6, -4, v8
	ds_load_b32 v6, v6
.LBB654_18:
	s_or_b32 exec_lo, exec_lo, s5
	v_add_nc_u32_e32 v9, v5, v4
	v_add_nc_u32_e32 v10, v4, v3
	;; [unrolled: 1-line block ×4, first 2 shown]
	s_cbranch_execz .LBB654_21
	s_branch .LBB654_24
.LBB654_19:
	s_mov_b32 s3, 0
                                        ; implicit-def: $vgpr9
                                        ; implicit-def: $vgpr10
                                        ; implicit-def: $vgpr11
                                        ; implicit-def: $vgpr12
                                        ; implicit-def: $vgpr6
	s_branch .LBB654_25
.LBB654_20:
                                        ; implicit-def: $vgpr9
                                        ; implicit-def: $vgpr10
                                        ; implicit-def: $vgpr11
                                        ; implicit-def: $vgpr12
                                        ; implicit-def: $vgpr6
.LBB654_21:
	s_waitcnt lgkmcnt(0)
	v_mul_u32_u24_e32 v6, 5, v0
	v_mov_b32_e32 v7, s3
	s_mov_b32 s3, exec_lo
	ds_store_b32 v8, v5
	s_waitcnt lgkmcnt(0)
	s_barrier
	buffer_gl0_inv
	v_cmpx_ne_u32_e32 0, v0
	s_cbranch_execz .LBB654_23
; %bb.22:
	v_add_nc_u32_e32 v7, -4, v8
	ds_load_b32 v7, v7
.LBB654_23:
	s_or_b32 exec_lo, exec_lo, s3
	v_add_nc_u32_e32 v11, v4, v3
	v_add_nc_u32_e32 v9, 4, v6
	s_mul_i32 s3, s4, 0xffffec00
	v_add_nc_u32_e32 v13, v3, v2
	s_add_i32 s3, s3, s10
	v_add_nc_u32_e32 v10, v5, v4
	v_cmp_gt_u32_e32 vcc_lo, s3, v9
	v_add_nc_u32_e32 v15, v2, v1
	v_add_nc_u32_e32 v12, 2, v6
	;; [unrolled: 1-line block ×3, first 2 shown]
	v_cndmask_b32_e32 v9, v5, v10, vcc_lo
	v_add_nc_u32_e32 v10, 3, v6
	s_delay_alu instid0(VALU_DEP_1)
	v_cmp_gt_u32_e32 vcc_lo, s3, v10
	v_cndmask_b32_e32 v10, v4, v11, vcc_lo
	v_cmp_gt_u32_e32 vcc_lo, s3, v12
	v_cndmask_b32_e32 v11, v3, v13, vcc_lo
	;; [unrolled: 2-line block ×3, first 2 shown]
	v_cmp_gt_u32_e32 vcc_lo, s3, v6
	s_waitcnt lgkmcnt(0)
	v_cndmask_b32_e32 v6, 0, v7, vcc_lo
.LBB654_24:
	s_waitcnt lgkmcnt(0)
	s_mov_b32 s3, -1
	s_cbranch_execnz .LBB654_33
.LBB654_25:
	v_add_nc_u32_e32 v9, v5, v4
	v_add_nc_u32_e32 v10, v4, v3
	;; [unrolled: 1-line block ×4, first 2 shown]
	v_cmp_ne_u32_e32 vcc_lo, 0, v0
	s_cmp_lg_u64 s[0:1], 1
	s_cbranch_scc0 .LBB654_29
; %bb.26:
	s_mov_b32 s0, 0
	ds_store_b32 v8, v5
	s_waitcnt lgkmcnt(0)
	s_barrier
	buffer_gl0_inv
                                        ; implicit-def: $vgpr6
	s_and_saveexec_b32 s1, vcc_lo
	s_cbranch_execz .LBB654_28
; %bb.27:
	v_add_nc_u32_e32 v6, -4, v8
	s_or_b32 s3, s3, exec_lo
	ds_load_b32 v6, v6
.LBB654_28:
	s_or_b32 exec_lo, exec_lo, s1
	s_delay_alu instid0(SALU_CYCLE_1)
	s_and_b32 vcc_lo, exec_lo, s0
	s_cbranch_vccnz .LBB654_30
	s_branch .LBB654_33
.LBB654_29:
                                        ; implicit-def: $vgpr6
	s_cbranch_execz .LBB654_33
.LBB654_30:
	s_waitcnt lgkmcnt(0)
	v_mad_u32_u24 v6, v0, 5, 4
	v_mad_u32_u24 v7, v0, 5, 3
	;; [unrolled: 1-line block ×3, first 2 shown]
	v_mul_u32_u24_e32 v13, 5, v0
	ds_store_b32 v8, v5
	v_cmp_gt_u32_e32 vcc_lo, s10, v6
	s_waitcnt lgkmcnt(0)
	s_barrier
	v_cmp_gt_u32_e64 s0, s10, v13
	buffer_gl0_inv
	v_cndmask_b32_e32 v9, v5, v9, vcc_lo
	v_cmp_gt_u32_e32 vcc_lo, s10, v7
                                        ; implicit-def: $vgpr6
	v_cndmask_b32_e32 v10, v4, v10, vcc_lo
	v_mad_u32_u24 v4, v0, 5, 1
	v_cmp_gt_u32_e32 vcc_lo, s10, v14
	s_delay_alu instid0(VALU_DEP_2) | instskip(SKIP_2) | instid1(VALU_DEP_3)
	v_cmp_gt_u32_e64 s1, s10, v4
	v_cndmask_b32_e32 v11, v3, v11, vcc_lo
	v_cmp_ne_u32_e32 vcc_lo, 0, v0
	v_cndmask_b32_e64 v12, v2, v12, s1
	s_and_b32 s1, vcc_lo, s0
	s_delay_alu instid0(SALU_CYCLE_1)
	s_and_saveexec_b32 s0, s1
	s_cbranch_execz .LBB654_32
; %bb.31:
	v_add_nc_u32_e32 v2, -4, v8
	s_or_b32 s3, s3, exec_lo
	ds_load_b32 v6, v2
.LBB654_32:
	s_or_b32 exec_lo, exec_lo, s0
.LBB654_33:
	s_and_saveexec_b32 s0, s3
	s_cbranch_execz .LBB654_35
; %bb.34:
	s_waitcnt lgkmcnt(0)
	v_add_nc_u32_e32 v1, v6, v1
.LBB654_35:
	s_or_b32 exec_lo, exec_lo, s0
	v_mul_u32_u24_e32 v13, 20, v0
	v_lshlrev_b32_e32 v14, 4, v0
	s_add_u32 s1, s8, s6
	s_addc_u32 s0, s9, s7
	s_and_b32 vcc_lo, exec_lo, s16
	s_waitcnt lgkmcnt(0)
	s_barrier
	buffer_gl0_inv
	s_cbranch_vccz .LBB654_45
; %bb.36:
	v_sub_nc_u32_e32 v2, v13, v14
	ds_store_2addr_b32 v13, v1, v12 offset1:1
	ds_store_2addr_b32 v13, v11, v10 offset0:2 offset1:3
	ds_store_b32 v13, v9 offset:16
	s_waitcnt lgkmcnt(0)
	s_barrier
	buffer_gl0_inv
	ds_load_2addr_stride64_b32 v[6:7], v2 offset0:16 offset1:32
	ds_load_2addr_stride64_b32 v[2:3], v2 offset0:48 offset1:64
	s_mov_b32 s3, 0
	s_add_i32 s11, s11, s10
	s_lshl_b64 s[4:5], s[2:3], 2
	s_delay_alu instid0(SALU_CYCLE_1) | instskip(SKIP_2) | instid1(VALU_DEP_1)
	s_add_u32 s3, s1, s4
	s_addc_u32 s4, s0, s5
	v_add_co_u32 v4, s3, s3, v8
	v_add_co_ci_u32_e64 v5, null, s4, 0, s3
	s_mov_b32 s3, exec_lo
	v_cmpx_gt_u32_e64 s11, v0
	s_cbranch_execz .LBB654_38
; %bb.37:
	v_sub_nc_u32_e32 v15, 0, v14
	s_delay_alu instid0(VALU_DEP_1)
	v_add_nc_u32_e32 v15, v13, v15
	ds_load_b32 v15, v15
	s_waitcnt lgkmcnt(0)
	global_store_b32 v[4:5], v15, off
.LBB654_38:
	s_or_b32 exec_lo, exec_lo, s3
	v_or_b32_e32 v15, 0x400, v0
	s_mov_b32 s3, exec_lo
	s_delay_alu instid0(VALU_DEP_1)
	v_cmpx_gt_u32_e64 s11, v15
	s_cbranch_execz .LBB654_40
; %bb.39:
	v_add_co_u32 v15, vcc_lo, 0x1000, v4
	v_add_co_ci_u32_e32 v16, vcc_lo, 0, v5, vcc_lo
	s_waitcnt lgkmcnt(1)
	global_store_b32 v[15:16], v6, off
.LBB654_40:
	s_or_b32 exec_lo, exec_lo, s3
	s_waitcnt lgkmcnt(1)
	v_or_b32_e32 v6, 0x800, v0
	s_mov_b32 s3, exec_lo
	s_delay_alu instid0(VALU_DEP_1)
	v_cmpx_gt_u32_e64 s11, v6
	s_cbranch_execz .LBB654_42
; %bb.41:
	v_add_co_u32 v15, vcc_lo, 0x2000, v4
	v_add_co_ci_u32_e32 v16, vcc_lo, 0, v5, vcc_lo
	global_store_b32 v[15:16], v7, off
.LBB654_42:
	s_or_b32 exec_lo, exec_lo, s3
	v_or_b32_e32 v6, 0xc00, v0
	s_mov_b32 s3, exec_lo
	s_delay_alu instid0(VALU_DEP_1)
	v_cmpx_gt_u32_e64 s11, v6
	s_cbranch_execz .LBB654_44
; %bb.43:
	v_add_co_u32 v6, vcc_lo, 0x3000, v4
	v_add_co_ci_u32_e32 v7, vcc_lo, 0, v5, vcc_lo
	s_waitcnt lgkmcnt(0)
	global_store_b32 v[6:7], v2, off
.LBB654_44:
	s_or_b32 exec_lo, exec_lo, s3
	v_or_b32_e32 v0, 0x1000, v0
	s_delay_alu instid0(VALU_DEP_1)
	v_cmp_gt_u32_e64 s4, s11, v0
	s_branch .LBB654_47
.LBB654_45:
	s_mov_b32 s4, 0
                                        ; implicit-def: $vgpr3
                                        ; implicit-def: $vgpr4_vgpr5
	s_cbranch_execz .LBB654_47
; %bb.46:
	s_waitcnt lgkmcnt(0)
	v_sub_nc_u32_e32 v2, v13, v14
	s_mov_b32 s3, 0
	ds_store_2addr_b32 v13, v1, v12 offset1:1
	ds_store_2addr_b32 v13, v11, v10 offset0:2 offset1:3
	ds_store_b32 v13, v9 offset:16
	s_waitcnt lgkmcnt(0)
	s_waitcnt_vscnt null, 0x0
	s_barrier
	buffer_gl0_inv
	ds_load_2addr_stride64_b32 v[0:1], v2 offset1:16
	ds_load_2addr_stride64_b32 v[6:7], v2 offset0:32 offset1:48
	ds_load_b32 v3, v2 offset:16384
	s_lshl_b64 s[2:3], s[2:3], 2
	s_delay_alu instid0(SALU_CYCLE_1) | instskip(SKIP_2) | instid1(VALU_DEP_1)
	s_add_u32 s2, s1, s2
	s_addc_u32 s3, s0, s3
	v_add_co_u32 v4, s0, s2, v8
	v_add_co_ci_u32_e64 v5, null, s3, 0, s0
	s_or_b32 s4, s4, exec_lo
	s_delay_alu instid0(VALU_DEP_2) | instskip(NEXT) | instid1(VALU_DEP_2)
	v_add_co_u32 v9, vcc_lo, v4, 0x2000
	v_add_co_ci_u32_e32 v10, vcc_lo, 0, v5, vcc_lo
	v_add_co_u32 v11, vcc_lo, 0x3000, v4
	v_add_co_ci_u32_e32 v12, vcc_lo, 0, v5, vcc_lo
	s_waitcnt lgkmcnt(2)
	s_clause 0x1
	global_store_b32 v[9:10], v1, off offset:-4096
	global_store_b32 v8, v0, s[2:3]
	s_waitcnt lgkmcnt(1)
	s_clause 0x1
	global_store_b32 v[9:10], v6, off
	global_store_b32 v[11:12], v7, off
.LBB654_47:
	s_delay_alu instid0(VALU_DEP_1)
	s_and_saveexec_b32 s0, s4
	s_cbranch_execnz .LBB654_49
; %bb.48:
	s_nop 0
	s_sendmsg sendmsg(MSG_DEALLOC_VGPRS)
	s_endpgm
.LBB654_49:
	v_add_co_u32 v0, vcc_lo, 0x4000, v4
	v_add_co_ci_u32_e32 v1, vcc_lo, 0, v5, vcc_lo
	s_waitcnt lgkmcnt(0)
	global_store_b32 v[0:1], v3, off
	s_nop 0
	s_sendmsg sendmsg(MSG_DEALLOC_VGPRS)
	s_endpgm
	.section	.rodata,"a",@progbits
	.p2align	6, 0x0
	.amdhsa_kernel _ZN7rocprim17ROCPRIM_400000_NS6detail17trampoline_kernelINS0_14default_configENS1_35adjacent_difference_config_selectorILb0EjEEZNS1_24adjacent_difference_implIS3_Lb0ELb0EPKjPjN6thrust23THRUST_200600_302600_NS4plusIjEEEE10hipError_tPvRmT2_T3_mT4_P12ihipStream_tbEUlT_E_NS1_11comp_targetILNS1_3genE9ELNS1_11target_archE1100ELNS1_3gpuE3ELNS1_3repE0EEENS1_30default_config_static_selectorELNS0_4arch9wavefront6targetE0EEEvT1_
		.amdhsa_group_segment_fixed_size 20480
		.amdhsa_private_segment_fixed_size 0
		.amdhsa_kernarg_size 56
		.amdhsa_user_sgpr_count 15
		.amdhsa_user_sgpr_dispatch_ptr 0
		.amdhsa_user_sgpr_queue_ptr 0
		.amdhsa_user_sgpr_kernarg_segment_ptr 1
		.amdhsa_user_sgpr_dispatch_id 0
		.amdhsa_user_sgpr_private_segment_size 0
		.amdhsa_wavefront_size32 1
		.amdhsa_uses_dynamic_stack 0
		.amdhsa_enable_private_segment 0
		.amdhsa_system_sgpr_workgroup_id_x 1
		.amdhsa_system_sgpr_workgroup_id_y 0
		.amdhsa_system_sgpr_workgroup_id_z 0
		.amdhsa_system_sgpr_workgroup_info 0
		.amdhsa_system_vgpr_workitem_id 0
		.amdhsa_next_free_vgpr 17
		.amdhsa_next_free_sgpr 21
		.amdhsa_reserve_vcc 1
		.amdhsa_float_round_mode_32 0
		.amdhsa_float_round_mode_16_64 0
		.amdhsa_float_denorm_mode_32 3
		.amdhsa_float_denorm_mode_16_64 3
		.amdhsa_dx10_clamp 1
		.amdhsa_ieee_mode 1
		.amdhsa_fp16_overflow 0
		.amdhsa_workgroup_processor_mode 1
		.amdhsa_memory_ordered 1
		.amdhsa_forward_progress 0
		.amdhsa_shared_vgpr_count 0
		.amdhsa_exception_fp_ieee_invalid_op 0
		.amdhsa_exception_fp_denorm_src 0
		.amdhsa_exception_fp_ieee_div_zero 0
		.amdhsa_exception_fp_ieee_overflow 0
		.amdhsa_exception_fp_ieee_underflow 0
		.amdhsa_exception_fp_ieee_inexact 0
		.amdhsa_exception_int_div_zero 0
	.end_amdhsa_kernel
	.section	.text._ZN7rocprim17ROCPRIM_400000_NS6detail17trampoline_kernelINS0_14default_configENS1_35adjacent_difference_config_selectorILb0EjEEZNS1_24adjacent_difference_implIS3_Lb0ELb0EPKjPjN6thrust23THRUST_200600_302600_NS4plusIjEEEE10hipError_tPvRmT2_T3_mT4_P12ihipStream_tbEUlT_E_NS1_11comp_targetILNS1_3genE9ELNS1_11target_archE1100ELNS1_3gpuE3ELNS1_3repE0EEENS1_30default_config_static_selectorELNS0_4arch9wavefront6targetE0EEEvT1_,"axG",@progbits,_ZN7rocprim17ROCPRIM_400000_NS6detail17trampoline_kernelINS0_14default_configENS1_35adjacent_difference_config_selectorILb0EjEEZNS1_24adjacent_difference_implIS3_Lb0ELb0EPKjPjN6thrust23THRUST_200600_302600_NS4plusIjEEEE10hipError_tPvRmT2_T3_mT4_P12ihipStream_tbEUlT_E_NS1_11comp_targetILNS1_3genE9ELNS1_11target_archE1100ELNS1_3gpuE3ELNS1_3repE0EEENS1_30default_config_static_selectorELNS0_4arch9wavefront6targetE0EEEvT1_,comdat
.Lfunc_end654:
	.size	_ZN7rocprim17ROCPRIM_400000_NS6detail17trampoline_kernelINS0_14default_configENS1_35adjacent_difference_config_selectorILb0EjEEZNS1_24adjacent_difference_implIS3_Lb0ELb0EPKjPjN6thrust23THRUST_200600_302600_NS4plusIjEEEE10hipError_tPvRmT2_T3_mT4_P12ihipStream_tbEUlT_E_NS1_11comp_targetILNS1_3genE9ELNS1_11target_archE1100ELNS1_3gpuE3ELNS1_3repE0EEENS1_30default_config_static_selectorELNS0_4arch9wavefront6targetE0EEEvT1_, .Lfunc_end654-_ZN7rocprim17ROCPRIM_400000_NS6detail17trampoline_kernelINS0_14default_configENS1_35adjacent_difference_config_selectorILb0EjEEZNS1_24adjacent_difference_implIS3_Lb0ELb0EPKjPjN6thrust23THRUST_200600_302600_NS4plusIjEEEE10hipError_tPvRmT2_T3_mT4_P12ihipStream_tbEUlT_E_NS1_11comp_targetILNS1_3genE9ELNS1_11target_archE1100ELNS1_3gpuE3ELNS1_3repE0EEENS1_30default_config_static_selectorELNS0_4arch9wavefront6targetE0EEEvT1_
                                        ; -- End function
	.section	.AMDGPU.csdata,"",@progbits
; Kernel info:
; codeLenInByte = 2308
; NumSgprs: 23
; NumVgprs: 17
; ScratchSize: 0
; MemoryBound: 0
; FloatMode: 240
; IeeeMode: 1
; LDSByteSize: 20480 bytes/workgroup (compile time only)
; SGPRBlocks: 2
; VGPRBlocks: 2
; NumSGPRsForWavesPerEU: 23
; NumVGPRsForWavesPerEU: 17
; Occupancy: 16
; WaveLimiterHint : 1
; COMPUTE_PGM_RSRC2:SCRATCH_EN: 0
; COMPUTE_PGM_RSRC2:USER_SGPR: 15
; COMPUTE_PGM_RSRC2:TRAP_HANDLER: 0
; COMPUTE_PGM_RSRC2:TGID_X_EN: 1
; COMPUTE_PGM_RSRC2:TGID_Y_EN: 0
; COMPUTE_PGM_RSRC2:TGID_Z_EN: 0
; COMPUTE_PGM_RSRC2:TIDIG_COMP_CNT: 0
	.section	.text._ZN7rocprim17ROCPRIM_400000_NS6detail17trampoline_kernelINS0_14default_configENS1_35adjacent_difference_config_selectorILb0EjEEZNS1_24adjacent_difference_implIS3_Lb0ELb0EPKjPjN6thrust23THRUST_200600_302600_NS4plusIjEEEE10hipError_tPvRmT2_T3_mT4_P12ihipStream_tbEUlT_E_NS1_11comp_targetILNS1_3genE8ELNS1_11target_archE1030ELNS1_3gpuE2ELNS1_3repE0EEENS1_30default_config_static_selectorELNS0_4arch9wavefront6targetE0EEEvT1_,"axG",@progbits,_ZN7rocprim17ROCPRIM_400000_NS6detail17trampoline_kernelINS0_14default_configENS1_35adjacent_difference_config_selectorILb0EjEEZNS1_24adjacent_difference_implIS3_Lb0ELb0EPKjPjN6thrust23THRUST_200600_302600_NS4plusIjEEEE10hipError_tPvRmT2_T3_mT4_P12ihipStream_tbEUlT_E_NS1_11comp_targetILNS1_3genE8ELNS1_11target_archE1030ELNS1_3gpuE2ELNS1_3repE0EEENS1_30default_config_static_selectorELNS0_4arch9wavefront6targetE0EEEvT1_,comdat
	.protected	_ZN7rocprim17ROCPRIM_400000_NS6detail17trampoline_kernelINS0_14default_configENS1_35adjacent_difference_config_selectorILb0EjEEZNS1_24adjacent_difference_implIS3_Lb0ELb0EPKjPjN6thrust23THRUST_200600_302600_NS4plusIjEEEE10hipError_tPvRmT2_T3_mT4_P12ihipStream_tbEUlT_E_NS1_11comp_targetILNS1_3genE8ELNS1_11target_archE1030ELNS1_3gpuE2ELNS1_3repE0EEENS1_30default_config_static_selectorELNS0_4arch9wavefront6targetE0EEEvT1_ ; -- Begin function _ZN7rocprim17ROCPRIM_400000_NS6detail17trampoline_kernelINS0_14default_configENS1_35adjacent_difference_config_selectorILb0EjEEZNS1_24adjacent_difference_implIS3_Lb0ELb0EPKjPjN6thrust23THRUST_200600_302600_NS4plusIjEEEE10hipError_tPvRmT2_T3_mT4_P12ihipStream_tbEUlT_E_NS1_11comp_targetILNS1_3genE8ELNS1_11target_archE1030ELNS1_3gpuE2ELNS1_3repE0EEENS1_30default_config_static_selectorELNS0_4arch9wavefront6targetE0EEEvT1_
	.globl	_ZN7rocprim17ROCPRIM_400000_NS6detail17trampoline_kernelINS0_14default_configENS1_35adjacent_difference_config_selectorILb0EjEEZNS1_24adjacent_difference_implIS3_Lb0ELb0EPKjPjN6thrust23THRUST_200600_302600_NS4plusIjEEEE10hipError_tPvRmT2_T3_mT4_P12ihipStream_tbEUlT_E_NS1_11comp_targetILNS1_3genE8ELNS1_11target_archE1030ELNS1_3gpuE2ELNS1_3repE0EEENS1_30default_config_static_selectorELNS0_4arch9wavefront6targetE0EEEvT1_
	.p2align	8
	.type	_ZN7rocprim17ROCPRIM_400000_NS6detail17trampoline_kernelINS0_14default_configENS1_35adjacent_difference_config_selectorILb0EjEEZNS1_24adjacent_difference_implIS3_Lb0ELb0EPKjPjN6thrust23THRUST_200600_302600_NS4plusIjEEEE10hipError_tPvRmT2_T3_mT4_P12ihipStream_tbEUlT_E_NS1_11comp_targetILNS1_3genE8ELNS1_11target_archE1030ELNS1_3gpuE2ELNS1_3repE0EEENS1_30default_config_static_selectorELNS0_4arch9wavefront6targetE0EEEvT1_,@function
_ZN7rocprim17ROCPRIM_400000_NS6detail17trampoline_kernelINS0_14default_configENS1_35adjacent_difference_config_selectorILb0EjEEZNS1_24adjacent_difference_implIS3_Lb0ELb0EPKjPjN6thrust23THRUST_200600_302600_NS4plusIjEEEE10hipError_tPvRmT2_T3_mT4_P12ihipStream_tbEUlT_E_NS1_11comp_targetILNS1_3genE8ELNS1_11target_archE1030ELNS1_3gpuE2ELNS1_3repE0EEENS1_30default_config_static_selectorELNS0_4arch9wavefront6targetE0EEEvT1_: ; @_ZN7rocprim17ROCPRIM_400000_NS6detail17trampoline_kernelINS0_14default_configENS1_35adjacent_difference_config_selectorILb0EjEEZNS1_24adjacent_difference_implIS3_Lb0ELb0EPKjPjN6thrust23THRUST_200600_302600_NS4plusIjEEEE10hipError_tPvRmT2_T3_mT4_P12ihipStream_tbEUlT_E_NS1_11comp_targetILNS1_3genE8ELNS1_11target_archE1030ELNS1_3gpuE2ELNS1_3repE0EEENS1_30default_config_static_selectorELNS0_4arch9wavefront6targetE0EEEvT1_
; %bb.0:
	.section	.rodata,"a",@progbits
	.p2align	6, 0x0
	.amdhsa_kernel _ZN7rocprim17ROCPRIM_400000_NS6detail17trampoline_kernelINS0_14default_configENS1_35adjacent_difference_config_selectorILb0EjEEZNS1_24adjacent_difference_implIS3_Lb0ELb0EPKjPjN6thrust23THRUST_200600_302600_NS4plusIjEEEE10hipError_tPvRmT2_T3_mT4_P12ihipStream_tbEUlT_E_NS1_11comp_targetILNS1_3genE8ELNS1_11target_archE1030ELNS1_3gpuE2ELNS1_3repE0EEENS1_30default_config_static_selectorELNS0_4arch9wavefront6targetE0EEEvT1_
		.amdhsa_group_segment_fixed_size 0
		.amdhsa_private_segment_fixed_size 0
		.amdhsa_kernarg_size 56
		.amdhsa_user_sgpr_count 15
		.amdhsa_user_sgpr_dispatch_ptr 0
		.amdhsa_user_sgpr_queue_ptr 0
		.amdhsa_user_sgpr_kernarg_segment_ptr 1
		.amdhsa_user_sgpr_dispatch_id 0
		.amdhsa_user_sgpr_private_segment_size 0
		.amdhsa_wavefront_size32 1
		.amdhsa_uses_dynamic_stack 0
		.amdhsa_enable_private_segment 0
		.amdhsa_system_sgpr_workgroup_id_x 1
		.amdhsa_system_sgpr_workgroup_id_y 0
		.amdhsa_system_sgpr_workgroup_id_z 0
		.amdhsa_system_sgpr_workgroup_info 0
		.amdhsa_system_vgpr_workitem_id 0
		.amdhsa_next_free_vgpr 1
		.amdhsa_next_free_sgpr 1
		.amdhsa_reserve_vcc 0
		.amdhsa_float_round_mode_32 0
		.amdhsa_float_round_mode_16_64 0
		.amdhsa_float_denorm_mode_32 3
		.amdhsa_float_denorm_mode_16_64 3
		.amdhsa_dx10_clamp 1
		.amdhsa_ieee_mode 1
		.amdhsa_fp16_overflow 0
		.amdhsa_workgroup_processor_mode 1
		.amdhsa_memory_ordered 1
		.amdhsa_forward_progress 0
		.amdhsa_shared_vgpr_count 0
		.amdhsa_exception_fp_ieee_invalid_op 0
		.amdhsa_exception_fp_denorm_src 0
		.amdhsa_exception_fp_ieee_div_zero 0
		.amdhsa_exception_fp_ieee_overflow 0
		.amdhsa_exception_fp_ieee_underflow 0
		.amdhsa_exception_fp_ieee_inexact 0
		.amdhsa_exception_int_div_zero 0
	.end_amdhsa_kernel
	.section	.text._ZN7rocprim17ROCPRIM_400000_NS6detail17trampoline_kernelINS0_14default_configENS1_35adjacent_difference_config_selectorILb0EjEEZNS1_24adjacent_difference_implIS3_Lb0ELb0EPKjPjN6thrust23THRUST_200600_302600_NS4plusIjEEEE10hipError_tPvRmT2_T3_mT4_P12ihipStream_tbEUlT_E_NS1_11comp_targetILNS1_3genE8ELNS1_11target_archE1030ELNS1_3gpuE2ELNS1_3repE0EEENS1_30default_config_static_selectorELNS0_4arch9wavefront6targetE0EEEvT1_,"axG",@progbits,_ZN7rocprim17ROCPRIM_400000_NS6detail17trampoline_kernelINS0_14default_configENS1_35adjacent_difference_config_selectorILb0EjEEZNS1_24adjacent_difference_implIS3_Lb0ELb0EPKjPjN6thrust23THRUST_200600_302600_NS4plusIjEEEE10hipError_tPvRmT2_T3_mT4_P12ihipStream_tbEUlT_E_NS1_11comp_targetILNS1_3genE8ELNS1_11target_archE1030ELNS1_3gpuE2ELNS1_3repE0EEENS1_30default_config_static_selectorELNS0_4arch9wavefront6targetE0EEEvT1_,comdat
.Lfunc_end655:
	.size	_ZN7rocprim17ROCPRIM_400000_NS6detail17trampoline_kernelINS0_14default_configENS1_35adjacent_difference_config_selectorILb0EjEEZNS1_24adjacent_difference_implIS3_Lb0ELb0EPKjPjN6thrust23THRUST_200600_302600_NS4plusIjEEEE10hipError_tPvRmT2_T3_mT4_P12ihipStream_tbEUlT_E_NS1_11comp_targetILNS1_3genE8ELNS1_11target_archE1030ELNS1_3gpuE2ELNS1_3repE0EEENS1_30default_config_static_selectorELNS0_4arch9wavefront6targetE0EEEvT1_, .Lfunc_end655-_ZN7rocprim17ROCPRIM_400000_NS6detail17trampoline_kernelINS0_14default_configENS1_35adjacent_difference_config_selectorILb0EjEEZNS1_24adjacent_difference_implIS3_Lb0ELb0EPKjPjN6thrust23THRUST_200600_302600_NS4plusIjEEEE10hipError_tPvRmT2_T3_mT4_P12ihipStream_tbEUlT_E_NS1_11comp_targetILNS1_3genE8ELNS1_11target_archE1030ELNS1_3gpuE2ELNS1_3repE0EEENS1_30default_config_static_selectorELNS0_4arch9wavefront6targetE0EEEvT1_
                                        ; -- End function
	.section	.AMDGPU.csdata,"",@progbits
; Kernel info:
; codeLenInByte = 0
; NumSgprs: 0
; NumVgprs: 0
; ScratchSize: 0
; MemoryBound: 0
; FloatMode: 240
; IeeeMode: 1
; LDSByteSize: 0 bytes/workgroup (compile time only)
; SGPRBlocks: 0
; VGPRBlocks: 0
; NumSGPRsForWavesPerEU: 1
; NumVGPRsForWavesPerEU: 1
; Occupancy: 16
; WaveLimiterHint : 0
; COMPUTE_PGM_RSRC2:SCRATCH_EN: 0
; COMPUTE_PGM_RSRC2:USER_SGPR: 15
; COMPUTE_PGM_RSRC2:TRAP_HANDLER: 0
; COMPUTE_PGM_RSRC2:TGID_X_EN: 1
; COMPUTE_PGM_RSRC2:TGID_Y_EN: 0
; COMPUTE_PGM_RSRC2:TGID_Z_EN: 0
; COMPUTE_PGM_RSRC2:TIDIG_COMP_CNT: 0
	.section	.text._ZN7rocprim17ROCPRIM_400000_NS6detail17trampoline_kernelINS0_14default_configENS1_25transform_config_selectorIjLb0EEEZNS1_14transform_implILb0ES3_S5_NS0_18transform_iteratorINS0_17counting_iteratorImlEEZNS1_24adjacent_difference_implIS3_Lb1ELb0EPKjPjN6thrust23THRUST_200600_302600_NS4plusIjEEEE10hipError_tPvRmT2_T3_mT4_P12ihipStream_tbEUlmE_jEESD_NS0_8identityIvEEEESI_SL_SM_mSN_SP_bEUlT_E_NS1_11comp_targetILNS1_3genE0ELNS1_11target_archE4294967295ELNS1_3gpuE0ELNS1_3repE0EEENS1_30default_config_static_selectorELNS0_4arch9wavefront6targetE0EEEvT1_,"axG",@progbits,_ZN7rocprim17ROCPRIM_400000_NS6detail17trampoline_kernelINS0_14default_configENS1_25transform_config_selectorIjLb0EEEZNS1_14transform_implILb0ES3_S5_NS0_18transform_iteratorINS0_17counting_iteratorImlEEZNS1_24adjacent_difference_implIS3_Lb1ELb0EPKjPjN6thrust23THRUST_200600_302600_NS4plusIjEEEE10hipError_tPvRmT2_T3_mT4_P12ihipStream_tbEUlmE_jEESD_NS0_8identityIvEEEESI_SL_SM_mSN_SP_bEUlT_E_NS1_11comp_targetILNS1_3genE0ELNS1_11target_archE4294967295ELNS1_3gpuE0ELNS1_3repE0EEENS1_30default_config_static_selectorELNS0_4arch9wavefront6targetE0EEEvT1_,comdat
	.protected	_ZN7rocprim17ROCPRIM_400000_NS6detail17trampoline_kernelINS0_14default_configENS1_25transform_config_selectorIjLb0EEEZNS1_14transform_implILb0ES3_S5_NS0_18transform_iteratorINS0_17counting_iteratorImlEEZNS1_24adjacent_difference_implIS3_Lb1ELb0EPKjPjN6thrust23THRUST_200600_302600_NS4plusIjEEEE10hipError_tPvRmT2_T3_mT4_P12ihipStream_tbEUlmE_jEESD_NS0_8identityIvEEEESI_SL_SM_mSN_SP_bEUlT_E_NS1_11comp_targetILNS1_3genE0ELNS1_11target_archE4294967295ELNS1_3gpuE0ELNS1_3repE0EEENS1_30default_config_static_selectorELNS0_4arch9wavefront6targetE0EEEvT1_ ; -- Begin function _ZN7rocprim17ROCPRIM_400000_NS6detail17trampoline_kernelINS0_14default_configENS1_25transform_config_selectorIjLb0EEEZNS1_14transform_implILb0ES3_S5_NS0_18transform_iteratorINS0_17counting_iteratorImlEEZNS1_24adjacent_difference_implIS3_Lb1ELb0EPKjPjN6thrust23THRUST_200600_302600_NS4plusIjEEEE10hipError_tPvRmT2_T3_mT4_P12ihipStream_tbEUlmE_jEESD_NS0_8identityIvEEEESI_SL_SM_mSN_SP_bEUlT_E_NS1_11comp_targetILNS1_3genE0ELNS1_11target_archE4294967295ELNS1_3gpuE0ELNS1_3repE0EEENS1_30default_config_static_selectorELNS0_4arch9wavefront6targetE0EEEvT1_
	.globl	_ZN7rocprim17ROCPRIM_400000_NS6detail17trampoline_kernelINS0_14default_configENS1_25transform_config_selectorIjLb0EEEZNS1_14transform_implILb0ES3_S5_NS0_18transform_iteratorINS0_17counting_iteratorImlEEZNS1_24adjacent_difference_implIS3_Lb1ELb0EPKjPjN6thrust23THRUST_200600_302600_NS4plusIjEEEE10hipError_tPvRmT2_T3_mT4_P12ihipStream_tbEUlmE_jEESD_NS0_8identityIvEEEESI_SL_SM_mSN_SP_bEUlT_E_NS1_11comp_targetILNS1_3genE0ELNS1_11target_archE4294967295ELNS1_3gpuE0ELNS1_3repE0EEENS1_30default_config_static_selectorELNS0_4arch9wavefront6targetE0EEEvT1_
	.p2align	8
	.type	_ZN7rocprim17ROCPRIM_400000_NS6detail17trampoline_kernelINS0_14default_configENS1_25transform_config_selectorIjLb0EEEZNS1_14transform_implILb0ES3_S5_NS0_18transform_iteratorINS0_17counting_iteratorImlEEZNS1_24adjacent_difference_implIS3_Lb1ELb0EPKjPjN6thrust23THRUST_200600_302600_NS4plusIjEEEE10hipError_tPvRmT2_T3_mT4_P12ihipStream_tbEUlmE_jEESD_NS0_8identityIvEEEESI_SL_SM_mSN_SP_bEUlT_E_NS1_11comp_targetILNS1_3genE0ELNS1_11target_archE4294967295ELNS1_3gpuE0ELNS1_3repE0EEENS1_30default_config_static_selectorELNS0_4arch9wavefront6targetE0EEEvT1_,@function
_ZN7rocprim17ROCPRIM_400000_NS6detail17trampoline_kernelINS0_14default_configENS1_25transform_config_selectorIjLb0EEEZNS1_14transform_implILb0ES3_S5_NS0_18transform_iteratorINS0_17counting_iteratorImlEEZNS1_24adjacent_difference_implIS3_Lb1ELb0EPKjPjN6thrust23THRUST_200600_302600_NS4plusIjEEEE10hipError_tPvRmT2_T3_mT4_P12ihipStream_tbEUlmE_jEESD_NS0_8identityIvEEEESI_SL_SM_mSN_SP_bEUlT_E_NS1_11comp_targetILNS1_3genE0ELNS1_11target_archE4294967295ELNS1_3gpuE0ELNS1_3repE0EEENS1_30default_config_static_selectorELNS0_4arch9wavefront6targetE0EEEvT1_: ; @_ZN7rocprim17ROCPRIM_400000_NS6detail17trampoline_kernelINS0_14default_configENS1_25transform_config_selectorIjLb0EEEZNS1_14transform_implILb0ES3_S5_NS0_18transform_iteratorINS0_17counting_iteratorImlEEZNS1_24adjacent_difference_implIS3_Lb1ELb0EPKjPjN6thrust23THRUST_200600_302600_NS4plusIjEEEE10hipError_tPvRmT2_T3_mT4_P12ihipStream_tbEUlmE_jEESD_NS0_8identityIvEEEESI_SL_SM_mSN_SP_bEUlT_E_NS1_11comp_targetILNS1_3genE0ELNS1_11target_archE4294967295ELNS1_3gpuE0ELNS1_3repE0EEENS1_30default_config_static_selectorELNS0_4arch9wavefront6targetE0EEEvT1_
; %bb.0:
	.section	.rodata,"a",@progbits
	.p2align	6, 0x0
	.amdhsa_kernel _ZN7rocprim17ROCPRIM_400000_NS6detail17trampoline_kernelINS0_14default_configENS1_25transform_config_selectorIjLb0EEEZNS1_14transform_implILb0ES3_S5_NS0_18transform_iteratorINS0_17counting_iteratorImlEEZNS1_24adjacent_difference_implIS3_Lb1ELb0EPKjPjN6thrust23THRUST_200600_302600_NS4plusIjEEEE10hipError_tPvRmT2_T3_mT4_P12ihipStream_tbEUlmE_jEESD_NS0_8identityIvEEEESI_SL_SM_mSN_SP_bEUlT_E_NS1_11comp_targetILNS1_3genE0ELNS1_11target_archE4294967295ELNS1_3gpuE0ELNS1_3repE0EEENS1_30default_config_static_selectorELNS0_4arch9wavefront6targetE0EEEvT1_
		.amdhsa_group_segment_fixed_size 0
		.amdhsa_private_segment_fixed_size 0
		.amdhsa_kernarg_size 56
		.amdhsa_user_sgpr_count 15
		.amdhsa_user_sgpr_dispatch_ptr 0
		.amdhsa_user_sgpr_queue_ptr 0
		.amdhsa_user_sgpr_kernarg_segment_ptr 1
		.amdhsa_user_sgpr_dispatch_id 0
		.amdhsa_user_sgpr_private_segment_size 0
		.amdhsa_wavefront_size32 1
		.amdhsa_uses_dynamic_stack 0
		.amdhsa_enable_private_segment 0
		.amdhsa_system_sgpr_workgroup_id_x 1
		.amdhsa_system_sgpr_workgroup_id_y 0
		.amdhsa_system_sgpr_workgroup_id_z 0
		.amdhsa_system_sgpr_workgroup_info 0
		.amdhsa_system_vgpr_workitem_id 0
		.amdhsa_next_free_vgpr 1
		.amdhsa_next_free_sgpr 1
		.amdhsa_reserve_vcc 0
		.amdhsa_float_round_mode_32 0
		.amdhsa_float_round_mode_16_64 0
		.amdhsa_float_denorm_mode_32 3
		.amdhsa_float_denorm_mode_16_64 3
		.amdhsa_dx10_clamp 1
		.amdhsa_ieee_mode 1
		.amdhsa_fp16_overflow 0
		.amdhsa_workgroup_processor_mode 1
		.amdhsa_memory_ordered 1
		.amdhsa_forward_progress 0
		.amdhsa_shared_vgpr_count 0
		.amdhsa_exception_fp_ieee_invalid_op 0
		.amdhsa_exception_fp_denorm_src 0
		.amdhsa_exception_fp_ieee_div_zero 0
		.amdhsa_exception_fp_ieee_overflow 0
		.amdhsa_exception_fp_ieee_underflow 0
		.amdhsa_exception_fp_ieee_inexact 0
		.amdhsa_exception_int_div_zero 0
	.end_amdhsa_kernel
	.section	.text._ZN7rocprim17ROCPRIM_400000_NS6detail17trampoline_kernelINS0_14default_configENS1_25transform_config_selectorIjLb0EEEZNS1_14transform_implILb0ES3_S5_NS0_18transform_iteratorINS0_17counting_iteratorImlEEZNS1_24adjacent_difference_implIS3_Lb1ELb0EPKjPjN6thrust23THRUST_200600_302600_NS4plusIjEEEE10hipError_tPvRmT2_T3_mT4_P12ihipStream_tbEUlmE_jEESD_NS0_8identityIvEEEESI_SL_SM_mSN_SP_bEUlT_E_NS1_11comp_targetILNS1_3genE0ELNS1_11target_archE4294967295ELNS1_3gpuE0ELNS1_3repE0EEENS1_30default_config_static_selectorELNS0_4arch9wavefront6targetE0EEEvT1_,"axG",@progbits,_ZN7rocprim17ROCPRIM_400000_NS6detail17trampoline_kernelINS0_14default_configENS1_25transform_config_selectorIjLb0EEEZNS1_14transform_implILb0ES3_S5_NS0_18transform_iteratorINS0_17counting_iteratorImlEEZNS1_24adjacent_difference_implIS3_Lb1ELb0EPKjPjN6thrust23THRUST_200600_302600_NS4plusIjEEEE10hipError_tPvRmT2_T3_mT4_P12ihipStream_tbEUlmE_jEESD_NS0_8identityIvEEEESI_SL_SM_mSN_SP_bEUlT_E_NS1_11comp_targetILNS1_3genE0ELNS1_11target_archE4294967295ELNS1_3gpuE0ELNS1_3repE0EEENS1_30default_config_static_selectorELNS0_4arch9wavefront6targetE0EEEvT1_,comdat
.Lfunc_end656:
	.size	_ZN7rocprim17ROCPRIM_400000_NS6detail17trampoline_kernelINS0_14default_configENS1_25transform_config_selectorIjLb0EEEZNS1_14transform_implILb0ES3_S5_NS0_18transform_iteratorINS0_17counting_iteratorImlEEZNS1_24adjacent_difference_implIS3_Lb1ELb0EPKjPjN6thrust23THRUST_200600_302600_NS4plusIjEEEE10hipError_tPvRmT2_T3_mT4_P12ihipStream_tbEUlmE_jEESD_NS0_8identityIvEEEESI_SL_SM_mSN_SP_bEUlT_E_NS1_11comp_targetILNS1_3genE0ELNS1_11target_archE4294967295ELNS1_3gpuE0ELNS1_3repE0EEENS1_30default_config_static_selectorELNS0_4arch9wavefront6targetE0EEEvT1_, .Lfunc_end656-_ZN7rocprim17ROCPRIM_400000_NS6detail17trampoline_kernelINS0_14default_configENS1_25transform_config_selectorIjLb0EEEZNS1_14transform_implILb0ES3_S5_NS0_18transform_iteratorINS0_17counting_iteratorImlEEZNS1_24adjacent_difference_implIS3_Lb1ELb0EPKjPjN6thrust23THRUST_200600_302600_NS4plusIjEEEE10hipError_tPvRmT2_T3_mT4_P12ihipStream_tbEUlmE_jEESD_NS0_8identityIvEEEESI_SL_SM_mSN_SP_bEUlT_E_NS1_11comp_targetILNS1_3genE0ELNS1_11target_archE4294967295ELNS1_3gpuE0ELNS1_3repE0EEENS1_30default_config_static_selectorELNS0_4arch9wavefront6targetE0EEEvT1_
                                        ; -- End function
	.section	.AMDGPU.csdata,"",@progbits
; Kernel info:
; codeLenInByte = 0
; NumSgprs: 0
; NumVgprs: 0
; ScratchSize: 0
; MemoryBound: 0
; FloatMode: 240
; IeeeMode: 1
; LDSByteSize: 0 bytes/workgroup (compile time only)
; SGPRBlocks: 0
; VGPRBlocks: 0
; NumSGPRsForWavesPerEU: 1
; NumVGPRsForWavesPerEU: 1
; Occupancy: 16
; WaveLimiterHint : 0
; COMPUTE_PGM_RSRC2:SCRATCH_EN: 0
; COMPUTE_PGM_RSRC2:USER_SGPR: 15
; COMPUTE_PGM_RSRC2:TRAP_HANDLER: 0
; COMPUTE_PGM_RSRC2:TGID_X_EN: 1
; COMPUTE_PGM_RSRC2:TGID_Y_EN: 0
; COMPUTE_PGM_RSRC2:TGID_Z_EN: 0
; COMPUTE_PGM_RSRC2:TIDIG_COMP_CNT: 0
	.section	.text._ZN7rocprim17ROCPRIM_400000_NS6detail17trampoline_kernelINS0_14default_configENS1_25transform_config_selectorIjLb0EEEZNS1_14transform_implILb0ES3_S5_NS0_18transform_iteratorINS0_17counting_iteratorImlEEZNS1_24adjacent_difference_implIS3_Lb1ELb0EPKjPjN6thrust23THRUST_200600_302600_NS4plusIjEEEE10hipError_tPvRmT2_T3_mT4_P12ihipStream_tbEUlmE_jEESD_NS0_8identityIvEEEESI_SL_SM_mSN_SP_bEUlT_E_NS1_11comp_targetILNS1_3genE5ELNS1_11target_archE942ELNS1_3gpuE9ELNS1_3repE0EEENS1_30default_config_static_selectorELNS0_4arch9wavefront6targetE0EEEvT1_,"axG",@progbits,_ZN7rocprim17ROCPRIM_400000_NS6detail17trampoline_kernelINS0_14default_configENS1_25transform_config_selectorIjLb0EEEZNS1_14transform_implILb0ES3_S5_NS0_18transform_iteratorINS0_17counting_iteratorImlEEZNS1_24adjacent_difference_implIS3_Lb1ELb0EPKjPjN6thrust23THRUST_200600_302600_NS4plusIjEEEE10hipError_tPvRmT2_T3_mT4_P12ihipStream_tbEUlmE_jEESD_NS0_8identityIvEEEESI_SL_SM_mSN_SP_bEUlT_E_NS1_11comp_targetILNS1_3genE5ELNS1_11target_archE942ELNS1_3gpuE9ELNS1_3repE0EEENS1_30default_config_static_selectorELNS0_4arch9wavefront6targetE0EEEvT1_,comdat
	.protected	_ZN7rocprim17ROCPRIM_400000_NS6detail17trampoline_kernelINS0_14default_configENS1_25transform_config_selectorIjLb0EEEZNS1_14transform_implILb0ES3_S5_NS0_18transform_iteratorINS0_17counting_iteratorImlEEZNS1_24adjacent_difference_implIS3_Lb1ELb0EPKjPjN6thrust23THRUST_200600_302600_NS4plusIjEEEE10hipError_tPvRmT2_T3_mT4_P12ihipStream_tbEUlmE_jEESD_NS0_8identityIvEEEESI_SL_SM_mSN_SP_bEUlT_E_NS1_11comp_targetILNS1_3genE5ELNS1_11target_archE942ELNS1_3gpuE9ELNS1_3repE0EEENS1_30default_config_static_selectorELNS0_4arch9wavefront6targetE0EEEvT1_ ; -- Begin function _ZN7rocprim17ROCPRIM_400000_NS6detail17trampoline_kernelINS0_14default_configENS1_25transform_config_selectorIjLb0EEEZNS1_14transform_implILb0ES3_S5_NS0_18transform_iteratorINS0_17counting_iteratorImlEEZNS1_24adjacent_difference_implIS3_Lb1ELb0EPKjPjN6thrust23THRUST_200600_302600_NS4plusIjEEEE10hipError_tPvRmT2_T3_mT4_P12ihipStream_tbEUlmE_jEESD_NS0_8identityIvEEEESI_SL_SM_mSN_SP_bEUlT_E_NS1_11comp_targetILNS1_3genE5ELNS1_11target_archE942ELNS1_3gpuE9ELNS1_3repE0EEENS1_30default_config_static_selectorELNS0_4arch9wavefront6targetE0EEEvT1_
	.globl	_ZN7rocprim17ROCPRIM_400000_NS6detail17trampoline_kernelINS0_14default_configENS1_25transform_config_selectorIjLb0EEEZNS1_14transform_implILb0ES3_S5_NS0_18transform_iteratorINS0_17counting_iteratorImlEEZNS1_24adjacent_difference_implIS3_Lb1ELb0EPKjPjN6thrust23THRUST_200600_302600_NS4plusIjEEEE10hipError_tPvRmT2_T3_mT4_P12ihipStream_tbEUlmE_jEESD_NS0_8identityIvEEEESI_SL_SM_mSN_SP_bEUlT_E_NS1_11comp_targetILNS1_3genE5ELNS1_11target_archE942ELNS1_3gpuE9ELNS1_3repE0EEENS1_30default_config_static_selectorELNS0_4arch9wavefront6targetE0EEEvT1_
	.p2align	8
	.type	_ZN7rocprim17ROCPRIM_400000_NS6detail17trampoline_kernelINS0_14default_configENS1_25transform_config_selectorIjLb0EEEZNS1_14transform_implILb0ES3_S5_NS0_18transform_iteratorINS0_17counting_iteratorImlEEZNS1_24adjacent_difference_implIS3_Lb1ELb0EPKjPjN6thrust23THRUST_200600_302600_NS4plusIjEEEE10hipError_tPvRmT2_T3_mT4_P12ihipStream_tbEUlmE_jEESD_NS0_8identityIvEEEESI_SL_SM_mSN_SP_bEUlT_E_NS1_11comp_targetILNS1_3genE5ELNS1_11target_archE942ELNS1_3gpuE9ELNS1_3repE0EEENS1_30default_config_static_selectorELNS0_4arch9wavefront6targetE0EEEvT1_,@function
_ZN7rocprim17ROCPRIM_400000_NS6detail17trampoline_kernelINS0_14default_configENS1_25transform_config_selectorIjLb0EEEZNS1_14transform_implILb0ES3_S5_NS0_18transform_iteratorINS0_17counting_iteratorImlEEZNS1_24adjacent_difference_implIS3_Lb1ELb0EPKjPjN6thrust23THRUST_200600_302600_NS4plusIjEEEE10hipError_tPvRmT2_T3_mT4_P12ihipStream_tbEUlmE_jEESD_NS0_8identityIvEEEESI_SL_SM_mSN_SP_bEUlT_E_NS1_11comp_targetILNS1_3genE5ELNS1_11target_archE942ELNS1_3gpuE9ELNS1_3repE0EEENS1_30default_config_static_selectorELNS0_4arch9wavefront6targetE0EEEvT1_: ; @_ZN7rocprim17ROCPRIM_400000_NS6detail17trampoline_kernelINS0_14default_configENS1_25transform_config_selectorIjLb0EEEZNS1_14transform_implILb0ES3_S5_NS0_18transform_iteratorINS0_17counting_iteratorImlEEZNS1_24adjacent_difference_implIS3_Lb1ELb0EPKjPjN6thrust23THRUST_200600_302600_NS4plusIjEEEE10hipError_tPvRmT2_T3_mT4_P12ihipStream_tbEUlmE_jEESD_NS0_8identityIvEEEESI_SL_SM_mSN_SP_bEUlT_E_NS1_11comp_targetILNS1_3genE5ELNS1_11target_archE942ELNS1_3gpuE9ELNS1_3repE0EEENS1_30default_config_static_selectorELNS0_4arch9wavefront6targetE0EEEvT1_
; %bb.0:
	.section	.rodata,"a",@progbits
	.p2align	6, 0x0
	.amdhsa_kernel _ZN7rocprim17ROCPRIM_400000_NS6detail17trampoline_kernelINS0_14default_configENS1_25transform_config_selectorIjLb0EEEZNS1_14transform_implILb0ES3_S5_NS0_18transform_iteratorINS0_17counting_iteratorImlEEZNS1_24adjacent_difference_implIS3_Lb1ELb0EPKjPjN6thrust23THRUST_200600_302600_NS4plusIjEEEE10hipError_tPvRmT2_T3_mT4_P12ihipStream_tbEUlmE_jEESD_NS0_8identityIvEEEESI_SL_SM_mSN_SP_bEUlT_E_NS1_11comp_targetILNS1_3genE5ELNS1_11target_archE942ELNS1_3gpuE9ELNS1_3repE0EEENS1_30default_config_static_selectorELNS0_4arch9wavefront6targetE0EEEvT1_
		.amdhsa_group_segment_fixed_size 0
		.amdhsa_private_segment_fixed_size 0
		.amdhsa_kernarg_size 56
		.amdhsa_user_sgpr_count 15
		.amdhsa_user_sgpr_dispatch_ptr 0
		.amdhsa_user_sgpr_queue_ptr 0
		.amdhsa_user_sgpr_kernarg_segment_ptr 1
		.amdhsa_user_sgpr_dispatch_id 0
		.amdhsa_user_sgpr_private_segment_size 0
		.amdhsa_wavefront_size32 1
		.amdhsa_uses_dynamic_stack 0
		.amdhsa_enable_private_segment 0
		.amdhsa_system_sgpr_workgroup_id_x 1
		.amdhsa_system_sgpr_workgroup_id_y 0
		.amdhsa_system_sgpr_workgroup_id_z 0
		.amdhsa_system_sgpr_workgroup_info 0
		.amdhsa_system_vgpr_workitem_id 0
		.amdhsa_next_free_vgpr 1
		.amdhsa_next_free_sgpr 1
		.amdhsa_reserve_vcc 0
		.amdhsa_float_round_mode_32 0
		.amdhsa_float_round_mode_16_64 0
		.amdhsa_float_denorm_mode_32 3
		.amdhsa_float_denorm_mode_16_64 3
		.amdhsa_dx10_clamp 1
		.amdhsa_ieee_mode 1
		.amdhsa_fp16_overflow 0
		.amdhsa_workgroup_processor_mode 1
		.amdhsa_memory_ordered 1
		.amdhsa_forward_progress 0
		.amdhsa_shared_vgpr_count 0
		.amdhsa_exception_fp_ieee_invalid_op 0
		.amdhsa_exception_fp_denorm_src 0
		.amdhsa_exception_fp_ieee_div_zero 0
		.amdhsa_exception_fp_ieee_overflow 0
		.amdhsa_exception_fp_ieee_underflow 0
		.amdhsa_exception_fp_ieee_inexact 0
		.amdhsa_exception_int_div_zero 0
	.end_amdhsa_kernel
	.section	.text._ZN7rocprim17ROCPRIM_400000_NS6detail17trampoline_kernelINS0_14default_configENS1_25transform_config_selectorIjLb0EEEZNS1_14transform_implILb0ES3_S5_NS0_18transform_iteratorINS0_17counting_iteratorImlEEZNS1_24adjacent_difference_implIS3_Lb1ELb0EPKjPjN6thrust23THRUST_200600_302600_NS4plusIjEEEE10hipError_tPvRmT2_T3_mT4_P12ihipStream_tbEUlmE_jEESD_NS0_8identityIvEEEESI_SL_SM_mSN_SP_bEUlT_E_NS1_11comp_targetILNS1_3genE5ELNS1_11target_archE942ELNS1_3gpuE9ELNS1_3repE0EEENS1_30default_config_static_selectorELNS0_4arch9wavefront6targetE0EEEvT1_,"axG",@progbits,_ZN7rocprim17ROCPRIM_400000_NS6detail17trampoline_kernelINS0_14default_configENS1_25transform_config_selectorIjLb0EEEZNS1_14transform_implILb0ES3_S5_NS0_18transform_iteratorINS0_17counting_iteratorImlEEZNS1_24adjacent_difference_implIS3_Lb1ELb0EPKjPjN6thrust23THRUST_200600_302600_NS4plusIjEEEE10hipError_tPvRmT2_T3_mT4_P12ihipStream_tbEUlmE_jEESD_NS0_8identityIvEEEESI_SL_SM_mSN_SP_bEUlT_E_NS1_11comp_targetILNS1_3genE5ELNS1_11target_archE942ELNS1_3gpuE9ELNS1_3repE0EEENS1_30default_config_static_selectorELNS0_4arch9wavefront6targetE0EEEvT1_,comdat
.Lfunc_end657:
	.size	_ZN7rocprim17ROCPRIM_400000_NS6detail17trampoline_kernelINS0_14default_configENS1_25transform_config_selectorIjLb0EEEZNS1_14transform_implILb0ES3_S5_NS0_18transform_iteratorINS0_17counting_iteratorImlEEZNS1_24adjacent_difference_implIS3_Lb1ELb0EPKjPjN6thrust23THRUST_200600_302600_NS4plusIjEEEE10hipError_tPvRmT2_T3_mT4_P12ihipStream_tbEUlmE_jEESD_NS0_8identityIvEEEESI_SL_SM_mSN_SP_bEUlT_E_NS1_11comp_targetILNS1_3genE5ELNS1_11target_archE942ELNS1_3gpuE9ELNS1_3repE0EEENS1_30default_config_static_selectorELNS0_4arch9wavefront6targetE0EEEvT1_, .Lfunc_end657-_ZN7rocprim17ROCPRIM_400000_NS6detail17trampoline_kernelINS0_14default_configENS1_25transform_config_selectorIjLb0EEEZNS1_14transform_implILb0ES3_S5_NS0_18transform_iteratorINS0_17counting_iteratorImlEEZNS1_24adjacent_difference_implIS3_Lb1ELb0EPKjPjN6thrust23THRUST_200600_302600_NS4plusIjEEEE10hipError_tPvRmT2_T3_mT4_P12ihipStream_tbEUlmE_jEESD_NS0_8identityIvEEEESI_SL_SM_mSN_SP_bEUlT_E_NS1_11comp_targetILNS1_3genE5ELNS1_11target_archE942ELNS1_3gpuE9ELNS1_3repE0EEENS1_30default_config_static_selectorELNS0_4arch9wavefront6targetE0EEEvT1_
                                        ; -- End function
	.section	.AMDGPU.csdata,"",@progbits
; Kernel info:
; codeLenInByte = 0
; NumSgprs: 0
; NumVgprs: 0
; ScratchSize: 0
; MemoryBound: 0
; FloatMode: 240
; IeeeMode: 1
; LDSByteSize: 0 bytes/workgroup (compile time only)
; SGPRBlocks: 0
; VGPRBlocks: 0
; NumSGPRsForWavesPerEU: 1
; NumVGPRsForWavesPerEU: 1
; Occupancy: 16
; WaveLimiterHint : 0
; COMPUTE_PGM_RSRC2:SCRATCH_EN: 0
; COMPUTE_PGM_RSRC2:USER_SGPR: 15
; COMPUTE_PGM_RSRC2:TRAP_HANDLER: 0
; COMPUTE_PGM_RSRC2:TGID_X_EN: 1
; COMPUTE_PGM_RSRC2:TGID_Y_EN: 0
; COMPUTE_PGM_RSRC2:TGID_Z_EN: 0
; COMPUTE_PGM_RSRC2:TIDIG_COMP_CNT: 0
	.section	.text._ZN7rocprim17ROCPRIM_400000_NS6detail17trampoline_kernelINS0_14default_configENS1_25transform_config_selectorIjLb0EEEZNS1_14transform_implILb0ES3_S5_NS0_18transform_iteratorINS0_17counting_iteratorImlEEZNS1_24adjacent_difference_implIS3_Lb1ELb0EPKjPjN6thrust23THRUST_200600_302600_NS4plusIjEEEE10hipError_tPvRmT2_T3_mT4_P12ihipStream_tbEUlmE_jEESD_NS0_8identityIvEEEESI_SL_SM_mSN_SP_bEUlT_E_NS1_11comp_targetILNS1_3genE4ELNS1_11target_archE910ELNS1_3gpuE8ELNS1_3repE0EEENS1_30default_config_static_selectorELNS0_4arch9wavefront6targetE0EEEvT1_,"axG",@progbits,_ZN7rocprim17ROCPRIM_400000_NS6detail17trampoline_kernelINS0_14default_configENS1_25transform_config_selectorIjLb0EEEZNS1_14transform_implILb0ES3_S5_NS0_18transform_iteratorINS0_17counting_iteratorImlEEZNS1_24adjacent_difference_implIS3_Lb1ELb0EPKjPjN6thrust23THRUST_200600_302600_NS4plusIjEEEE10hipError_tPvRmT2_T3_mT4_P12ihipStream_tbEUlmE_jEESD_NS0_8identityIvEEEESI_SL_SM_mSN_SP_bEUlT_E_NS1_11comp_targetILNS1_3genE4ELNS1_11target_archE910ELNS1_3gpuE8ELNS1_3repE0EEENS1_30default_config_static_selectorELNS0_4arch9wavefront6targetE0EEEvT1_,comdat
	.protected	_ZN7rocprim17ROCPRIM_400000_NS6detail17trampoline_kernelINS0_14default_configENS1_25transform_config_selectorIjLb0EEEZNS1_14transform_implILb0ES3_S5_NS0_18transform_iteratorINS0_17counting_iteratorImlEEZNS1_24adjacent_difference_implIS3_Lb1ELb0EPKjPjN6thrust23THRUST_200600_302600_NS4plusIjEEEE10hipError_tPvRmT2_T3_mT4_P12ihipStream_tbEUlmE_jEESD_NS0_8identityIvEEEESI_SL_SM_mSN_SP_bEUlT_E_NS1_11comp_targetILNS1_3genE4ELNS1_11target_archE910ELNS1_3gpuE8ELNS1_3repE0EEENS1_30default_config_static_selectorELNS0_4arch9wavefront6targetE0EEEvT1_ ; -- Begin function _ZN7rocprim17ROCPRIM_400000_NS6detail17trampoline_kernelINS0_14default_configENS1_25transform_config_selectorIjLb0EEEZNS1_14transform_implILb0ES3_S5_NS0_18transform_iteratorINS0_17counting_iteratorImlEEZNS1_24adjacent_difference_implIS3_Lb1ELb0EPKjPjN6thrust23THRUST_200600_302600_NS4plusIjEEEE10hipError_tPvRmT2_T3_mT4_P12ihipStream_tbEUlmE_jEESD_NS0_8identityIvEEEESI_SL_SM_mSN_SP_bEUlT_E_NS1_11comp_targetILNS1_3genE4ELNS1_11target_archE910ELNS1_3gpuE8ELNS1_3repE0EEENS1_30default_config_static_selectorELNS0_4arch9wavefront6targetE0EEEvT1_
	.globl	_ZN7rocprim17ROCPRIM_400000_NS6detail17trampoline_kernelINS0_14default_configENS1_25transform_config_selectorIjLb0EEEZNS1_14transform_implILb0ES3_S5_NS0_18transform_iteratorINS0_17counting_iteratorImlEEZNS1_24adjacent_difference_implIS3_Lb1ELb0EPKjPjN6thrust23THRUST_200600_302600_NS4plusIjEEEE10hipError_tPvRmT2_T3_mT4_P12ihipStream_tbEUlmE_jEESD_NS0_8identityIvEEEESI_SL_SM_mSN_SP_bEUlT_E_NS1_11comp_targetILNS1_3genE4ELNS1_11target_archE910ELNS1_3gpuE8ELNS1_3repE0EEENS1_30default_config_static_selectorELNS0_4arch9wavefront6targetE0EEEvT1_
	.p2align	8
	.type	_ZN7rocprim17ROCPRIM_400000_NS6detail17trampoline_kernelINS0_14default_configENS1_25transform_config_selectorIjLb0EEEZNS1_14transform_implILb0ES3_S5_NS0_18transform_iteratorINS0_17counting_iteratorImlEEZNS1_24adjacent_difference_implIS3_Lb1ELb0EPKjPjN6thrust23THRUST_200600_302600_NS4plusIjEEEE10hipError_tPvRmT2_T3_mT4_P12ihipStream_tbEUlmE_jEESD_NS0_8identityIvEEEESI_SL_SM_mSN_SP_bEUlT_E_NS1_11comp_targetILNS1_3genE4ELNS1_11target_archE910ELNS1_3gpuE8ELNS1_3repE0EEENS1_30default_config_static_selectorELNS0_4arch9wavefront6targetE0EEEvT1_,@function
_ZN7rocprim17ROCPRIM_400000_NS6detail17trampoline_kernelINS0_14default_configENS1_25transform_config_selectorIjLb0EEEZNS1_14transform_implILb0ES3_S5_NS0_18transform_iteratorINS0_17counting_iteratorImlEEZNS1_24adjacent_difference_implIS3_Lb1ELb0EPKjPjN6thrust23THRUST_200600_302600_NS4plusIjEEEE10hipError_tPvRmT2_T3_mT4_P12ihipStream_tbEUlmE_jEESD_NS0_8identityIvEEEESI_SL_SM_mSN_SP_bEUlT_E_NS1_11comp_targetILNS1_3genE4ELNS1_11target_archE910ELNS1_3gpuE8ELNS1_3repE0EEENS1_30default_config_static_selectorELNS0_4arch9wavefront6targetE0EEEvT1_: ; @_ZN7rocprim17ROCPRIM_400000_NS6detail17trampoline_kernelINS0_14default_configENS1_25transform_config_selectorIjLb0EEEZNS1_14transform_implILb0ES3_S5_NS0_18transform_iteratorINS0_17counting_iteratorImlEEZNS1_24adjacent_difference_implIS3_Lb1ELb0EPKjPjN6thrust23THRUST_200600_302600_NS4plusIjEEEE10hipError_tPvRmT2_T3_mT4_P12ihipStream_tbEUlmE_jEESD_NS0_8identityIvEEEESI_SL_SM_mSN_SP_bEUlT_E_NS1_11comp_targetILNS1_3genE4ELNS1_11target_archE910ELNS1_3gpuE8ELNS1_3repE0EEENS1_30default_config_static_selectorELNS0_4arch9wavefront6targetE0EEEvT1_
; %bb.0:
	.section	.rodata,"a",@progbits
	.p2align	6, 0x0
	.amdhsa_kernel _ZN7rocprim17ROCPRIM_400000_NS6detail17trampoline_kernelINS0_14default_configENS1_25transform_config_selectorIjLb0EEEZNS1_14transform_implILb0ES3_S5_NS0_18transform_iteratorINS0_17counting_iteratorImlEEZNS1_24adjacent_difference_implIS3_Lb1ELb0EPKjPjN6thrust23THRUST_200600_302600_NS4plusIjEEEE10hipError_tPvRmT2_T3_mT4_P12ihipStream_tbEUlmE_jEESD_NS0_8identityIvEEEESI_SL_SM_mSN_SP_bEUlT_E_NS1_11comp_targetILNS1_3genE4ELNS1_11target_archE910ELNS1_3gpuE8ELNS1_3repE0EEENS1_30default_config_static_selectorELNS0_4arch9wavefront6targetE0EEEvT1_
		.amdhsa_group_segment_fixed_size 0
		.amdhsa_private_segment_fixed_size 0
		.amdhsa_kernarg_size 56
		.amdhsa_user_sgpr_count 15
		.amdhsa_user_sgpr_dispatch_ptr 0
		.amdhsa_user_sgpr_queue_ptr 0
		.amdhsa_user_sgpr_kernarg_segment_ptr 1
		.amdhsa_user_sgpr_dispatch_id 0
		.amdhsa_user_sgpr_private_segment_size 0
		.amdhsa_wavefront_size32 1
		.amdhsa_uses_dynamic_stack 0
		.amdhsa_enable_private_segment 0
		.amdhsa_system_sgpr_workgroup_id_x 1
		.amdhsa_system_sgpr_workgroup_id_y 0
		.amdhsa_system_sgpr_workgroup_id_z 0
		.amdhsa_system_sgpr_workgroup_info 0
		.amdhsa_system_vgpr_workitem_id 0
		.amdhsa_next_free_vgpr 1
		.amdhsa_next_free_sgpr 1
		.amdhsa_reserve_vcc 0
		.amdhsa_float_round_mode_32 0
		.amdhsa_float_round_mode_16_64 0
		.amdhsa_float_denorm_mode_32 3
		.amdhsa_float_denorm_mode_16_64 3
		.amdhsa_dx10_clamp 1
		.amdhsa_ieee_mode 1
		.amdhsa_fp16_overflow 0
		.amdhsa_workgroup_processor_mode 1
		.amdhsa_memory_ordered 1
		.amdhsa_forward_progress 0
		.amdhsa_shared_vgpr_count 0
		.amdhsa_exception_fp_ieee_invalid_op 0
		.amdhsa_exception_fp_denorm_src 0
		.amdhsa_exception_fp_ieee_div_zero 0
		.amdhsa_exception_fp_ieee_overflow 0
		.amdhsa_exception_fp_ieee_underflow 0
		.amdhsa_exception_fp_ieee_inexact 0
		.amdhsa_exception_int_div_zero 0
	.end_amdhsa_kernel
	.section	.text._ZN7rocprim17ROCPRIM_400000_NS6detail17trampoline_kernelINS0_14default_configENS1_25transform_config_selectorIjLb0EEEZNS1_14transform_implILb0ES3_S5_NS0_18transform_iteratorINS0_17counting_iteratorImlEEZNS1_24adjacent_difference_implIS3_Lb1ELb0EPKjPjN6thrust23THRUST_200600_302600_NS4plusIjEEEE10hipError_tPvRmT2_T3_mT4_P12ihipStream_tbEUlmE_jEESD_NS0_8identityIvEEEESI_SL_SM_mSN_SP_bEUlT_E_NS1_11comp_targetILNS1_3genE4ELNS1_11target_archE910ELNS1_3gpuE8ELNS1_3repE0EEENS1_30default_config_static_selectorELNS0_4arch9wavefront6targetE0EEEvT1_,"axG",@progbits,_ZN7rocprim17ROCPRIM_400000_NS6detail17trampoline_kernelINS0_14default_configENS1_25transform_config_selectorIjLb0EEEZNS1_14transform_implILb0ES3_S5_NS0_18transform_iteratorINS0_17counting_iteratorImlEEZNS1_24adjacent_difference_implIS3_Lb1ELb0EPKjPjN6thrust23THRUST_200600_302600_NS4plusIjEEEE10hipError_tPvRmT2_T3_mT4_P12ihipStream_tbEUlmE_jEESD_NS0_8identityIvEEEESI_SL_SM_mSN_SP_bEUlT_E_NS1_11comp_targetILNS1_3genE4ELNS1_11target_archE910ELNS1_3gpuE8ELNS1_3repE0EEENS1_30default_config_static_selectorELNS0_4arch9wavefront6targetE0EEEvT1_,comdat
.Lfunc_end658:
	.size	_ZN7rocprim17ROCPRIM_400000_NS6detail17trampoline_kernelINS0_14default_configENS1_25transform_config_selectorIjLb0EEEZNS1_14transform_implILb0ES3_S5_NS0_18transform_iteratorINS0_17counting_iteratorImlEEZNS1_24adjacent_difference_implIS3_Lb1ELb0EPKjPjN6thrust23THRUST_200600_302600_NS4plusIjEEEE10hipError_tPvRmT2_T3_mT4_P12ihipStream_tbEUlmE_jEESD_NS0_8identityIvEEEESI_SL_SM_mSN_SP_bEUlT_E_NS1_11comp_targetILNS1_3genE4ELNS1_11target_archE910ELNS1_3gpuE8ELNS1_3repE0EEENS1_30default_config_static_selectorELNS0_4arch9wavefront6targetE0EEEvT1_, .Lfunc_end658-_ZN7rocprim17ROCPRIM_400000_NS6detail17trampoline_kernelINS0_14default_configENS1_25transform_config_selectorIjLb0EEEZNS1_14transform_implILb0ES3_S5_NS0_18transform_iteratorINS0_17counting_iteratorImlEEZNS1_24adjacent_difference_implIS3_Lb1ELb0EPKjPjN6thrust23THRUST_200600_302600_NS4plusIjEEEE10hipError_tPvRmT2_T3_mT4_P12ihipStream_tbEUlmE_jEESD_NS0_8identityIvEEEESI_SL_SM_mSN_SP_bEUlT_E_NS1_11comp_targetILNS1_3genE4ELNS1_11target_archE910ELNS1_3gpuE8ELNS1_3repE0EEENS1_30default_config_static_selectorELNS0_4arch9wavefront6targetE0EEEvT1_
                                        ; -- End function
	.section	.AMDGPU.csdata,"",@progbits
; Kernel info:
; codeLenInByte = 0
; NumSgprs: 0
; NumVgprs: 0
; ScratchSize: 0
; MemoryBound: 0
; FloatMode: 240
; IeeeMode: 1
; LDSByteSize: 0 bytes/workgroup (compile time only)
; SGPRBlocks: 0
; VGPRBlocks: 0
; NumSGPRsForWavesPerEU: 1
; NumVGPRsForWavesPerEU: 1
; Occupancy: 16
; WaveLimiterHint : 0
; COMPUTE_PGM_RSRC2:SCRATCH_EN: 0
; COMPUTE_PGM_RSRC2:USER_SGPR: 15
; COMPUTE_PGM_RSRC2:TRAP_HANDLER: 0
; COMPUTE_PGM_RSRC2:TGID_X_EN: 1
; COMPUTE_PGM_RSRC2:TGID_Y_EN: 0
; COMPUTE_PGM_RSRC2:TGID_Z_EN: 0
; COMPUTE_PGM_RSRC2:TIDIG_COMP_CNT: 0
	.section	.text._ZN7rocprim17ROCPRIM_400000_NS6detail17trampoline_kernelINS0_14default_configENS1_25transform_config_selectorIjLb0EEEZNS1_14transform_implILb0ES3_S5_NS0_18transform_iteratorINS0_17counting_iteratorImlEEZNS1_24adjacent_difference_implIS3_Lb1ELb0EPKjPjN6thrust23THRUST_200600_302600_NS4plusIjEEEE10hipError_tPvRmT2_T3_mT4_P12ihipStream_tbEUlmE_jEESD_NS0_8identityIvEEEESI_SL_SM_mSN_SP_bEUlT_E_NS1_11comp_targetILNS1_3genE3ELNS1_11target_archE908ELNS1_3gpuE7ELNS1_3repE0EEENS1_30default_config_static_selectorELNS0_4arch9wavefront6targetE0EEEvT1_,"axG",@progbits,_ZN7rocprim17ROCPRIM_400000_NS6detail17trampoline_kernelINS0_14default_configENS1_25transform_config_selectorIjLb0EEEZNS1_14transform_implILb0ES3_S5_NS0_18transform_iteratorINS0_17counting_iteratorImlEEZNS1_24adjacent_difference_implIS3_Lb1ELb0EPKjPjN6thrust23THRUST_200600_302600_NS4plusIjEEEE10hipError_tPvRmT2_T3_mT4_P12ihipStream_tbEUlmE_jEESD_NS0_8identityIvEEEESI_SL_SM_mSN_SP_bEUlT_E_NS1_11comp_targetILNS1_3genE3ELNS1_11target_archE908ELNS1_3gpuE7ELNS1_3repE0EEENS1_30default_config_static_selectorELNS0_4arch9wavefront6targetE0EEEvT1_,comdat
	.protected	_ZN7rocprim17ROCPRIM_400000_NS6detail17trampoline_kernelINS0_14default_configENS1_25transform_config_selectorIjLb0EEEZNS1_14transform_implILb0ES3_S5_NS0_18transform_iteratorINS0_17counting_iteratorImlEEZNS1_24adjacent_difference_implIS3_Lb1ELb0EPKjPjN6thrust23THRUST_200600_302600_NS4plusIjEEEE10hipError_tPvRmT2_T3_mT4_P12ihipStream_tbEUlmE_jEESD_NS0_8identityIvEEEESI_SL_SM_mSN_SP_bEUlT_E_NS1_11comp_targetILNS1_3genE3ELNS1_11target_archE908ELNS1_3gpuE7ELNS1_3repE0EEENS1_30default_config_static_selectorELNS0_4arch9wavefront6targetE0EEEvT1_ ; -- Begin function _ZN7rocprim17ROCPRIM_400000_NS6detail17trampoline_kernelINS0_14default_configENS1_25transform_config_selectorIjLb0EEEZNS1_14transform_implILb0ES3_S5_NS0_18transform_iteratorINS0_17counting_iteratorImlEEZNS1_24adjacent_difference_implIS3_Lb1ELb0EPKjPjN6thrust23THRUST_200600_302600_NS4plusIjEEEE10hipError_tPvRmT2_T3_mT4_P12ihipStream_tbEUlmE_jEESD_NS0_8identityIvEEEESI_SL_SM_mSN_SP_bEUlT_E_NS1_11comp_targetILNS1_3genE3ELNS1_11target_archE908ELNS1_3gpuE7ELNS1_3repE0EEENS1_30default_config_static_selectorELNS0_4arch9wavefront6targetE0EEEvT1_
	.globl	_ZN7rocprim17ROCPRIM_400000_NS6detail17trampoline_kernelINS0_14default_configENS1_25transform_config_selectorIjLb0EEEZNS1_14transform_implILb0ES3_S5_NS0_18transform_iteratorINS0_17counting_iteratorImlEEZNS1_24adjacent_difference_implIS3_Lb1ELb0EPKjPjN6thrust23THRUST_200600_302600_NS4plusIjEEEE10hipError_tPvRmT2_T3_mT4_P12ihipStream_tbEUlmE_jEESD_NS0_8identityIvEEEESI_SL_SM_mSN_SP_bEUlT_E_NS1_11comp_targetILNS1_3genE3ELNS1_11target_archE908ELNS1_3gpuE7ELNS1_3repE0EEENS1_30default_config_static_selectorELNS0_4arch9wavefront6targetE0EEEvT1_
	.p2align	8
	.type	_ZN7rocprim17ROCPRIM_400000_NS6detail17trampoline_kernelINS0_14default_configENS1_25transform_config_selectorIjLb0EEEZNS1_14transform_implILb0ES3_S5_NS0_18transform_iteratorINS0_17counting_iteratorImlEEZNS1_24adjacent_difference_implIS3_Lb1ELb0EPKjPjN6thrust23THRUST_200600_302600_NS4plusIjEEEE10hipError_tPvRmT2_T3_mT4_P12ihipStream_tbEUlmE_jEESD_NS0_8identityIvEEEESI_SL_SM_mSN_SP_bEUlT_E_NS1_11comp_targetILNS1_3genE3ELNS1_11target_archE908ELNS1_3gpuE7ELNS1_3repE0EEENS1_30default_config_static_selectorELNS0_4arch9wavefront6targetE0EEEvT1_,@function
_ZN7rocprim17ROCPRIM_400000_NS6detail17trampoline_kernelINS0_14default_configENS1_25transform_config_selectorIjLb0EEEZNS1_14transform_implILb0ES3_S5_NS0_18transform_iteratorINS0_17counting_iteratorImlEEZNS1_24adjacent_difference_implIS3_Lb1ELb0EPKjPjN6thrust23THRUST_200600_302600_NS4plusIjEEEE10hipError_tPvRmT2_T3_mT4_P12ihipStream_tbEUlmE_jEESD_NS0_8identityIvEEEESI_SL_SM_mSN_SP_bEUlT_E_NS1_11comp_targetILNS1_3genE3ELNS1_11target_archE908ELNS1_3gpuE7ELNS1_3repE0EEENS1_30default_config_static_selectorELNS0_4arch9wavefront6targetE0EEEvT1_: ; @_ZN7rocprim17ROCPRIM_400000_NS6detail17trampoline_kernelINS0_14default_configENS1_25transform_config_selectorIjLb0EEEZNS1_14transform_implILb0ES3_S5_NS0_18transform_iteratorINS0_17counting_iteratorImlEEZNS1_24adjacent_difference_implIS3_Lb1ELb0EPKjPjN6thrust23THRUST_200600_302600_NS4plusIjEEEE10hipError_tPvRmT2_T3_mT4_P12ihipStream_tbEUlmE_jEESD_NS0_8identityIvEEEESI_SL_SM_mSN_SP_bEUlT_E_NS1_11comp_targetILNS1_3genE3ELNS1_11target_archE908ELNS1_3gpuE7ELNS1_3repE0EEENS1_30default_config_static_selectorELNS0_4arch9wavefront6targetE0EEEvT1_
; %bb.0:
	.section	.rodata,"a",@progbits
	.p2align	6, 0x0
	.amdhsa_kernel _ZN7rocprim17ROCPRIM_400000_NS6detail17trampoline_kernelINS0_14default_configENS1_25transform_config_selectorIjLb0EEEZNS1_14transform_implILb0ES3_S5_NS0_18transform_iteratorINS0_17counting_iteratorImlEEZNS1_24adjacent_difference_implIS3_Lb1ELb0EPKjPjN6thrust23THRUST_200600_302600_NS4plusIjEEEE10hipError_tPvRmT2_T3_mT4_P12ihipStream_tbEUlmE_jEESD_NS0_8identityIvEEEESI_SL_SM_mSN_SP_bEUlT_E_NS1_11comp_targetILNS1_3genE3ELNS1_11target_archE908ELNS1_3gpuE7ELNS1_3repE0EEENS1_30default_config_static_selectorELNS0_4arch9wavefront6targetE0EEEvT1_
		.amdhsa_group_segment_fixed_size 0
		.amdhsa_private_segment_fixed_size 0
		.amdhsa_kernarg_size 56
		.amdhsa_user_sgpr_count 15
		.amdhsa_user_sgpr_dispatch_ptr 0
		.amdhsa_user_sgpr_queue_ptr 0
		.amdhsa_user_sgpr_kernarg_segment_ptr 1
		.amdhsa_user_sgpr_dispatch_id 0
		.amdhsa_user_sgpr_private_segment_size 0
		.amdhsa_wavefront_size32 1
		.amdhsa_uses_dynamic_stack 0
		.amdhsa_enable_private_segment 0
		.amdhsa_system_sgpr_workgroup_id_x 1
		.amdhsa_system_sgpr_workgroup_id_y 0
		.amdhsa_system_sgpr_workgroup_id_z 0
		.amdhsa_system_sgpr_workgroup_info 0
		.amdhsa_system_vgpr_workitem_id 0
		.amdhsa_next_free_vgpr 1
		.amdhsa_next_free_sgpr 1
		.amdhsa_reserve_vcc 0
		.amdhsa_float_round_mode_32 0
		.amdhsa_float_round_mode_16_64 0
		.amdhsa_float_denorm_mode_32 3
		.amdhsa_float_denorm_mode_16_64 3
		.amdhsa_dx10_clamp 1
		.amdhsa_ieee_mode 1
		.amdhsa_fp16_overflow 0
		.amdhsa_workgroup_processor_mode 1
		.amdhsa_memory_ordered 1
		.amdhsa_forward_progress 0
		.amdhsa_shared_vgpr_count 0
		.amdhsa_exception_fp_ieee_invalid_op 0
		.amdhsa_exception_fp_denorm_src 0
		.amdhsa_exception_fp_ieee_div_zero 0
		.amdhsa_exception_fp_ieee_overflow 0
		.amdhsa_exception_fp_ieee_underflow 0
		.amdhsa_exception_fp_ieee_inexact 0
		.amdhsa_exception_int_div_zero 0
	.end_amdhsa_kernel
	.section	.text._ZN7rocprim17ROCPRIM_400000_NS6detail17trampoline_kernelINS0_14default_configENS1_25transform_config_selectorIjLb0EEEZNS1_14transform_implILb0ES3_S5_NS0_18transform_iteratorINS0_17counting_iteratorImlEEZNS1_24adjacent_difference_implIS3_Lb1ELb0EPKjPjN6thrust23THRUST_200600_302600_NS4plusIjEEEE10hipError_tPvRmT2_T3_mT4_P12ihipStream_tbEUlmE_jEESD_NS0_8identityIvEEEESI_SL_SM_mSN_SP_bEUlT_E_NS1_11comp_targetILNS1_3genE3ELNS1_11target_archE908ELNS1_3gpuE7ELNS1_3repE0EEENS1_30default_config_static_selectorELNS0_4arch9wavefront6targetE0EEEvT1_,"axG",@progbits,_ZN7rocprim17ROCPRIM_400000_NS6detail17trampoline_kernelINS0_14default_configENS1_25transform_config_selectorIjLb0EEEZNS1_14transform_implILb0ES3_S5_NS0_18transform_iteratorINS0_17counting_iteratorImlEEZNS1_24adjacent_difference_implIS3_Lb1ELb0EPKjPjN6thrust23THRUST_200600_302600_NS4plusIjEEEE10hipError_tPvRmT2_T3_mT4_P12ihipStream_tbEUlmE_jEESD_NS0_8identityIvEEEESI_SL_SM_mSN_SP_bEUlT_E_NS1_11comp_targetILNS1_3genE3ELNS1_11target_archE908ELNS1_3gpuE7ELNS1_3repE0EEENS1_30default_config_static_selectorELNS0_4arch9wavefront6targetE0EEEvT1_,comdat
.Lfunc_end659:
	.size	_ZN7rocprim17ROCPRIM_400000_NS6detail17trampoline_kernelINS0_14default_configENS1_25transform_config_selectorIjLb0EEEZNS1_14transform_implILb0ES3_S5_NS0_18transform_iteratorINS0_17counting_iteratorImlEEZNS1_24adjacent_difference_implIS3_Lb1ELb0EPKjPjN6thrust23THRUST_200600_302600_NS4plusIjEEEE10hipError_tPvRmT2_T3_mT4_P12ihipStream_tbEUlmE_jEESD_NS0_8identityIvEEEESI_SL_SM_mSN_SP_bEUlT_E_NS1_11comp_targetILNS1_3genE3ELNS1_11target_archE908ELNS1_3gpuE7ELNS1_3repE0EEENS1_30default_config_static_selectorELNS0_4arch9wavefront6targetE0EEEvT1_, .Lfunc_end659-_ZN7rocprim17ROCPRIM_400000_NS6detail17trampoline_kernelINS0_14default_configENS1_25transform_config_selectorIjLb0EEEZNS1_14transform_implILb0ES3_S5_NS0_18transform_iteratorINS0_17counting_iteratorImlEEZNS1_24adjacent_difference_implIS3_Lb1ELb0EPKjPjN6thrust23THRUST_200600_302600_NS4plusIjEEEE10hipError_tPvRmT2_T3_mT4_P12ihipStream_tbEUlmE_jEESD_NS0_8identityIvEEEESI_SL_SM_mSN_SP_bEUlT_E_NS1_11comp_targetILNS1_3genE3ELNS1_11target_archE908ELNS1_3gpuE7ELNS1_3repE0EEENS1_30default_config_static_selectorELNS0_4arch9wavefront6targetE0EEEvT1_
                                        ; -- End function
	.section	.AMDGPU.csdata,"",@progbits
; Kernel info:
; codeLenInByte = 0
; NumSgprs: 0
; NumVgprs: 0
; ScratchSize: 0
; MemoryBound: 0
; FloatMode: 240
; IeeeMode: 1
; LDSByteSize: 0 bytes/workgroup (compile time only)
; SGPRBlocks: 0
; VGPRBlocks: 0
; NumSGPRsForWavesPerEU: 1
; NumVGPRsForWavesPerEU: 1
; Occupancy: 16
; WaveLimiterHint : 0
; COMPUTE_PGM_RSRC2:SCRATCH_EN: 0
; COMPUTE_PGM_RSRC2:USER_SGPR: 15
; COMPUTE_PGM_RSRC2:TRAP_HANDLER: 0
; COMPUTE_PGM_RSRC2:TGID_X_EN: 1
; COMPUTE_PGM_RSRC2:TGID_Y_EN: 0
; COMPUTE_PGM_RSRC2:TGID_Z_EN: 0
; COMPUTE_PGM_RSRC2:TIDIG_COMP_CNT: 0
	.section	.text._ZN7rocprim17ROCPRIM_400000_NS6detail17trampoline_kernelINS0_14default_configENS1_25transform_config_selectorIjLb0EEEZNS1_14transform_implILb0ES3_S5_NS0_18transform_iteratorINS0_17counting_iteratorImlEEZNS1_24adjacent_difference_implIS3_Lb1ELb0EPKjPjN6thrust23THRUST_200600_302600_NS4plusIjEEEE10hipError_tPvRmT2_T3_mT4_P12ihipStream_tbEUlmE_jEESD_NS0_8identityIvEEEESI_SL_SM_mSN_SP_bEUlT_E_NS1_11comp_targetILNS1_3genE2ELNS1_11target_archE906ELNS1_3gpuE6ELNS1_3repE0EEENS1_30default_config_static_selectorELNS0_4arch9wavefront6targetE0EEEvT1_,"axG",@progbits,_ZN7rocprim17ROCPRIM_400000_NS6detail17trampoline_kernelINS0_14default_configENS1_25transform_config_selectorIjLb0EEEZNS1_14transform_implILb0ES3_S5_NS0_18transform_iteratorINS0_17counting_iteratorImlEEZNS1_24adjacent_difference_implIS3_Lb1ELb0EPKjPjN6thrust23THRUST_200600_302600_NS4plusIjEEEE10hipError_tPvRmT2_T3_mT4_P12ihipStream_tbEUlmE_jEESD_NS0_8identityIvEEEESI_SL_SM_mSN_SP_bEUlT_E_NS1_11comp_targetILNS1_3genE2ELNS1_11target_archE906ELNS1_3gpuE6ELNS1_3repE0EEENS1_30default_config_static_selectorELNS0_4arch9wavefront6targetE0EEEvT1_,comdat
	.protected	_ZN7rocprim17ROCPRIM_400000_NS6detail17trampoline_kernelINS0_14default_configENS1_25transform_config_selectorIjLb0EEEZNS1_14transform_implILb0ES3_S5_NS0_18transform_iteratorINS0_17counting_iteratorImlEEZNS1_24adjacent_difference_implIS3_Lb1ELb0EPKjPjN6thrust23THRUST_200600_302600_NS4plusIjEEEE10hipError_tPvRmT2_T3_mT4_P12ihipStream_tbEUlmE_jEESD_NS0_8identityIvEEEESI_SL_SM_mSN_SP_bEUlT_E_NS1_11comp_targetILNS1_3genE2ELNS1_11target_archE906ELNS1_3gpuE6ELNS1_3repE0EEENS1_30default_config_static_selectorELNS0_4arch9wavefront6targetE0EEEvT1_ ; -- Begin function _ZN7rocprim17ROCPRIM_400000_NS6detail17trampoline_kernelINS0_14default_configENS1_25transform_config_selectorIjLb0EEEZNS1_14transform_implILb0ES3_S5_NS0_18transform_iteratorINS0_17counting_iteratorImlEEZNS1_24adjacent_difference_implIS3_Lb1ELb0EPKjPjN6thrust23THRUST_200600_302600_NS4plusIjEEEE10hipError_tPvRmT2_T3_mT4_P12ihipStream_tbEUlmE_jEESD_NS0_8identityIvEEEESI_SL_SM_mSN_SP_bEUlT_E_NS1_11comp_targetILNS1_3genE2ELNS1_11target_archE906ELNS1_3gpuE6ELNS1_3repE0EEENS1_30default_config_static_selectorELNS0_4arch9wavefront6targetE0EEEvT1_
	.globl	_ZN7rocprim17ROCPRIM_400000_NS6detail17trampoline_kernelINS0_14default_configENS1_25transform_config_selectorIjLb0EEEZNS1_14transform_implILb0ES3_S5_NS0_18transform_iteratorINS0_17counting_iteratorImlEEZNS1_24adjacent_difference_implIS3_Lb1ELb0EPKjPjN6thrust23THRUST_200600_302600_NS4plusIjEEEE10hipError_tPvRmT2_T3_mT4_P12ihipStream_tbEUlmE_jEESD_NS0_8identityIvEEEESI_SL_SM_mSN_SP_bEUlT_E_NS1_11comp_targetILNS1_3genE2ELNS1_11target_archE906ELNS1_3gpuE6ELNS1_3repE0EEENS1_30default_config_static_selectorELNS0_4arch9wavefront6targetE0EEEvT1_
	.p2align	8
	.type	_ZN7rocprim17ROCPRIM_400000_NS6detail17trampoline_kernelINS0_14default_configENS1_25transform_config_selectorIjLb0EEEZNS1_14transform_implILb0ES3_S5_NS0_18transform_iteratorINS0_17counting_iteratorImlEEZNS1_24adjacent_difference_implIS3_Lb1ELb0EPKjPjN6thrust23THRUST_200600_302600_NS4plusIjEEEE10hipError_tPvRmT2_T3_mT4_P12ihipStream_tbEUlmE_jEESD_NS0_8identityIvEEEESI_SL_SM_mSN_SP_bEUlT_E_NS1_11comp_targetILNS1_3genE2ELNS1_11target_archE906ELNS1_3gpuE6ELNS1_3repE0EEENS1_30default_config_static_selectorELNS0_4arch9wavefront6targetE0EEEvT1_,@function
_ZN7rocprim17ROCPRIM_400000_NS6detail17trampoline_kernelINS0_14default_configENS1_25transform_config_selectorIjLb0EEEZNS1_14transform_implILb0ES3_S5_NS0_18transform_iteratorINS0_17counting_iteratorImlEEZNS1_24adjacent_difference_implIS3_Lb1ELb0EPKjPjN6thrust23THRUST_200600_302600_NS4plusIjEEEE10hipError_tPvRmT2_T3_mT4_P12ihipStream_tbEUlmE_jEESD_NS0_8identityIvEEEESI_SL_SM_mSN_SP_bEUlT_E_NS1_11comp_targetILNS1_3genE2ELNS1_11target_archE906ELNS1_3gpuE6ELNS1_3repE0EEENS1_30default_config_static_selectorELNS0_4arch9wavefront6targetE0EEEvT1_: ; @_ZN7rocprim17ROCPRIM_400000_NS6detail17trampoline_kernelINS0_14default_configENS1_25transform_config_selectorIjLb0EEEZNS1_14transform_implILb0ES3_S5_NS0_18transform_iteratorINS0_17counting_iteratorImlEEZNS1_24adjacent_difference_implIS3_Lb1ELb0EPKjPjN6thrust23THRUST_200600_302600_NS4plusIjEEEE10hipError_tPvRmT2_T3_mT4_P12ihipStream_tbEUlmE_jEESD_NS0_8identityIvEEEESI_SL_SM_mSN_SP_bEUlT_E_NS1_11comp_targetILNS1_3genE2ELNS1_11target_archE906ELNS1_3gpuE6ELNS1_3repE0EEENS1_30default_config_static_selectorELNS0_4arch9wavefront6targetE0EEEvT1_
; %bb.0:
	.section	.rodata,"a",@progbits
	.p2align	6, 0x0
	.amdhsa_kernel _ZN7rocprim17ROCPRIM_400000_NS6detail17trampoline_kernelINS0_14default_configENS1_25transform_config_selectorIjLb0EEEZNS1_14transform_implILb0ES3_S5_NS0_18transform_iteratorINS0_17counting_iteratorImlEEZNS1_24adjacent_difference_implIS3_Lb1ELb0EPKjPjN6thrust23THRUST_200600_302600_NS4plusIjEEEE10hipError_tPvRmT2_T3_mT4_P12ihipStream_tbEUlmE_jEESD_NS0_8identityIvEEEESI_SL_SM_mSN_SP_bEUlT_E_NS1_11comp_targetILNS1_3genE2ELNS1_11target_archE906ELNS1_3gpuE6ELNS1_3repE0EEENS1_30default_config_static_selectorELNS0_4arch9wavefront6targetE0EEEvT1_
		.amdhsa_group_segment_fixed_size 0
		.amdhsa_private_segment_fixed_size 0
		.amdhsa_kernarg_size 56
		.amdhsa_user_sgpr_count 15
		.amdhsa_user_sgpr_dispatch_ptr 0
		.amdhsa_user_sgpr_queue_ptr 0
		.amdhsa_user_sgpr_kernarg_segment_ptr 1
		.amdhsa_user_sgpr_dispatch_id 0
		.amdhsa_user_sgpr_private_segment_size 0
		.amdhsa_wavefront_size32 1
		.amdhsa_uses_dynamic_stack 0
		.amdhsa_enable_private_segment 0
		.amdhsa_system_sgpr_workgroup_id_x 1
		.amdhsa_system_sgpr_workgroup_id_y 0
		.amdhsa_system_sgpr_workgroup_id_z 0
		.amdhsa_system_sgpr_workgroup_info 0
		.amdhsa_system_vgpr_workitem_id 0
		.amdhsa_next_free_vgpr 1
		.amdhsa_next_free_sgpr 1
		.amdhsa_reserve_vcc 0
		.amdhsa_float_round_mode_32 0
		.amdhsa_float_round_mode_16_64 0
		.amdhsa_float_denorm_mode_32 3
		.amdhsa_float_denorm_mode_16_64 3
		.amdhsa_dx10_clamp 1
		.amdhsa_ieee_mode 1
		.amdhsa_fp16_overflow 0
		.amdhsa_workgroup_processor_mode 1
		.amdhsa_memory_ordered 1
		.amdhsa_forward_progress 0
		.amdhsa_shared_vgpr_count 0
		.amdhsa_exception_fp_ieee_invalid_op 0
		.amdhsa_exception_fp_denorm_src 0
		.amdhsa_exception_fp_ieee_div_zero 0
		.amdhsa_exception_fp_ieee_overflow 0
		.amdhsa_exception_fp_ieee_underflow 0
		.amdhsa_exception_fp_ieee_inexact 0
		.amdhsa_exception_int_div_zero 0
	.end_amdhsa_kernel
	.section	.text._ZN7rocprim17ROCPRIM_400000_NS6detail17trampoline_kernelINS0_14default_configENS1_25transform_config_selectorIjLb0EEEZNS1_14transform_implILb0ES3_S5_NS0_18transform_iteratorINS0_17counting_iteratorImlEEZNS1_24adjacent_difference_implIS3_Lb1ELb0EPKjPjN6thrust23THRUST_200600_302600_NS4plusIjEEEE10hipError_tPvRmT2_T3_mT4_P12ihipStream_tbEUlmE_jEESD_NS0_8identityIvEEEESI_SL_SM_mSN_SP_bEUlT_E_NS1_11comp_targetILNS1_3genE2ELNS1_11target_archE906ELNS1_3gpuE6ELNS1_3repE0EEENS1_30default_config_static_selectorELNS0_4arch9wavefront6targetE0EEEvT1_,"axG",@progbits,_ZN7rocprim17ROCPRIM_400000_NS6detail17trampoline_kernelINS0_14default_configENS1_25transform_config_selectorIjLb0EEEZNS1_14transform_implILb0ES3_S5_NS0_18transform_iteratorINS0_17counting_iteratorImlEEZNS1_24adjacent_difference_implIS3_Lb1ELb0EPKjPjN6thrust23THRUST_200600_302600_NS4plusIjEEEE10hipError_tPvRmT2_T3_mT4_P12ihipStream_tbEUlmE_jEESD_NS0_8identityIvEEEESI_SL_SM_mSN_SP_bEUlT_E_NS1_11comp_targetILNS1_3genE2ELNS1_11target_archE906ELNS1_3gpuE6ELNS1_3repE0EEENS1_30default_config_static_selectorELNS0_4arch9wavefront6targetE0EEEvT1_,comdat
.Lfunc_end660:
	.size	_ZN7rocprim17ROCPRIM_400000_NS6detail17trampoline_kernelINS0_14default_configENS1_25transform_config_selectorIjLb0EEEZNS1_14transform_implILb0ES3_S5_NS0_18transform_iteratorINS0_17counting_iteratorImlEEZNS1_24adjacent_difference_implIS3_Lb1ELb0EPKjPjN6thrust23THRUST_200600_302600_NS4plusIjEEEE10hipError_tPvRmT2_T3_mT4_P12ihipStream_tbEUlmE_jEESD_NS0_8identityIvEEEESI_SL_SM_mSN_SP_bEUlT_E_NS1_11comp_targetILNS1_3genE2ELNS1_11target_archE906ELNS1_3gpuE6ELNS1_3repE0EEENS1_30default_config_static_selectorELNS0_4arch9wavefront6targetE0EEEvT1_, .Lfunc_end660-_ZN7rocprim17ROCPRIM_400000_NS6detail17trampoline_kernelINS0_14default_configENS1_25transform_config_selectorIjLb0EEEZNS1_14transform_implILb0ES3_S5_NS0_18transform_iteratorINS0_17counting_iteratorImlEEZNS1_24adjacent_difference_implIS3_Lb1ELb0EPKjPjN6thrust23THRUST_200600_302600_NS4plusIjEEEE10hipError_tPvRmT2_T3_mT4_P12ihipStream_tbEUlmE_jEESD_NS0_8identityIvEEEESI_SL_SM_mSN_SP_bEUlT_E_NS1_11comp_targetILNS1_3genE2ELNS1_11target_archE906ELNS1_3gpuE6ELNS1_3repE0EEENS1_30default_config_static_selectorELNS0_4arch9wavefront6targetE0EEEvT1_
                                        ; -- End function
	.section	.AMDGPU.csdata,"",@progbits
; Kernel info:
; codeLenInByte = 0
; NumSgprs: 0
; NumVgprs: 0
; ScratchSize: 0
; MemoryBound: 0
; FloatMode: 240
; IeeeMode: 1
; LDSByteSize: 0 bytes/workgroup (compile time only)
; SGPRBlocks: 0
; VGPRBlocks: 0
; NumSGPRsForWavesPerEU: 1
; NumVGPRsForWavesPerEU: 1
; Occupancy: 16
; WaveLimiterHint : 0
; COMPUTE_PGM_RSRC2:SCRATCH_EN: 0
; COMPUTE_PGM_RSRC2:USER_SGPR: 15
; COMPUTE_PGM_RSRC2:TRAP_HANDLER: 0
; COMPUTE_PGM_RSRC2:TGID_X_EN: 1
; COMPUTE_PGM_RSRC2:TGID_Y_EN: 0
; COMPUTE_PGM_RSRC2:TGID_Z_EN: 0
; COMPUTE_PGM_RSRC2:TIDIG_COMP_CNT: 0
	.section	.text._ZN7rocprim17ROCPRIM_400000_NS6detail17trampoline_kernelINS0_14default_configENS1_25transform_config_selectorIjLb0EEEZNS1_14transform_implILb0ES3_S5_NS0_18transform_iteratorINS0_17counting_iteratorImlEEZNS1_24adjacent_difference_implIS3_Lb1ELb0EPKjPjN6thrust23THRUST_200600_302600_NS4plusIjEEEE10hipError_tPvRmT2_T3_mT4_P12ihipStream_tbEUlmE_jEESD_NS0_8identityIvEEEESI_SL_SM_mSN_SP_bEUlT_E_NS1_11comp_targetILNS1_3genE10ELNS1_11target_archE1201ELNS1_3gpuE5ELNS1_3repE0EEENS1_30default_config_static_selectorELNS0_4arch9wavefront6targetE0EEEvT1_,"axG",@progbits,_ZN7rocprim17ROCPRIM_400000_NS6detail17trampoline_kernelINS0_14default_configENS1_25transform_config_selectorIjLb0EEEZNS1_14transform_implILb0ES3_S5_NS0_18transform_iteratorINS0_17counting_iteratorImlEEZNS1_24adjacent_difference_implIS3_Lb1ELb0EPKjPjN6thrust23THRUST_200600_302600_NS4plusIjEEEE10hipError_tPvRmT2_T3_mT4_P12ihipStream_tbEUlmE_jEESD_NS0_8identityIvEEEESI_SL_SM_mSN_SP_bEUlT_E_NS1_11comp_targetILNS1_3genE10ELNS1_11target_archE1201ELNS1_3gpuE5ELNS1_3repE0EEENS1_30default_config_static_selectorELNS0_4arch9wavefront6targetE0EEEvT1_,comdat
	.protected	_ZN7rocprim17ROCPRIM_400000_NS6detail17trampoline_kernelINS0_14default_configENS1_25transform_config_selectorIjLb0EEEZNS1_14transform_implILb0ES3_S5_NS0_18transform_iteratorINS0_17counting_iteratorImlEEZNS1_24adjacent_difference_implIS3_Lb1ELb0EPKjPjN6thrust23THRUST_200600_302600_NS4plusIjEEEE10hipError_tPvRmT2_T3_mT4_P12ihipStream_tbEUlmE_jEESD_NS0_8identityIvEEEESI_SL_SM_mSN_SP_bEUlT_E_NS1_11comp_targetILNS1_3genE10ELNS1_11target_archE1201ELNS1_3gpuE5ELNS1_3repE0EEENS1_30default_config_static_selectorELNS0_4arch9wavefront6targetE0EEEvT1_ ; -- Begin function _ZN7rocprim17ROCPRIM_400000_NS6detail17trampoline_kernelINS0_14default_configENS1_25transform_config_selectorIjLb0EEEZNS1_14transform_implILb0ES3_S5_NS0_18transform_iteratorINS0_17counting_iteratorImlEEZNS1_24adjacent_difference_implIS3_Lb1ELb0EPKjPjN6thrust23THRUST_200600_302600_NS4plusIjEEEE10hipError_tPvRmT2_T3_mT4_P12ihipStream_tbEUlmE_jEESD_NS0_8identityIvEEEESI_SL_SM_mSN_SP_bEUlT_E_NS1_11comp_targetILNS1_3genE10ELNS1_11target_archE1201ELNS1_3gpuE5ELNS1_3repE0EEENS1_30default_config_static_selectorELNS0_4arch9wavefront6targetE0EEEvT1_
	.globl	_ZN7rocprim17ROCPRIM_400000_NS6detail17trampoline_kernelINS0_14default_configENS1_25transform_config_selectorIjLb0EEEZNS1_14transform_implILb0ES3_S5_NS0_18transform_iteratorINS0_17counting_iteratorImlEEZNS1_24adjacent_difference_implIS3_Lb1ELb0EPKjPjN6thrust23THRUST_200600_302600_NS4plusIjEEEE10hipError_tPvRmT2_T3_mT4_P12ihipStream_tbEUlmE_jEESD_NS0_8identityIvEEEESI_SL_SM_mSN_SP_bEUlT_E_NS1_11comp_targetILNS1_3genE10ELNS1_11target_archE1201ELNS1_3gpuE5ELNS1_3repE0EEENS1_30default_config_static_selectorELNS0_4arch9wavefront6targetE0EEEvT1_
	.p2align	8
	.type	_ZN7rocprim17ROCPRIM_400000_NS6detail17trampoline_kernelINS0_14default_configENS1_25transform_config_selectorIjLb0EEEZNS1_14transform_implILb0ES3_S5_NS0_18transform_iteratorINS0_17counting_iteratorImlEEZNS1_24adjacent_difference_implIS3_Lb1ELb0EPKjPjN6thrust23THRUST_200600_302600_NS4plusIjEEEE10hipError_tPvRmT2_T3_mT4_P12ihipStream_tbEUlmE_jEESD_NS0_8identityIvEEEESI_SL_SM_mSN_SP_bEUlT_E_NS1_11comp_targetILNS1_3genE10ELNS1_11target_archE1201ELNS1_3gpuE5ELNS1_3repE0EEENS1_30default_config_static_selectorELNS0_4arch9wavefront6targetE0EEEvT1_,@function
_ZN7rocprim17ROCPRIM_400000_NS6detail17trampoline_kernelINS0_14default_configENS1_25transform_config_selectorIjLb0EEEZNS1_14transform_implILb0ES3_S5_NS0_18transform_iteratorINS0_17counting_iteratorImlEEZNS1_24adjacent_difference_implIS3_Lb1ELb0EPKjPjN6thrust23THRUST_200600_302600_NS4plusIjEEEE10hipError_tPvRmT2_T3_mT4_P12ihipStream_tbEUlmE_jEESD_NS0_8identityIvEEEESI_SL_SM_mSN_SP_bEUlT_E_NS1_11comp_targetILNS1_3genE10ELNS1_11target_archE1201ELNS1_3gpuE5ELNS1_3repE0EEENS1_30default_config_static_selectorELNS0_4arch9wavefront6targetE0EEEvT1_: ; @_ZN7rocprim17ROCPRIM_400000_NS6detail17trampoline_kernelINS0_14default_configENS1_25transform_config_selectorIjLb0EEEZNS1_14transform_implILb0ES3_S5_NS0_18transform_iteratorINS0_17counting_iteratorImlEEZNS1_24adjacent_difference_implIS3_Lb1ELb0EPKjPjN6thrust23THRUST_200600_302600_NS4plusIjEEEE10hipError_tPvRmT2_T3_mT4_P12ihipStream_tbEUlmE_jEESD_NS0_8identityIvEEEESI_SL_SM_mSN_SP_bEUlT_E_NS1_11comp_targetILNS1_3genE10ELNS1_11target_archE1201ELNS1_3gpuE5ELNS1_3repE0EEENS1_30default_config_static_selectorELNS0_4arch9wavefront6targetE0EEEvT1_
; %bb.0:
	.section	.rodata,"a",@progbits
	.p2align	6, 0x0
	.amdhsa_kernel _ZN7rocprim17ROCPRIM_400000_NS6detail17trampoline_kernelINS0_14default_configENS1_25transform_config_selectorIjLb0EEEZNS1_14transform_implILb0ES3_S5_NS0_18transform_iteratorINS0_17counting_iteratorImlEEZNS1_24adjacent_difference_implIS3_Lb1ELb0EPKjPjN6thrust23THRUST_200600_302600_NS4plusIjEEEE10hipError_tPvRmT2_T3_mT4_P12ihipStream_tbEUlmE_jEESD_NS0_8identityIvEEEESI_SL_SM_mSN_SP_bEUlT_E_NS1_11comp_targetILNS1_3genE10ELNS1_11target_archE1201ELNS1_3gpuE5ELNS1_3repE0EEENS1_30default_config_static_selectorELNS0_4arch9wavefront6targetE0EEEvT1_
		.amdhsa_group_segment_fixed_size 0
		.amdhsa_private_segment_fixed_size 0
		.amdhsa_kernarg_size 56
		.amdhsa_user_sgpr_count 15
		.amdhsa_user_sgpr_dispatch_ptr 0
		.amdhsa_user_sgpr_queue_ptr 0
		.amdhsa_user_sgpr_kernarg_segment_ptr 1
		.amdhsa_user_sgpr_dispatch_id 0
		.amdhsa_user_sgpr_private_segment_size 0
		.amdhsa_wavefront_size32 1
		.amdhsa_uses_dynamic_stack 0
		.amdhsa_enable_private_segment 0
		.amdhsa_system_sgpr_workgroup_id_x 1
		.amdhsa_system_sgpr_workgroup_id_y 0
		.amdhsa_system_sgpr_workgroup_id_z 0
		.amdhsa_system_sgpr_workgroup_info 0
		.amdhsa_system_vgpr_workitem_id 0
		.amdhsa_next_free_vgpr 1
		.amdhsa_next_free_sgpr 1
		.amdhsa_reserve_vcc 0
		.amdhsa_float_round_mode_32 0
		.amdhsa_float_round_mode_16_64 0
		.amdhsa_float_denorm_mode_32 3
		.amdhsa_float_denorm_mode_16_64 3
		.amdhsa_dx10_clamp 1
		.amdhsa_ieee_mode 1
		.amdhsa_fp16_overflow 0
		.amdhsa_workgroup_processor_mode 1
		.amdhsa_memory_ordered 1
		.amdhsa_forward_progress 0
		.amdhsa_shared_vgpr_count 0
		.amdhsa_exception_fp_ieee_invalid_op 0
		.amdhsa_exception_fp_denorm_src 0
		.amdhsa_exception_fp_ieee_div_zero 0
		.amdhsa_exception_fp_ieee_overflow 0
		.amdhsa_exception_fp_ieee_underflow 0
		.amdhsa_exception_fp_ieee_inexact 0
		.amdhsa_exception_int_div_zero 0
	.end_amdhsa_kernel
	.section	.text._ZN7rocprim17ROCPRIM_400000_NS6detail17trampoline_kernelINS0_14default_configENS1_25transform_config_selectorIjLb0EEEZNS1_14transform_implILb0ES3_S5_NS0_18transform_iteratorINS0_17counting_iteratorImlEEZNS1_24adjacent_difference_implIS3_Lb1ELb0EPKjPjN6thrust23THRUST_200600_302600_NS4plusIjEEEE10hipError_tPvRmT2_T3_mT4_P12ihipStream_tbEUlmE_jEESD_NS0_8identityIvEEEESI_SL_SM_mSN_SP_bEUlT_E_NS1_11comp_targetILNS1_3genE10ELNS1_11target_archE1201ELNS1_3gpuE5ELNS1_3repE0EEENS1_30default_config_static_selectorELNS0_4arch9wavefront6targetE0EEEvT1_,"axG",@progbits,_ZN7rocprim17ROCPRIM_400000_NS6detail17trampoline_kernelINS0_14default_configENS1_25transform_config_selectorIjLb0EEEZNS1_14transform_implILb0ES3_S5_NS0_18transform_iteratorINS0_17counting_iteratorImlEEZNS1_24adjacent_difference_implIS3_Lb1ELb0EPKjPjN6thrust23THRUST_200600_302600_NS4plusIjEEEE10hipError_tPvRmT2_T3_mT4_P12ihipStream_tbEUlmE_jEESD_NS0_8identityIvEEEESI_SL_SM_mSN_SP_bEUlT_E_NS1_11comp_targetILNS1_3genE10ELNS1_11target_archE1201ELNS1_3gpuE5ELNS1_3repE0EEENS1_30default_config_static_selectorELNS0_4arch9wavefront6targetE0EEEvT1_,comdat
.Lfunc_end661:
	.size	_ZN7rocprim17ROCPRIM_400000_NS6detail17trampoline_kernelINS0_14default_configENS1_25transform_config_selectorIjLb0EEEZNS1_14transform_implILb0ES3_S5_NS0_18transform_iteratorINS0_17counting_iteratorImlEEZNS1_24adjacent_difference_implIS3_Lb1ELb0EPKjPjN6thrust23THRUST_200600_302600_NS4plusIjEEEE10hipError_tPvRmT2_T3_mT4_P12ihipStream_tbEUlmE_jEESD_NS0_8identityIvEEEESI_SL_SM_mSN_SP_bEUlT_E_NS1_11comp_targetILNS1_3genE10ELNS1_11target_archE1201ELNS1_3gpuE5ELNS1_3repE0EEENS1_30default_config_static_selectorELNS0_4arch9wavefront6targetE0EEEvT1_, .Lfunc_end661-_ZN7rocprim17ROCPRIM_400000_NS6detail17trampoline_kernelINS0_14default_configENS1_25transform_config_selectorIjLb0EEEZNS1_14transform_implILb0ES3_S5_NS0_18transform_iteratorINS0_17counting_iteratorImlEEZNS1_24adjacent_difference_implIS3_Lb1ELb0EPKjPjN6thrust23THRUST_200600_302600_NS4plusIjEEEE10hipError_tPvRmT2_T3_mT4_P12ihipStream_tbEUlmE_jEESD_NS0_8identityIvEEEESI_SL_SM_mSN_SP_bEUlT_E_NS1_11comp_targetILNS1_3genE10ELNS1_11target_archE1201ELNS1_3gpuE5ELNS1_3repE0EEENS1_30default_config_static_selectorELNS0_4arch9wavefront6targetE0EEEvT1_
                                        ; -- End function
	.section	.AMDGPU.csdata,"",@progbits
; Kernel info:
; codeLenInByte = 0
; NumSgprs: 0
; NumVgprs: 0
; ScratchSize: 0
; MemoryBound: 0
; FloatMode: 240
; IeeeMode: 1
; LDSByteSize: 0 bytes/workgroup (compile time only)
; SGPRBlocks: 0
; VGPRBlocks: 0
; NumSGPRsForWavesPerEU: 1
; NumVGPRsForWavesPerEU: 1
; Occupancy: 16
; WaveLimiterHint : 0
; COMPUTE_PGM_RSRC2:SCRATCH_EN: 0
; COMPUTE_PGM_RSRC2:USER_SGPR: 15
; COMPUTE_PGM_RSRC2:TRAP_HANDLER: 0
; COMPUTE_PGM_RSRC2:TGID_X_EN: 1
; COMPUTE_PGM_RSRC2:TGID_Y_EN: 0
; COMPUTE_PGM_RSRC2:TGID_Z_EN: 0
; COMPUTE_PGM_RSRC2:TIDIG_COMP_CNT: 0
	.section	.text._ZN7rocprim17ROCPRIM_400000_NS6detail17trampoline_kernelINS0_14default_configENS1_25transform_config_selectorIjLb0EEEZNS1_14transform_implILb0ES3_S5_NS0_18transform_iteratorINS0_17counting_iteratorImlEEZNS1_24adjacent_difference_implIS3_Lb1ELb0EPKjPjN6thrust23THRUST_200600_302600_NS4plusIjEEEE10hipError_tPvRmT2_T3_mT4_P12ihipStream_tbEUlmE_jEESD_NS0_8identityIvEEEESI_SL_SM_mSN_SP_bEUlT_E_NS1_11comp_targetILNS1_3genE10ELNS1_11target_archE1200ELNS1_3gpuE4ELNS1_3repE0EEENS1_30default_config_static_selectorELNS0_4arch9wavefront6targetE0EEEvT1_,"axG",@progbits,_ZN7rocprim17ROCPRIM_400000_NS6detail17trampoline_kernelINS0_14default_configENS1_25transform_config_selectorIjLb0EEEZNS1_14transform_implILb0ES3_S5_NS0_18transform_iteratorINS0_17counting_iteratorImlEEZNS1_24adjacent_difference_implIS3_Lb1ELb0EPKjPjN6thrust23THRUST_200600_302600_NS4plusIjEEEE10hipError_tPvRmT2_T3_mT4_P12ihipStream_tbEUlmE_jEESD_NS0_8identityIvEEEESI_SL_SM_mSN_SP_bEUlT_E_NS1_11comp_targetILNS1_3genE10ELNS1_11target_archE1200ELNS1_3gpuE4ELNS1_3repE0EEENS1_30default_config_static_selectorELNS0_4arch9wavefront6targetE0EEEvT1_,comdat
	.protected	_ZN7rocprim17ROCPRIM_400000_NS6detail17trampoline_kernelINS0_14default_configENS1_25transform_config_selectorIjLb0EEEZNS1_14transform_implILb0ES3_S5_NS0_18transform_iteratorINS0_17counting_iteratorImlEEZNS1_24adjacent_difference_implIS3_Lb1ELb0EPKjPjN6thrust23THRUST_200600_302600_NS4plusIjEEEE10hipError_tPvRmT2_T3_mT4_P12ihipStream_tbEUlmE_jEESD_NS0_8identityIvEEEESI_SL_SM_mSN_SP_bEUlT_E_NS1_11comp_targetILNS1_3genE10ELNS1_11target_archE1200ELNS1_3gpuE4ELNS1_3repE0EEENS1_30default_config_static_selectorELNS0_4arch9wavefront6targetE0EEEvT1_ ; -- Begin function _ZN7rocprim17ROCPRIM_400000_NS6detail17trampoline_kernelINS0_14default_configENS1_25transform_config_selectorIjLb0EEEZNS1_14transform_implILb0ES3_S5_NS0_18transform_iteratorINS0_17counting_iteratorImlEEZNS1_24adjacent_difference_implIS3_Lb1ELb0EPKjPjN6thrust23THRUST_200600_302600_NS4plusIjEEEE10hipError_tPvRmT2_T3_mT4_P12ihipStream_tbEUlmE_jEESD_NS0_8identityIvEEEESI_SL_SM_mSN_SP_bEUlT_E_NS1_11comp_targetILNS1_3genE10ELNS1_11target_archE1200ELNS1_3gpuE4ELNS1_3repE0EEENS1_30default_config_static_selectorELNS0_4arch9wavefront6targetE0EEEvT1_
	.globl	_ZN7rocprim17ROCPRIM_400000_NS6detail17trampoline_kernelINS0_14default_configENS1_25transform_config_selectorIjLb0EEEZNS1_14transform_implILb0ES3_S5_NS0_18transform_iteratorINS0_17counting_iteratorImlEEZNS1_24adjacent_difference_implIS3_Lb1ELb0EPKjPjN6thrust23THRUST_200600_302600_NS4plusIjEEEE10hipError_tPvRmT2_T3_mT4_P12ihipStream_tbEUlmE_jEESD_NS0_8identityIvEEEESI_SL_SM_mSN_SP_bEUlT_E_NS1_11comp_targetILNS1_3genE10ELNS1_11target_archE1200ELNS1_3gpuE4ELNS1_3repE0EEENS1_30default_config_static_selectorELNS0_4arch9wavefront6targetE0EEEvT1_
	.p2align	8
	.type	_ZN7rocprim17ROCPRIM_400000_NS6detail17trampoline_kernelINS0_14default_configENS1_25transform_config_selectorIjLb0EEEZNS1_14transform_implILb0ES3_S5_NS0_18transform_iteratorINS0_17counting_iteratorImlEEZNS1_24adjacent_difference_implIS3_Lb1ELb0EPKjPjN6thrust23THRUST_200600_302600_NS4plusIjEEEE10hipError_tPvRmT2_T3_mT4_P12ihipStream_tbEUlmE_jEESD_NS0_8identityIvEEEESI_SL_SM_mSN_SP_bEUlT_E_NS1_11comp_targetILNS1_3genE10ELNS1_11target_archE1200ELNS1_3gpuE4ELNS1_3repE0EEENS1_30default_config_static_selectorELNS0_4arch9wavefront6targetE0EEEvT1_,@function
_ZN7rocprim17ROCPRIM_400000_NS6detail17trampoline_kernelINS0_14default_configENS1_25transform_config_selectorIjLb0EEEZNS1_14transform_implILb0ES3_S5_NS0_18transform_iteratorINS0_17counting_iteratorImlEEZNS1_24adjacent_difference_implIS3_Lb1ELb0EPKjPjN6thrust23THRUST_200600_302600_NS4plusIjEEEE10hipError_tPvRmT2_T3_mT4_P12ihipStream_tbEUlmE_jEESD_NS0_8identityIvEEEESI_SL_SM_mSN_SP_bEUlT_E_NS1_11comp_targetILNS1_3genE10ELNS1_11target_archE1200ELNS1_3gpuE4ELNS1_3repE0EEENS1_30default_config_static_selectorELNS0_4arch9wavefront6targetE0EEEvT1_: ; @_ZN7rocprim17ROCPRIM_400000_NS6detail17trampoline_kernelINS0_14default_configENS1_25transform_config_selectorIjLb0EEEZNS1_14transform_implILb0ES3_S5_NS0_18transform_iteratorINS0_17counting_iteratorImlEEZNS1_24adjacent_difference_implIS3_Lb1ELb0EPKjPjN6thrust23THRUST_200600_302600_NS4plusIjEEEE10hipError_tPvRmT2_T3_mT4_P12ihipStream_tbEUlmE_jEESD_NS0_8identityIvEEEESI_SL_SM_mSN_SP_bEUlT_E_NS1_11comp_targetILNS1_3genE10ELNS1_11target_archE1200ELNS1_3gpuE4ELNS1_3repE0EEENS1_30default_config_static_selectorELNS0_4arch9wavefront6targetE0EEEvT1_
; %bb.0:
	.section	.rodata,"a",@progbits
	.p2align	6, 0x0
	.amdhsa_kernel _ZN7rocprim17ROCPRIM_400000_NS6detail17trampoline_kernelINS0_14default_configENS1_25transform_config_selectorIjLb0EEEZNS1_14transform_implILb0ES3_S5_NS0_18transform_iteratorINS0_17counting_iteratorImlEEZNS1_24adjacent_difference_implIS3_Lb1ELb0EPKjPjN6thrust23THRUST_200600_302600_NS4plusIjEEEE10hipError_tPvRmT2_T3_mT4_P12ihipStream_tbEUlmE_jEESD_NS0_8identityIvEEEESI_SL_SM_mSN_SP_bEUlT_E_NS1_11comp_targetILNS1_3genE10ELNS1_11target_archE1200ELNS1_3gpuE4ELNS1_3repE0EEENS1_30default_config_static_selectorELNS0_4arch9wavefront6targetE0EEEvT1_
		.amdhsa_group_segment_fixed_size 0
		.amdhsa_private_segment_fixed_size 0
		.amdhsa_kernarg_size 56
		.amdhsa_user_sgpr_count 15
		.amdhsa_user_sgpr_dispatch_ptr 0
		.amdhsa_user_sgpr_queue_ptr 0
		.amdhsa_user_sgpr_kernarg_segment_ptr 1
		.amdhsa_user_sgpr_dispatch_id 0
		.amdhsa_user_sgpr_private_segment_size 0
		.amdhsa_wavefront_size32 1
		.amdhsa_uses_dynamic_stack 0
		.amdhsa_enable_private_segment 0
		.amdhsa_system_sgpr_workgroup_id_x 1
		.amdhsa_system_sgpr_workgroup_id_y 0
		.amdhsa_system_sgpr_workgroup_id_z 0
		.amdhsa_system_sgpr_workgroup_info 0
		.amdhsa_system_vgpr_workitem_id 0
		.amdhsa_next_free_vgpr 1
		.amdhsa_next_free_sgpr 1
		.amdhsa_reserve_vcc 0
		.amdhsa_float_round_mode_32 0
		.amdhsa_float_round_mode_16_64 0
		.amdhsa_float_denorm_mode_32 3
		.amdhsa_float_denorm_mode_16_64 3
		.amdhsa_dx10_clamp 1
		.amdhsa_ieee_mode 1
		.amdhsa_fp16_overflow 0
		.amdhsa_workgroup_processor_mode 1
		.amdhsa_memory_ordered 1
		.amdhsa_forward_progress 0
		.amdhsa_shared_vgpr_count 0
		.amdhsa_exception_fp_ieee_invalid_op 0
		.amdhsa_exception_fp_denorm_src 0
		.amdhsa_exception_fp_ieee_div_zero 0
		.amdhsa_exception_fp_ieee_overflow 0
		.amdhsa_exception_fp_ieee_underflow 0
		.amdhsa_exception_fp_ieee_inexact 0
		.amdhsa_exception_int_div_zero 0
	.end_amdhsa_kernel
	.section	.text._ZN7rocprim17ROCPRIM_400000_NS6detail17trampoline_kernelINS0_14default_configENS1_25transform_config_selectorIjLb0EEEZNS1_14transform_implILb0ES3_S5_NS0_18transform_iteratorINS0_17counting_iteratorImlEEZNS1_24adjacent_difference_implIS3_Lb1ELb0EPKjPjN6thrust23THRUST_200600_302600_NS4plusIjEEEE10hipError_tPvRmT2_T3_mT4_P12ihipStream_tbEUlmE_jEESD_NS0_8identityIvEEEESI_SL_SM_mSN_SP_bEUlT_E_NS1_11comp_targetILNS1_3genE10ELNS1_11target_archE1200ELNS1_3gpuE4ELNS1_3repE0EEENS1_30default_config_static_selectorELNS0_4arch9wavefront6targetE0EEEvT1_,"axG",@progbits,_ZN7rocprim17ROCPRIM_400000_NS6detail17trampoline_kernelINS0_14default_configENS1_25transform_config_selectorIjLb0EEEZNS1_14transform_implILb0ES3_S5_NS0_18transform_iteratorINS0_17counting_iteratorImlEEZNS1_24adjacent_difference_implIS3_Lb1ELb0EPKjPjN6thrust23THRUST_200600_302600_NS4plusIjEEEE10hipError_tPvRmT2_T3_mT4_P12ihipStream_tbEUlmE_jEESD_NS0_8identityIvEEEESI_SL_SM_mSN_SP_bEUlT_E_NS1_11comp_targetILNS1_3genE10ELNS1_11target_archE1200ELNS1_3gpuE4ELNS1_3repE0EEENS1_30default_config_static_selectorELNS0_4arch9wavefront6targetE0EEEvT1_,comdat
.Lfunc_end662:
	.size	_ZN7rocprim17ROCPRIM_400000_NS6detail17trampoline_kernelINS0_14default_configENS1_25transform_config_selectorIjLb0EEEZNS1_14transform_implILb0ES3_S5_NS0_18transform_iteratorINS0_17counting_iteratorImlEEZNS1_24adjacent_difference_implIS3_Lb1ELb0EPKjPjN6thrust23THRUST_200600_302600_NS4plusIjEEEE10hipError_tPvRmT2_T3_mT4_P12ihipStream_tbEUlmE_jEESD_NS0_8identityIvEEEESI_SL_SM_mSN_SP_bEUlT_E_NS1_11comp_targetILNS1_3genE10ELNS1_11target_archE1200ELNS1_3gpuE4ELNS1_3repE0EEENS1_30default_config_static_selectorELNS0_4arch9wavefront6targetE0EEEvT1_, .Lfunc_end662-_ZN7rocprim17ROCPRIM_400000_NS6detail17trampoline_kernelINS0_14default_configENS1_25transform_config_selectorIjLb0EEEZNS1_14transform_implILb0ES3_S5_NS0_18transform_iteratorINS0_17counting_iteratorImlEEZNS1_24adjacent_difference_implIS3_Lb1ELb0EPKjPjN6thrust23THRUST_200600_302600_NS4plusIjEEEE10hipError_tPvRmT2_T3_mT4_P12ihipStream_tbEUlmE_jEESD_NS0_8identityIvEEEESI_SL_SM_mSN_SP_bEUlT_E_NS1_11comp_targetILNS1_3genE10ELNS1_11target_archE1200ELNS1_3gpuE4ELNS1_3repE0EEENS1_30default_config_static_selectorELNS0_4arch9wavefront6targetE0EEEvT1_
                                        ; -- End function
	.section	.AMDGPU.csdata,"",@progbits
; Kernel info:
; codeLenInByte = 0
; NumSgprs: 0
; NumVgprs: 0
; ScratchSize: 0
; MemoryBound: 0
; FloatMode: 240
; IeeeMode: 1
; LDSByteSize: 0 bytes/workgroup (compile time only)
; SGPRBlocks: 0
; VGPRBlocks: 0
; NumSGPRsForWavesPerEU: 1
; NumVGPRsForWavesPerEU: 1
; Occupancy: 16
; WaveLimiterHint : 0
; COMPUTE_PGM_RSRC2:SCRATCH_EN: 0
; COMPUTE_PGM_RSRC2:USER_SGPR: 15
; COMPUTE_PGM_RSRC2:TRAP_HANDLER: 0
; COMPUTE_PGM_RSRC2:TGID_X_EN: 1
; COMPUTE_PGM_RSRC2:TGID_Y_EN: 0
; COMPUTE_PGM_RSRC2:TGID_Z_EN: 0
; COMPUTE_PGM_RSRC2:TIDIG_COMP_CNT: 0
	.section	.text._ZN7rocprim17ROCPRIM_400000_NS6detail17trampoline_kernelINS0_14default_configENS1_25transform_config_selectorIjLb0EEEZNS1_14transform_implILb0ES3_S5_NS0_18transform_iteratorINS0_17counting_iteratorImlEEZNS1_24adjacent_difference_implIS3_Lb1ELb0EPKjPjN6thrust23THRUST_200600_302600_NS4plusIjEEEE10hipError_tPvRmT2_T3_mT4_P12ihipStream_tbEUlmE_jEESD_NS0_8identityIvEEEESI_SL_SM_mSN_SP_bEUlT_E_NS1_11comp_targetILNS1_3genE9ELNS1_11target_archE1100ELNS1_3gpuE3ELNS1_3repE0EEENS1_30default_config_static_selectorELNS0_4arch9wavefront6targetE0EEEvT1_,"axG",@progbits,_ZN7rocprim17ROCPRIM_400000_NS6detail17trampoline_kernelINS0_14default_configENS1_25transform_config_selectorIjLb0EEEZNS1_14transform_implILb0ES3_S5_NS0_18transform_iteratorINS0_17counting_iteratorImlEEZNS1_24adjacent_difference_implIS3_Lb1ELb0EPKjPjN6thrust23THRUST_200600_302600_NS4plusIjEEEE10hipError_tPvRmT2_T3_mT4_P12ihipStream_tbEUlmE_jEESD_NS0_8identityIvEEEESI_SL_SM_mSN_SP_bEUlT_E_NS1_11comp_targetILNS1_3genE9ELNS1_11target_archE1100ELNS1_3gpuE3ELNS1_3repE0EEENS1_30default_config_static_selectorELNS0_4arch9wavefront6targetE0EEEvT1_,comdat
	.protected	_ZN7rocprim17ROCPRIM_400000_NS6detail17trampoline_kernelINS0_14default_configENS1_25transform_config_selectorIjLb0EEEZNS1_14transform_implILb0ES3_S5_NS0_18transform_iteratorINS0_17counting_iteratorImlEEZNS1_24adjacent_difference_implIS3_Lb1ELb0EPKjPjN6thrust23THRUST_200600_302600_NS4plusIjEEEE10hipError_tPvRmT2_T3_mT4_P12ihipStream_tbEUlmE_jEESD_NS0_8identityIvEEEESI_SL_SM_mSN_SP_bEUlT_E_NS1_11comp_targetILNS1_3genE9ELNS1_11target_archE1100ELNS1_3gpuE3ELNS1_3repE0EEENS1_30default_config_static_selectorELNS0_4arch9wavefront6targetE0EEEvT1_ ; -- Begin function _ZN7rocprim17ROCPRIM_400000_NS6detail17trampoline_kernelINS0_14default_configENS1_25transform_config_selectorIjLb0EEEZNS1_14transform_implILb0ES3_S5_NS0_18transform_iteratorINS0_17counting_iteratorImlEEZNS1_24adjacent_difference_implIS3_Lb1ELb0EPKjPjN6thrust23THRUST_200600_302600_NS4plusIjEEEE10hipError_tPvRmT2_T3_mT4_P12ihipStream_tbEUlmE_jEESD_NS0_8identityIvEEEESI_SL_SM_mSN_SP_bEUlT_E_NS1_11comp_targetILNS1_3genE9ELNS1_11target_archE1100ELNS1_3gpuE3ELNS1_3repE0EEENS1_30default_config_static_selectorELNS0_4arch9wavefront6targetE0EEEvT1_
	.globl	_ZN7rocprim17ROCPRIM_400000_NS6detail17trampoline_kernelINS0_14default_configENS1_25transform_config_selectorIjLb0EEEZNS1_14transform_implILb0ES3_S5_NS0_18transform_iteratorINS0_17counting_iteratorImlEEZNS1_24adjacent_difference_implIS3_Lb1ELb0EPKjPjN6thrust23THRUST_200600_302600_NS4plusIjEEEE10hipError_tPvRmT2_T3_mT4_P12ihipStream_tbEUlmE_jEESD_NS0_8identityIvEEEESI_SL_SM_mSN_SP_bEUlT_E_NS1_11comp_targetILNS1_3genE9ELNS1_11target_archE1100ELNS1_3gpuE3ELNS1_3repE0EEENS1_30default_config_static_selectorELNS0_4arch9wavefront6targetE0EEEvT1_
	.p2align	8
	.type	_ZN7rocprim17ROCPRIM_400000_NS6detail17trampoline_kernelINS0_14default_configENS1_25transform_config_selectorIjLb0EEEZNS1_14transform_implILb0ES3_S5_NS0_18transform_iteratorINS0_17counting_iteratorImlEEZNS1_24adjacent_difference_implIS3_Lb1ELb0EPKjPjN6thrust23THRUST_200600_302600_NS4plusIjEEEE10hipError_tPvRmT2_T3_mT4_P12ihipStream_tbEUlmE_jEESD_NS0_8identityIvEEEESI_SL_SM_mSN_SP_bEUlT_E_NS1_11comp_targetILNS1_3genE9ELNS1_11target_archE1100ELNS1_3gpuE3ELNS1_3repE0EEENS1_30default_config_static_selectorELNS0_4arch9wavefront6targetE0EEEvT1_,@function
_ZN7rocprim17ROCPRIM_400000_NS6detail17trampoline_kernelINS0_14default_configENS1_25transform_config_selectorIjLb0EEEZNS1_14transform_implILb0ES3_S5_NS0_18transform_iteratorINS0_17counting_iteratorImlEEZNS1_24adjacent_difference_implIS3_Lb1ELb0EPKjPjN6thrust23THRUST_200600_302600_NS4plusIjEEEE10hipError_tPvRmT2_T3_mT4_P12ihipStream_tbEUlmE_jEESD_NS0_8identityIvEEEESI_SL_SM_mSN_SP_bEUlT_E_NS1_11comp_targetILNS1_3genE9ELNS1_11target_archE1100ELNS1_3gpuE3ELNS1_3repE0EEENS1_30default_config_static_selectorELNS0_4arch9wavefront6targetE0EEEvT1_: ; @_ZN7rocprim17ROCPRIM_400000_NS6detail17trampoline_kernelINS0_14default_configENS1_25transform_config_selectorIjLb0EEEZNS1_14transform_implILb0ES3_S5_NS0_18transform_iteratorINS0_17counting_iteratorImlEEZNS1_24adjacent_difference_implIS3_Lb1ELb0EPKjPjN6thrust23THRUST_200600_302600_NS4plusIjEEEE10hipError_tPvRmT2_T3_mT4_P12ihipStream_tbEUlmE_jEESD_NS0_8identityIvEEEESI_SL_SM_mSN_SP_bEUlT_E_NS1_11comp_targetILNS1_3genE9ELNS1_11target_archE1100ELNS1_3gpuE3ELNS1_3repE0EEENS1_30default_config_static_selectorELNS0_4arch9wavefront6targetE0EEEvT1_
; %bb.0:
	s_clause 0x4
	s_load_b128 s[4:7], s[0:1], 0x0
	s_load_b64 s[2:3], s[0:1], 0x18
	s_load_b64 s[12:13], s[0:1], 0x28
	s_load_b32 s11, s[0:1], 0x38
	s_load_b32 s8, s[0:1], 0x10
	s_waitcnt lgkmcnt(0)
	s_add_u32 s9, s2, s4
	s_addc_u32 s10, s3, s5
	s_lshl_b64 s[2:3], s[2:3], 2
	s_delay_alu instid0(SALU_CYCLE_1)
	s_add_u32 s4, s12, s2
	s_addc_u32 s5, s13, s3
	s_add_i32 s11, s11, -1
	s_lshl_b32 s2, s15, 6
	s_mov_b32 s3, 0
	s_cmp_lg_u32 s15, s11
	s_mov_b32 s11, -1
	s_cbranch_scc0 .LBB663_2
; %bb.1:
	s_add_u32 s11, s9, s2
	s_addc_u32 s12, s10, 0
	v_add_co_u32 v3, s11, s11, v0
	s_delay_alu instid0(VALU_DEP_1) | instskip(SKIP_1) | instid1(VALU_DEP_2)
	v_add_co_ci_u32_e64 v5, null, s12, 0, s11
	s_lshl_b64 s[12:13], s[2:3], 2
	v_mad_u64_u32 v[1:2], null, v3, s8, 0
	s_add_u32 s12, s4, s12
	s_addc_u32 s13, s5, s13
	s_mov_b32 s11, s3
	s_delay_alu instid0(VALU_DEP_1) | instskip(NEXT) | instid1(VALU_DEP_1)
	v_mad_u64_u32 v[3:4], null, v5, s8, v[2:3]
	v_mov_b32_e32 v2, v3
	s_delay_alu instid0(VALU_DEP_1) | instskip(NEXT) | instid1(VALU_DEP_1)
	v_lshlrev_b64 v[1:2], 2, v[1:2]
	v_add_co_u32 v1, vcc_lo, s6, v1
	s_delay_alu instid0(VALU_DEP_2)
	v_add_co_ci_u32_e32 v2, vcc_lo, s7, v2, vcc_lo
	global_load_b32 v1, v[1:2], off
	v_lshlrev_b32_e32 v2, 2, v0
	s_waitcnt vmcnt(0)
	global_store_b32 v2, v1, s[12:13]
.LBB663_2:
	s_and_not1_b32 vcc_lo, exec_lo, s11
	s_cbranch_vccnz .LBB663_7
; %bb.3:
	s_load_b32 s0, s[0:1], 0x20
                                        ; implicit-def: $vgpr1
	s_waitcnt lgkmcnt(0)
	s_sub_i32 s0, s0, s2
	s_delay_alu instid0(SALU_CYCLE_1)
	v_cmp_gt_u32_e32 vcc_lo, s0, v0
	s_and_saveexec_b32 s1, vcc_lo
	s_cbranch_execz .LBB663_5
; %bb.4:
	s_add_u32 s0, s9, s2
	s_addc_u32 s9, s10, 0
	v_add_co_u32 v3, s0, s0, v0
	s_delay_alu instid0(VALU_DEP_1) | instskip(NEXT) | instid1(VALU_DEP_2)
	v_add_co_ci_u32_e64 v5, null, s9, 0, s0
	v_mad_u64_u32 v[1:2], null, v3, s8, 0
	s_delay_alu instid0(VALU_DEP_1) | instskip(NEXT) | instid1(VALU_DEP_1)
	v_mad_u64_u32 v[3:4], null, v5, s8, v[2:3]
	v_mov_b32_e32 v2, v3
	s_delay_alu instid0(VALU_DEP_1) | instskip(NEXT) | instid1(VALU_DEP_1)
	v_lshlrev_b64 v[1:2], 2, v[1:2]
	v_add_co_u32 v1, s0, s6, v1
	s_delay_alu instid0(VALU_DEP_1)
	v_add_co_ci_u32_e64 v2, s0, s7, v2, s0
	global_load_b32 v1, v[1:2], off
.LBB663_5:
	s_or_b32 exec_lo, exec_lo, s1
	s_and_saveexec_b32 s0, vcc_lo
	s_cbranch_execz .LBB663_7
; %bb.6:
	s_lshl_b64 s[0:1], s[2:3], 2
	v_lshlrev_b32_e32 v0, 2, v0
	s_add_u32 s0, s4, s0
	s_addc_u32 s1, s5, s1
	s_waitcnt vmcnt(0)
	global_store_b32 v0, v1, s[0:1]
.LBB663_7:
	s_nop 0
	s_sendmsg sendmsg(MSG_DEALLOC_VGPRS)
	s_endpgm
	.section	.rodata,"a",@progbits
	.p2align	6, 0x0
	.amdhsa_kernel _ZN7rocprim17ROCPRIM_400000_NS6detail17trampoline_kernelINS0_14default_configENS1_25transform_config_selectorIjLb0EEEZNS1_14transform_implILb0ES3_S5_NS0_18transform_iteratorINS0_17counting_iteratorImlEEZNS1_24adjacent_difference_implIS3_Lb1ELb0EPKjPjN6thrust23THRUST_200600_302600_NS4plusIjEEEE10hipError_tPvRmT2_T3_mT4_P12ihipStream_tbEUlmE_jEESD_NS0_8identityIvEEEESI_SL_SM_mSN_SP_bEUlT_E_NS1_11comp_targetILNS1_3genE9ELNS1_11target_archE1100ELNS1_3gpuE3ELNS1_3repE0EEENS1_30default_config_static_selectorELNS0_4arch9wavefront6targetE0EEEvT1_
		.amdhsa_group_segment_fixed_size 0
		.amdhsa_private_segment_fixed_size 0
		.amdhsa_kernarg_size 312
		.amdhsa_user_sgpr_count 15
		.amdhsa_user_sgpr_dispatch_ptr 0
		.amdhsa_user_sgpr_queue_ptr 0
		.amdhsa_user_sgpr_kernarg_segment_ptr 1
		.amdhsa_user_sgpr_dispatch_id 0
		.amdhsa_user_sgpr_private_segment_size 0
		.amdhsa_wavefront_size32 1
		.amdhsa_uses_dynamic_stack 0
		.amdhsa_enable_private_segment 0
		.amdhsa_system_sgpr_workgroup_id_x 1
		.amdhsa_system_sgpr_workgroup_id_y 0
		.amdhsa_system_sgpr_workgroup_id_z 0
		.amdhsa_system_sgpr_workgroup_info 0
		.amdhsa_system_vgpr_workitem_id 0
		.amdhsa_next_free_vgpr 6
		.amdhsa_next_free_sgpr 16
		.amdhsa_reserve_vcc 1
		.amdhsa_float_round_mode_32 0
		.amdhsa_float_round_mode_16_64 0
		.amdhsa_float_denorm_mode_32 3
		.amdhsa_float_denorm_mode_16_64 3
		.amdhsa_dx10_clamp 1
		.amdhsa_ieee_mode 1
		.amdhsa_fp16_overflow 0
		.amdhsa_workgroup_processor_mode 1
		.amdhsa_memory_ordered 1
		.amdhsa_forward_progress 0
		.amdhsa_shared_vgpr_count 0
		.amdhsa_exception_fp_ieee_invalid_op 0
		.amdhsa_exception_fp_denorm_src 0
		.amdhsa_exception_fp_ieee_div_zero 0
		.amdhsa_exception_fp_ieee_overflow 0
		.amdhsa_exception_fp_ieee_underflow 0
		.amdhsa_exception_fp_ieee_inexact 0
		.amdhsa_exception_int_div_zero 0
	.end_amdhsa_kernel
	.section	.text._ZN7rocprim17ROCPRIM_400000_NS6detail17trampoline_kernelINS0_14default_configENS1_25transform_config_selectorIjLb0EEEZNS1_14transform_implILb0ES3_S5_NS0_18transform_iteratorINS0_17counting_iteratorImlEEZNS1_24adjacent_difference_implIS3_Lb1ELb0EPKjPjN6thrust23THRUST_200600_302600_NS4plusIjEEEE10hipError_tPvRmT2_T3_mT4_P12ihipStream_tbEUlmE_jEESD_NS0_8identityIvEEEESI_SL_SM_mSN_SP_bEUlT_E_NS1_11comp_targetILNS1_3genE9ELNS1_11target_archE1100ELNS1_3gpuE3ELNS1_3repE0EEENS1_30default_config_static_selectorELNS0_4arch9wavefront6targetE0EEEvT1_,"axG",@progbits,_ZN7rocprim17ROCPRIM_400000_NS6detail17trampoline_kernelINS0_14default_configENS1_25transform_config_selectorIjLb0EEEZNS1_14transform_implILb0ES3_S5_NS0_18transform_iteratorINS0_17counting_iteratorImlEEZNS1_24adjacent_difference_implIS3_Lb1ELb0EPKjPjN6thrust23THRUST_200600_302600_NS4plusIjEEEE10hipError_tPvRmT2_T3_mT4_P12ihipStream_tbEUlmE_jEESD_NS0_8identityIvEEEESI_SL_SM_mSN_SP_bEUlT_E_NS1_11comp_targetILNS1_3genE9ELNS1_11target_archE1100ELNS1_3gpuE3ELNS1_3repE0EEENS1_30default_config_static_selectorELNS0_4arch9wavefront6targetE0EEEvT1_,comdat
.Lfunc_end663:
	.size	_ZN7rocprim17ROCPRIM_400000_NS6detail17trampoline_kernelINS0_14default_configENS1_25transform_config_selectorIjLb0EEEZNS1_14transform_implILb0ES3_S5_NS0_18transform_iteratorINS0_17counting_iteratorImlEEZNS1_24adjacent_difference_implIS3_Lb1ELb0EPKjPjN6thrust23THRUST_200600_302600_NS4plusIjEEEE10hipError_tPvRmT2_T3_mT4_P12ihipStream_tbEUlmE_jEESD_NS0_8identityIvEEEESI_SL_SM_mSN_SP_bEUlT_E_NS1_11comp_targetILNS1_3genE9ELNS1_11target_archE1100ELNS1_3gpuE3ELNS1_3repE0EEENS1_30default_config_static_selectorELNS0_4arch9wavefront6targetE0EEEvT1_, .Lfunc_end663-_ZN7rocprim17ROCPRIM_400000_NS6detail17trampoline_kernelINS0_14default_configENS1_25transform_config_selectorIjLb0EEEZNS1_14transform_implILb0ES3_S5_NS0_18transform_iteratorINS0_17counting_iteratorImlEEZNS1_24adjacent_difference_implIS3_Lb1ELb0EPKjPjN6thrust23THRUST_200600_302600_NS4plusIjEEEE10hipError_tPvRmT2_T3_mT4_P12ihipStream_tbEUlmE_jEESD_NS0_8identityIvEEEESI_SL_SM_mSN_SP_bEUlT_E_NS1_11comp_targetILNS1_3genE9ELNS1_11target_archE1100ELNS1_3gpuE3ELNS1_3repE0EEENS1_30default_config_static_selectorELNS0_4arch9wavefront6targetE0EEEvT1_
                                        ; -- End function
	.section	.AMDGPU.csdata,"",@progbits
; Kernel info:
; codeLenInByte = 400
; NumSgprs: 18
; NumVgprs: 6
; ScratchSize: 0
; MemoryBound: 0
; FloatMode: 240
; IeeeMode: 1
; LDSByteSize: 0 bytes/workgroup (compile time only)
; SGPRBlocks: 2
; VGPRBlocks: 0
; NumSGPRsForWavesPerEU: 18
; NumVGPRsForWavesPerEU: 6
; Occupancy: 16
; WaveLimiterHint : 0
; COMPUTE_PGM_RSRC2:SCRATCH_EN: 0
; COMPUTE_PGM_RSRC2:USER_SGPR: 15
; COMPUTE_PGM_RSRC2:TRAP_HANDLER: 0
; COMPUTE_PGM_RSRC2:TGID_X_EN: 1
; COMPUTE_PGM_RSRC2:TGID_Y_EN: 0
; COMPUTE_PGM_RSRC2:TGID_Z_EN: 0
; COMPUTE_PGM_RSRC2:TIDIG_COMP_CNT: 0
	.section	.text._ZN7rocprim17ROCPRIM_400000_NS6detail17trampoline_kernelINS0_14default_configENS1_25transform_config_selectorIjLb0EEEZNS1_14transform_implILb0ES3_S5_NS0_18transform_iteratorINS0_17counting_iteratorImlEEZNS1_24adjacent_difference_implIS3_Lb1ELb0EPKjPjN6thrust23THRUST_200600_302600_NS4plusIjEEEE10hipError_tPvRmT2_T3_mT4_P12ihipStream_tbEUlmE_jEESD_NS0_8identityIvEEEESI_SL_SM_mSN_SP_bEUlT_E_NS1_11comp_targetILNS1_3genE8ELNS1_11target_archE1030ELNS1_3gpuE2ELNS1_3repE0EEENS1_30default_config_static_selectorELNS0_4arch9wavefront6targetE0EEEvT1_,"axG",@progbits,_ZN7rocprim17ROCPRIM_400000_NS6detail17trampoline_kernelINS0_14default_configENS1_25transform_config_selectorIjLb0EEEZNS1_14transform_implILb0ES3_S5_NS0_18transform_iteratorINS0_17counting_iteratorImlEEZNS1_24adjacent_difference_implIS3_Lb1ELb0EPKjPjN6thrust23THRUST_200600_302600_NS4plusIjEEEE10hipError_tPvRmT2_T3_mT4_P12ihipStream_tbEUlmE_jEESD_NS0_8identityIvEEEESI_SL_SM_mSN_SP_bEUlT_E_NS1_11comp_targetILNS1_3genE8ELNS1_11target_archE1030ELNS1_3gpuE2ELNS1_3repE0EEENS1_30default_config_static_selectorELNS0_4arch9wavefront6targetE0EEEvT1_,comdat
	.protected	_ZN7rocprim17ROCPRIM_400000_NS6detail17trampoline_kernelINS0_14default_configENS1_25transform_config_selectorIjLb0EEEZNS1_14transform_implILb0ES3_S5_NS0_18transform_iteratorINS0_17counting_iteratorImlEEZNS1_24adjacent_difference_implIS3_Lb1ELb0EPKjPjN6thrust23THRUST_200600_302600_NS4plusIjEEEE10hipError_tPvRmT2_T3_mT4_P12ihipStream_tbEUlmE_jEESD_NS0_8identityIvEEEESI_SL_SM_mSN_SP_bEUlT_E_NS1_11comp_targetILNS1_3genE8ELNS1_11target_archE1030ELNS1_3gpuE2ELNS1_3repE0EEENS1_30default_config_static_selectorELNS0_4arch9wavefront6targetE0EEEvT1_ ; -- Begin function _ZN7rocprim17ROCPRIM_400000_NS6detail17trampoline_kernelINS0_14default_configENS1_25transform_config_selectorIjLb0EEEZNS1_14transform_implILb0ES3_S5_NS0_18transform_iteratorINS0_17counting_iteratorImlEEZNS1_24adjacent_difference_implIS3_Lb1ELb0EPKjPjN6thrust23THRUST_200600_302600_NS4plusIjEEEE10hipError_tPvRmT2_T3_mT4_P12ihipStream_tbEUlmE_jEESD_NS0_8identityIvEEEESI_SL_SM_mSN_SP_bEUlT_E_NS1_11comp_targetILNS1_3genE8ELNS1_11target_archE1030ELNS1_3gpuE2ELNS1_3repE0EEENS1_30default_config_static_selectorELNS0_4arch9wavefront6targetE0EEEvT1_
	.globl	_ZN7rocprim17ROCPRIM_400000_NS6detail17trampoline_kernelINS0_14default_configENS1_25transform_config_selectorIjLb0EEEZNS1_14transform_implILb0ES3_S5_NS0_18transform_iteratorINS0_17counting_iteratorImlEEZNS1_24adjacent_difference_implIS3_Lb1ELb0EPKjPjN6thrust23THRUST_200600_302600_NS4plusIjEEEE10hipError_tPvRmT2_T3_mT4_P12ihipStream_tbEUlmE_jEESD_NS0_8identityIvEEEESI_SL_SM_mSN_SP_bEUlT_E_NS1_11comp_targetILNS1_3genE8ELNS1_11target_archE1030ELNS1_3gpuE2ELNS1_3repE0EEENS1_30default_config_static_selectorELNS0_4arch9wavefront6targetE0EEEvT1_
	.p2align	8
	.type	_ZN7rocprim17ROCPRIM_400000_NS6detail17trampoline_kernelINS0_14default_configENS1_25transform_config_selectorIjLb0EEEZNS1_14transform_implILb0ES3_S5_NS0_18transform_iteratorINS0_17counting_iteratorImlEEZNS1_24adjacent_difference_implIS3_Lb1ELb0EPKjPjN6thrust23THRUST_200600_302600_NS4plusIjEEEE10hipError_tPvRmT2_T3_mT4_P12ihipStream_tbEUlmE_jEESD_NS0_8identityIvEEEESI_SL_SM_mSN_SP_bEUlT_E_NS1_11comp_targetILNS1_3genE8ELNS1_11target_archE1030ELNS1_3gpuE2ELNS1_3repE0EEENS1_30default_config_static_selectorELNS0_4arch9wavefront6targetE0EEEvT1_,@function
_ZN7rocprim17ROCPRIM_400000_NS6detail17trampoline_kernelINS0_14default_configENS1_25transform_config_selectorIjLb0EEEZNS1_14transform_implILb0ES3_S5_NS0_18transform_iteratorINS0_17counting_iteratorImlEEZNS1_24adjacent_difference_implIS3_Lb1ELb0EPKjPjN6thrust23THRUST_200600_302600_NS4plusIjEEEE10hipError_tPvRmT2_T3_mT4_P12ihipStream_tbEUlmE_jEESD_NS0_8identityIvEEEESI_SL_SM_mSN_SP_bEUlT_E_NS1_11comp_targetILNS1_3genE8ELNS1_11target_archE1030ELNS1_3gpuE2ELNS1_3repE0EEENS1_30default_config_static_selectorELNS0_4arch9wavefront6targetE0EEEvT1_: ; @_ZN7rocprim17ROCPRIM_400000_NS6detail17trampoline_kernelINS0_14default_configENS1_25transform_config_selectorIjLb0EEEZNS1_14transform_implILb0ES3_S5_NS0_18transform_iteratorINS0_17counting_iteratorImlEEZNS1_24adjacent_difference_implIS3_Lb1ELb0EPKjPjN6thrust23THRUST_200600_302600_NS4plusIjEEEE10hipError_tPvRmT2_T3_mT4_P12ihipStream_tbEUlmE_jEESD_NS0_8identityIvEEEESI_SL_SM_mSN_SP_bEUlT_E_NS1_11comp_targetILNS1_3genE8ELNS1_11target_archE1030ELNS1_3gpuE2ELNS1_3repE0EEENS1_30default_config_static_selectorELNS0_4arch9wavefront6targetE0EEEvT1_
; %bb.0:
	.section	.rodata,"a",@progbits
	.p2align	6, 0x0
	.amdhsa_kernel _ZN7rocprim17ROCPRIM_400000_NS6detail17trampoline_kernelINS0_14default_configENS1_25transform_config_selectorIjLb0EEEZNS1_14transform_implILb0ES3_S5_NS0_18transform_iteratorINS0_17counting_iteratorImlEEZNS1_24adjacent_difference_implIS3_Lb1ELb0EPKjPjN6thrust23THRUST_200600_302600_NS4plusIjEEEE10hipError_tPvRmT2_T3_mT4_P12ihipStream_tbEUlmE_jEESD_NS0_8identityIvEEEESI_SL_SM_mSN_SP_bEUlT_E_NS1_11comp_targetILNS1_3genE8ELNS1_11target_archE1030ELNS1_3gpuE2ELNS1_3repE0EEENS1_30default_config_static_selectorELNS0_4arch9wavefront6targetE0EEEvT1_
		.amdhsa_group_segment_fixed_size 0
		.amdhsa_private_segment_fixed_size 0
		.amdhsa_kernarg_size 56
		.amdhsa_user_sgpr_count 15
		.amdhsa_user_sgpr_dispatch_ptr 0
		.amdhsa_user_sgpr_queue_ptr 0
		.amdhsa_user_sgpr_kernarg_segment_ptr 1
		.amdhsa_user_sgpr_dispatch_id 0
		.amdhsa_user_sgpr_private_segment_size 0
		.amdhsa_wavefront_size32 1
		.amdhsa_uses_dynamic_stack 0
		.amdhsa_enable_private_segment 0
		.amdhsa_system_sgpr_workgroup_id_x 1
		.amdhsa_system_sgpr_workgroup_id_y 0
		.amdhsa_system_sgpr_workgroup_id_z 0
		.amdhsa_system_sgpr_workgroup_info 0
		.amdhsa_system_vgpr_workitem_id 0
		.amdhsa_next_free_vgpr 1
		.amdhsa_next_free_sgpr 1
		.amdhsa_reserve_vcc 0
		.amdhsa_float_round_mode_32 0
		.amdhsa_float_round_mode_16_64 0
		.amdhsa_float_denorm_mode_32 3
		.amdhsa_float_denorm_mode_16_64 3
		.amdhsa_dx10_clamp 1
		.amdhsa_ieee_mode 1
		.amdhsa_fp16_overflow 0
		.amdhsa_workgroup_processor_mode 1
		.amdhsa_memory_ordered 1
		.amdhsa_forward_progress 0
		.amdhsa_shared_vgpr_count 0
		.amdhsa_exception_fp_ieee_invalid_op 0
		.amdhsa_exception_fp_denorm_src 0
		.amdhsa_exception_fp_ieee_div_zero 0
		.amdhsa_exception_fp_ieee_overflow 0
		.amdhsa_exception_fp_ieee_underflow 0
		.amdhsa_exception_fp_ieee_inexact 0
		.amdhsa_exception_int_div_zero 0
	.end_amdhsa_kernel
	.section	.text._ZN7rocprim17ROCPRIM_400000_NS6detail17trampoline_kernelINS0_14default_configENS1_25transform_config_selectorIjLb0EEEZNS1_14transform_implILb0ES3_S5_NS0_18transform_iteratorINS0_17counting_iteratorImlEEZNS1_24adjacent_difference_implIS3_Lb1ELb0EPKjPjN6thrust23THRUST_200600_302600_NS4plusIjEEEE10hipError_tPvRmT2_T3_mT4_P12ihipStream_tbEUlmE_jEESD_NS0_8identityIvEEEESI_SL_SM_mSN_SP_bEUlT_E_NS1_11comp_targetILNS1_3genE8ELNS1_11target_archE1030ELNS1_3gpuE2ELNS1_3repE0EEENS1_30default_config_static_selectorELNS0_4arch9wavefront6targetE0EEEvT1_,"axG",@progbits,_ZN7rocprim17ROCPRIM_400000_NS6detail17trampoline_kernelINS0_14default_configENS1_25transform_config_selectorIjLb0EEEZNS1_14transform_implILb0ES3_S5_NS0_18transform_iteratorINS0_17counting_iteratorImlEEZNS1_24adjacent_difference_implIS3_Lb1ELb0EPKjPjN6thrust23THRUST_200600_302600_NS4plusIjEEEE10hipError_tPvRmT2_T3_mT4_P12ihipStream_tbEUlmE_jEESD_NS0_8identityIvEEEESI_SL_SM_mSN_SP_bEUlT_E_NS1_11comp_targetILNS1_3genE8ELNS1_11target_archE1030ELNS1_3gpuE2ELNS1_3repE0EEENS1_30default_config_static_selectorELNS0_4arch9wavefront6targetE0EEEvT1_,comdat
.Lfunc_end664:
	.size	_ZN7rocprim17ROCPRIM_400000_NS6detail17trampoline_kernelINS0_14default_configENS1_25transform_config_selectorIjLb0EEEZNS1_14transform_implILb0ES3_S5_NS0_18transform_iteratorINS0_17counting_iteratorImlEEZNS1_24adjacent_difference_implIS3_Lb1ELb0EPKjPjN6thrust23THRUST_200600_302600_NS4plusIjEEEE10hipError_tPvRmT2_T3_mT4_P12ihipStream_tbEUlmE_jEESD_NS0_8identityIvEEEESI_SL_SM_mSN_SP_bEUlT_E_NS1_11comp_targetILNS1_3genE8ELNS1_11target_archE1030ELNS1_3gpuE2ELNS1_3repE0EEENS1_30default_config_static_selectorELNS0_4arch9wavefront6targetE0EEEvT1_, .Lfunc_end664-_ZN7rocprim17ROCPRIM_400000_NS6detail17trampoline_kernelINS0_14default_configENS1_25transform_config_selectorIjLb0EEEZNS1_14transform_implILb0ES3_S5_NS0_18transform_iteratorINS0_17counting_iteratorImlEEZNS1_24adjacent_difference_implIS3_Lb1ELb0EPKjPjN6thrust23THRUST_200600_302600_NS4plusIjEEEE10hipError_tPvRmT2_T3_mT4_P12ihipStream_tbEUlmE_jEESD_NS0_8identityIvEEEESI_SL_SM_mSN_SP_bEUlT_E_NS1_11comp_targetILNS1_3genE8ELNS1_11target_archE1030ELNS1_3gpuE2ELNS1_3repE0EEENS1_30default_config_static_selectorELNS0_4arch9wavefront6targetE0EEEvT1_
                                        ; -- End function
	.section	.AMDGPU.csdata,"",@progbits
; Kernel info:
; codeLenInByte = 0
; NumSgprs: 0
; NumVgprs: 0
; ScratchSize: 0
; MemoryBound: 0
; FloatMode: 240
; IeeeMode: 1
; LDSByteSize: 0 bytes/workgroup (compile time only)
; SGPRBlocks: 0
; VGPRBlocks: 0
; NumSGPRsForWavesPerEU: 1
; NumVGPRsForWavesPerEU: 1
; Occupancy: 16
; WaveLimiterHint : 0
; COMPUTE_PGM_RSRC2:SCRATCH_EN: 0
; COMPUTE_PGM_RSRC2:USER_SGPR: 15
; COMPUTE_PGM_RSRC2:TRAP_HANDLER: 0
; COMPUTE_PGM_RSRC2:TGID_X_EN: 1
; COMPUTE_PGM_RSRC2:TGID_Y_EN: 0
; COMPUTE_PGM_RSRC2:TGID_Z_EN: 0
; COMPUTE_PGM_RSRC2:TIDIG_COMP_CNT: 0
	.section	.text._ZN7rocprim17ROCPRIM_400000_NS6detail17trampoline_kernelINS0_14default_configENS1_35adjacent_difference_config_selectorILb1EjEEZNS1_24adjacent_difference_implIS3_Lb1ELb0EPKjPjN6thrust23THRUST_200600_302600_NS4plusIjEEEE10hipError_tPvRmT2_T3_mT4_P12ihipStream_tbEUlT_E_NS1_11comp_targetILNS1_3genE0ELNS1_11target_archE4294967295ELNS1_3gpuE0ELNS1_3repE0EEENS1_30default_config_static_selectorELNS0_4arch9wavefront6targetE0EEEvT1_,"axG",@progbits,_ZN7rocprim17ROCPRIM_400000_NS6detail17trampoline_kernelINS0_14default_configENS1_35adjacent_difference_config_selectorILb1EjEEZNS1_24adjacent_difference_implIS3_Lb1ELb0EPKjPjN6thrust23THRUST_200600_302600_NS4plusIjEEEE10hipError_tPvRmT2_T3_mT4_P12ihipStream_tbEUlT_E_NS1_11comp_targetILNS1_3genE0ELNS1_11target_archE4294967295ELNS1_3gpuE0ELNS1_3repE0EEENS1_30default_config_static_selectorELNS0_4arch9wavefront6targetE0EEEvT1_,comdat
	.protected	_ZN7rocprim17ROCPRIM_400000_NS6detail17trampoline_kernelINS0_14default_configENS1_35adjacent_difference_config_selectorILb1EjEEZNS1_24adjacent_difference_implIS3_Lb1ELb0EPKjPjN6thrust23THRUST_200600_302600_NS4plusIjEEEE10hipError_tPvRmT2_T3_mT4_P12ihipStream_tbEUlT_E_NS1_11comp_targetILNS1_3genE0ELNS1_11target_archE4294967295ELNS1_3gpuE0ELNS1_3repE0EEENS1_30default_config_static_selectorELNS0_4arch9wavefront6targetE0EEEvT1_ ; -- Begin function _ZN7rocprim17ROCPRIM_400000_NS6detail17trampoline_kernelINS0_14default_configENS1_35adjacent_difference_config_selectorILb1EjEEZNS1_24adjacent_difference_implIS3_Lb1ELb0EPKjPjN6thrust23THRUST_200600_302600_NS4plusIjEEEE10hipError_tPvRmT2_T3_mT4_P12ihipStream_tbEUlT_E_NS1_11comp_targetILNS1_3genE0ELNS1_11target_archE4294967295ELNS1_3gpuE0ELNS1_3repE0EEENS1_30default_config_static_selectorELNS0_4arch9wavefront6targetE0EEEvT1_
	.globl	_ZN7rocprim17ROCPRIM_400000_NS6detail17trampoline_kernelINS0_14default_configENS1_35adjacent_difference_config_selectorILb1EjEEZNS1_24adjacent_difference_implIS3_Lb1ELb0EPKjPjN6thrust23THRUST_200600_302600_NS4plusIjEEEE10hipError_tPvRmT2_T3_mT4_P12ihipStream_tbEUlT_E_NS1_11comp_targetILNS1_3genE0ELNS1_11target_archE4294967295ELNS1_3gpuE0ELNS1_3repE0EEENS1_30default_config_static_selectorELNS0_4arch9wavefront6targetE0EEEvT1_
	.p2align	8
	.type	_ZN7rocprim17ROCPRIM_400000_NS6detail17trampoline_kernelINS0_14default_configENS1_35adjacent_difference_config_selectorILb1EjEEZNS1_24adjacent_difference_implIS3_Lb1ELb0EPKjPjN6thrust23THRUST_200600_302600_NS4plusIjEEEE10hipError_tPvRmT2_T3_mT4_P12ihipStream_tbEUlT_E_NS1_11comp_targetILNS1_3genE0ELNS1_11target_archE4294967295ELNS1_3gpuE0ELNS1_3repE0EEENS1_30default_config_static_selectorELNS0_4arch9wavefront6targetE0EEEvT1_,@function
_ZN7rocprim17ROCPRIM_400000_NS6detail17trampoline_kernelINS0_14default_configENS1_35adjacent_difference_config_selectorILb1EjEEZNS1_24adjacent_difference_implIS3_Lb1ELb0EPKjPjN6thrust23THRUST_200600_302600_NS4plusIjEEEE10hipError_tPvRmT2_T3_mT4_P12ihipStream_tbEUlT_E_NS1_11comp_targetILNS1_3genE0ELNS1_11target_archE4294967295ELNS1_3gpuE0ELNS1_3repE0EEENS1_30default_config_static_selectorELNS0_4arch9wavefront6targetE0EEEvT1_: ; @_ZN7rocprim17ROCPRIM_400000_NS6detail17trampoline_kernelINS0_14default_configENS1_35adjacent_difference_config_selectorILb1EjEEZNS1_24adjacent_difference_implIS3_Lb1ELb0EPKjPjN6thrust23THRUST_200600_302600_NS4plusIjEEEE10hipError_tPvRmT2_T3_mT4_P12ihipStream_tbEUlT_E_NS1_11comp_targetILNS1_3genE0ELNS1_11target_archE4294967295ELNS1_3gpuE0ELNS1_3repE0EEENS1_30default_config_static_selectorELNS0_4arch9wavefront6targetE0EEEvT1_
; %bb.0:
	.section	.rodata,"a",@progbits
	.p2align	6, 0x0
	.amdhsa_kernel _ZN7rocprim17ROCPRIM_400000_NS6detail17trampoline_kernelINS0_14default_configENS1_35adjacent_difference_config_selectorILb1EjEEZNS1_24adjacent_difference_implIS3_Lb1ELb0EPKjPjN6thrust23THRUST_200600_302600_NS4plusIjEEEE10hipError_tPvRmT2_T3_mT4_P12ihipStream_tbEUlT_E_NS1_11comp_targetILNS1_3genE0ELNS1_11target_archE4294967295ELNS1_3gpuE0ELNS1_3repE0EEENS1_30default_config_static_selectorELNS0_4arch9wavefront6targetE0EEEvT1_
		.amdhsa_group_segment_fixed_size 0
		.amdhsa_private_segment_fixed_size 0
		.amdhsa_kernarg_size 56
		.amdhsa_user_sgpr_count 15
		.amdhsa_user_sgpr_dispatch_ptr 0
		.amdhsa_user_sgpr_queue_ptr 0
		.amdhsa_user_sgpr_kernarg_segment_ptr 1
		.amdhsa_user_sgpr_dispatch_id 0
		.amdhsa_user_sgpr_private_segment_size 0
		.amdhsa_wavefront_size32 1
		.amdhsa_uses_dynamic_stack 0
		.amdhsa_enable_private_segment 0
		.amdhsa_system_sgpr_workgroup_id_x 1
		.amdhsa_system_sgpr_workgroup_id_y 0
		.amdhsa_system_sgpr_workgroup_id_z 0
		.amdhsa_system_sgpr_workgroup_info 0
		.amdhsa_system_vgpr_workitem_id 0
		.amdhsa_next_free_vgpr 1
		.amdhsa_next_free_sgpr 1
		.amdhsa_reserve_vcc 0
		.amdhsa_float_round_mode_32 0
		.amdhsa_float_round_mode_16_64 0
		.amdhsa_float_denorm_mode_32 3
		.amdhsa_float_denorm_mode_16_64 3
		.amdhsa_dx10_clamp 1
		.amdhsa_ieee_mode 1
		.amdhsa_fp16_overflow 0
		.amdhsa_workgroup_processor_mode 1
		.amdhsa_memory_ordered 1
		.amdhsa_forward_progress 0
		.amdhsa_shared_vgpr_count 0
		.amdhsa_exception_fp_ieee_invalid_op 0
		.amdhsa_exception_fp_denorm_src 0
		.amdhsa_exception_fp_ieee_div_zero 0
		.amdhsa_exception_fp_ieee_overflow 0
		.amdhsa_exception_fp_ieee_underflow 0
		.amdhsa_exception_fp_ieee_inexact 0
		.amdhsa_exception_int_div_zero 0
	.end_amdhsa_kernel
	.section	.text._ZN7rocprim17ROCPRIM_400000_NS6detail17trampoline_kernelINS0_14default_configENS1_35adjacent_difference_config_selectorILb1EjEEZNS1_24adjacent_difference_implIS3_Lb1ELb0EPKjPjN6thrust23THRUST_200600_302600_NS4plusIjEEEE10hipError_tPvRmT2_T3_mT4_P12ihipStream_tbEUlT_E_NS1_11comp_targetILNS1_3genE0ELNS1_11target_archE4294967295ELNS1_3gpuE0ELNS1_3repE0EEENS1_30default_config_static_selectorELNS0_4arch9wavefront6targetE0EEEvT1_,"axG",@progbits,_ZN7rocprim17ROCPRIM_400000_NS6detail17trampoline_kernelINS0_14default_configENS1_35adjacent_difference_config_selectorILb1EjEEZNS1_24adjacent_difference_implIS3_Lb1ELb0EPKjPjN6thrust23THRUST_200600_302600_NS4plusIjEEEE10hipError_tPvRmT2_T3_mT4_P12ihipStream_tbEUlT_E_NS1_11comp_targetILNS1_3genE0ELNS1_11target_archE4294967295ELNS1_3gpuE0ELNS1_3repE0EEENS1_30default_config_static_selectorELNS0_4arch9wavefront6targetE0EEEvT1_,comdat
.Lfunc_end665:
	.size	_ZN7rocprim17ROCPRIM_400000_NS6detail17trampoline_kernelINS0_14default_configENS1_35adjacent_difference_config_selectorILb1EjEEZNS1_24adjacent_difference_implIS3_Lb1ELb0EPKjPjN6thrust23THRUST_200600_302600_NS4plusIjEEEE10hipError_tPvRmT2_T3_mT4_P12ihipStream_tbEUlT_E_NS1_11comp_targetILNS1_3genE0ELNS1_11target_archE4294967295ELNS1_3gpuE0ELNS1_3repE0EEENS1_30default_config_static_selectorELNS0_4arch9wavefront6targetE0EEEvT1_, .Lfunc_end665-_ZN7rocprim17ROCPRIM_400000_NS6detail17trampoline_kernelINS0_14default_configENS1_35adjacent_difference_config_selectorILb1EjEEZNS1_24adjacent_difference_implIS3_Lb1ELb0EPKjPjN6thrust23THRUST_200600_302600_NS4plusIjEEEE10hipError_tPvRmT2_T3_mT4_P12ihipStream_tbEUlT_E_NS1_11comp_targetILNS1_3genE0ELNS1_11target_archE4294967295ELNS1_3gpuE0ELNS1_3repE0EEENS1_30default_config_static_selectorELNS0_4arch9wavefront6targetE0EEEvT1_
                                        ; -- End function
	.section	.AMDGPU.csdata,"",@progbits
; Kernel info:
; codeLenInByte = 0
; NumSgprs: 0
; NumVgprs: 0
; ScratchSize: 0
; MemoryBound: 0
; FloatMode: 240
; IeeeMode: 1
; LDSByteSize: 0 bytes/workgroup (compile time only)
; SGPRBlocks: 0
; VGPRBlocks: 0
; NumSGPRsForWavesPerEU: 1
; NumVGPRsForWavesPerEU: 1
; Occupancy: 16
; WaveLimiterHint : 0
; COMPUTE_PGM_RSRC2:SCRATCH_EN: 0
; COMPUTE_PGM_RSRC2:USER_SGPR: 15
; COMPUTE_PGM_RSRC2:TRAP_HANDLER: 0
; COMPUTE_PGM_RSRC2:TGID_X_EN: 1
; COMPUTE_PGM_RSRC2:TGID_Y_EN: 0
; COMPUTE_PGM_RSRC2:TGID_Z_EN: 0
; COMPUTE_PGM_RSRC2:TIDIG_COMP_CNT: 0
	.section	.text._ZN7rocprim17ROCPRIM_400000_NS6detail17trampoline_kernelINS0_14default_configENS1_35adjacent_difference_config_selectorILb1EjEEZNS1_24adjacent_difference_implIS3_Lb1ELb0EPKjPjN6thrust23THRUST_200600_302600_NS4plusIjEEEE10hipError_tPvRmT2_T3_mT4_P12ihipStream_tbEUlT_E_NS1_11comp_targetILNS1_3genE10ELNS1_11target_archE1201ELNS1_3gpuE5ELNS1_3repE0EEENS1_30default_config_static_selectorELNS0_4arch9wavefront6targetE0EEEvT1_,"axG",@progbits,_ZN7rocprim17ROCPRIM_400000_NS6detail17trampoline_kernelINS0_14default_configENS1_35adjacent_difference_config_selectorILb1EjEEZNS1_24adjacent_difference_implIS3_Lb1ELb0EPKjPjN6thrust23THRUST_200600_302600_NS4plusIjEEEE10hipError_tPvRmT2_T3_mT4_P12ihipStream_tbEUlT_E_NS1_11comp_targetILNS1_3genE10ELNS1_11target_archE1201ELNS1_3gpuE5ELNS1_3repE0EEENS1_30default_config_static_selectorELNS0_4arch9wavefront6targetE0EEEvT1_,comdat
	.protected	_ZN7rocprim17ROCPRIM_400000_NS6detail17trampoline_kernelINS0_14default_configENS1_35adjacent_difference_config_selectorILb1EjEEZNS1_24adjacent_difference_implIS3_Lb1ELb0EPKjPjN6thrust23THRUST_200600_302600_NS4plusIjEEEE10hipError_tPvRmT2_T3_mT4_P12ihipStream_tbEUlT_E_NS1_11comp_targetILNS1_3genE10ELNS1_11target_archE1201ELNS1_3gpuE5ELNS1_3repE0EEENS1_30default_config_static_selectorELNS0_4arch9wavefront6targetE0EEEvT1_ ; -- Begin function _ZN7rocprim17ROCPRIM_400000_NS6detail17trampoline_kernelINS0_14default_configENS1_35adjacent_difference_config_selectorILb1EjEEZNS1_24adjacent_difference_implIS3_Lb1ELb0EPKjPjN6thrust23THRUST_200600_302600_NS4plusIjEEEE10hipError_tPvRmT2_T3_mT4_P12ihipStream_tbEUlT_E_NS1_11comp_targetILNS1_3genE10ELNS1_11target_archE1201ELNS1_3gpuE5ELNS1_3repE0EEENS1_30default_config_static_selectorELNS0_4arch9wavefront6targetE0EEEvT1_
	.globl	_ZN7rocprim17ROCPRIM_400000_NS6detail17trampoline_kernelINS0_14default_configENS1_35adjacent_difference_config_selectorILb1EjEEZNS1_24adjacent_difference_implIS3_Lb1ELb0EPKjPjN6thrust23THRUST_200600_302600_NS4plusIjEEEE10hipError_tPvRmT2_T3_mT4_P12ihipStream_tbEUlT_E_NS1_11comp_targetILNS1_3genE10ELNS1_11target_archE1201ELNS1_3gpuE5ELNS1_3repE0EEENS1_30default_config_static_selectorELNS0_4arch9wavefront6targetE0EEEvT1_
	.p2align	8
	.type	_ZN7rocprim17ROCPRIM_400000_NS6detail17trampoline_kernelINS0_14default_configENS1_35adjacent_difference_config_selectorILb1EjEEZNS1_24adjacent_difference_implIS3_Lb1ELb0EPKjPjN6thrust23THRUST_200600_302600_NS4plusIjEEEE10hipError_tPvRmT2_T3_mT4_P12ihipStream_tbEUlT_E_NS1_11comp_targetILNS1_3genE10ELNS1_11target_archE1201ELNS1_3gpuE5ELNS1_3repE0EEENS1_30default_config_static_selectorELNS0_4arch9wavefront6targetE0EEEvT1_,@function
_ZN7rocprim17ROCPRIM_400000_NS6detail17trampoline_kernelINS0_14default_configENS1_35adjacent_difference_config_selectorILb1EjEEZNS1_24adjacent_difference_implIS3_Lb1ELb0EPKjPjN6thrust23THRUST_200600_302600_NS4plusIjEEEE10hipError_tPvRmT2_T3_mT4_P12ihipStream_tbEUlT_E_NS1_11comp_targetILNS1_3genE10ELNS1_11target_archE1201ELNS1_3gpuE5ELNS1_3repE0EEENS1_30default_config_static_selectorELNS0_4arch9wavefront6targetE0EEEvT1_: ; @_ZN7rocprim17ROCPRIM_400000_NS6detail17trampoline_kernelINS0_14default_configENS1_35adjacent_difference_config_selectorILb1EjEEZNS1_24adjacent_difference_implIS3_Lb1ELb0EPKjPjN6thrust23THRUST_200600_302600_NS4plusIjEEEE10hipError_tPvRmT2_T3_mT4_P12ihipStream_tbEUlT_E_NS1_11comp_targetILNS1_3genE10ELNS1_11target_archE1201ELNS1_3gpuE5ELNS1_3repE0EEENS1_30default_config_static_selectorELNS0_4arch9wavefront6targetE0EEEvT1_
; %bb.0:
	.section	.rodata,"a",@progbits
	.p2align	6, 0x0
	.amdhsa_kernel _ZN7rocprim17ROCPRIM_400000_NS6detail17trampoline_kernelINS0_14default_configENS1_35adjacent_difference_config_selectorILb1EjEEZNS1_24adjacent_difference_implIS3_Lb1ELb0EPKjPjN6thrust23THRUST_200600_302600_NS4plusIjEEEE10hipError_tPvRmT2_T3_mT4_P12ihipStream_tbEUlT_E_NS1_11comp_targetILNS1_3genE10ELNS1_11target_archE1201ELNS1_3gpuE5ELNS1_3repE0EEENS1_30default_config_static_selectorELNS0_4arch9wavefront6targetE0EEEvT1_
		.amdhsa_group_segment_fixed_size 0
		.amdhsa_private_segment_fixed_size 0
		.amdhsa_kernarg_size 56
		.amdhsa_user_sgpr_count 15
		.amdhsa_user_sgpr_dispatch_ptr 0
		.amdhsa_user_sgpr_queue_ptr 0
		.amdhsa_user_sgpr_kernarg_segment_ptr 1
		.amdhsa_user_sgpr_dispatch_id 0
		.amdhsa_user_sgpr_private_segment_size 0
		.amdhsa_wavefront_size32 1
		.amdhsa_uses_dynamic_stack 0
		.amdhsa_enable_private_segment 0
		.amdhsa_system_sgpr_workgroup_id_x 1
		.amdhsa_system_sgpr_workgroup_id_y 0
		.amdhsa_system_sgpr_workgroup_id_z 0
		.amdhsa_system_sgpr_workgroup_info 0
		.amdhsa_system_vgpr_workitem_id 0
		.amdhsa_next_free_vgpr 1
		.amdhsa_next_free_sgpr 1
		.amdhsa_reserve_vcc 0
		.amdhsa_float_round_mode_32 0
		.amdhsa_float_round_mode_16_64 0
		.amdhsa_float_denorm_mode_32 3
		.amdhsa_float_denorm_mode_16_64 3
		.amdhsa_dx10_clamp 1
		.amdhsa_ieee_mode 1
		.amdhsa_fp16_overflow 0
		.amdhsa_workgroup_processor_mode 1
		.amdhsa_memory_ordered 1
		.amdhsa_forward_progress 0
		.amdhsa_shared_vgpr_count 0
		.amdhsa_exception_fp_ieee_invalid_op 0
		.amdhsa_exception_fp_denorm_src 0
		.amdhsa_exception_fp_ieee_div_zero 0
		.amdhsa_exception_fp_ieee_overflow 0
		.amdhsa_exception_fp_ieee_underflow 0
		.amdhsa_exception_fp_ieee_inexact 0
		.amdhsa_exception_int_div_zero 0
	.end_amdhsa_kernel
	.section	.text._ZN7rocprim17ROCPRIM_400000_NS6detail17trampoline_kernelINS0_14default_configENS1_35adjacent_difference_config_selectorILb1EjEEZNS1_24adjacent_difference_implIS3_Lb1ELb0EPKjPjN6thrust23THRUST_200600_302600_NS4plusIjEEEE10hipError_tPvRmT2_T3_mT4_P12ihipStream_tbEUlT_E_NS1_11comp_targetILNS1_3genE10ELNS1_11target_archE1201ELNS1_3gpuE5ELNS1_3repE0EEENS1_30default_config_static_selectorELNS0_4arch9wavefront6targetE0EEEvT1_,"axG",@progbits,_ZN7rocprim17ROCPRIM_400000_NS6detail17trampoline_kernelINS0_14default_configENS1_35adjacent_difference_config_selectorILb1EjEEZNS1_24adjacent_difference_implIS3_Lb1ELb0EPKjPjN6thrust23THRUST_200600_302600_NS4plusIjEEEE10hipError_tPvRmT2_T3_mT4_P12ihipStream_tbEUlT_E_NS1_11comp_targetILNS1_3genE10ELNS1_11target_archE1201ELNS1_3gpuE5ELNS1_3repE0EEENS1_30default_config_static_selectorELNS0_4arch9wavefront6targetE0EEEvT1_,comdat
.Lfunc_end666:
	.size	_ZN7rocprim17ROCPRIM_400000_NS6detail17trampoline_kernelINS0_14default_configENS1_35adjacent_difference_config_selectorILb1EjEEZNS1_24adjacent_difference_implIS3_Lb1ELb0EPKjPjN6thrust23THRUST_200600_302600_NS4plusIjEEEE10hipError_tPvRmT2_T3_mT4_P12ihipStream_tbEUlT_E_NS1_11comp_targetILNS1_3genE10ELNS1_11target_archE1201ELNS1_3gpuE5ELNS1_3repE0EEENS1_30default_config_static_selectorELNS0_4arch9wavefront6targetE0EEEvT1_, .Lfunc_end666-_ZN7rocprim17ROCPRIM_400000_NS6detail17trampoline_kernelINS0_14default_configENS1_35adjacent_difference_config_selectorILb1EjEEZNS1_24adjacent_difference_implIS3_Lb1ELb0EPKjPjN6thrust23THRUST_200600_302600_NS4plusIjEEEE10hipError_tPvRmT2_T3_mT4_P12ihipStream_tbEUlT_E_NS1_11comp_targetILNS1_3genE10ELNS1_11target_archE1201ELNS1_3gpuE5ELNS1_3repE0EEENS1_30default_config_static_selectorELNS0_4arch9wavefront6targetE0EEEvT1_
                                        ; -- End function
	.section	.AMDGPU.csdata,"",@progbits
; Kernel info:
; codeLenInByte = 0
; NumSgprs: 0
; NumVgprs: 0
; ScratchSize: 0
; MemoryBound: 0
; FloatMode: 240
; IeeeMode: 1
; LDSByteSize: 0 bytes/workgroup (compile time only)
; SGPRBlocks: 0
; VGPRBlocks: 0
; NumSGPRsForWavesPerEU: 1
; NumVGPRsForWavesPerEU: 1
; Occupancy: 16
; WaveLimiterHint : 0
; COMPUTE_PGM_RSRC2:SCRATCH_EN: 0
; COMPUTE_PGM_RSRC2:USER_SGPR: 15
; COMPUTE_PGM_RSRC2:TRAP_HANDLER: 0
; COMPUTE_PGM_RSRC2:TGID_X_EN: 1
; COMPUTE_PGM_RSRC2:TGID_Y_EN: 0
; COMPUTE_PGM_RSRC2:TGID_Z_EN: 0
; COMPUTE_PGM_RSRC2:TIDIG_COMP_CNT: 0
	.section	.text._ZN7rocprim17ROCPRIM_400000_NS6detail17trampoline_kernelINS0_14default_configENS1_35adjacent_difference_config_selectorILb1EjEEZNS1_24adjacent_difference_implIS3_Lb1ELb0EPKjPjN6thrust23THRUST_200600_302600_NS4plusIjEEEE10hipError_tPvRmT2_T3_mT4_P12ihipStream_tbEUlT_E_NS1_11comp_targetILNS1_3genE5ELNS1_11target_archE942ELNS1_3gpuE9ELNS1_3repE0EEENS1_30default_config_static_selectorELNS0_4arch9wavefront6targetE0EEEvT1_,"axG",@progbits,_ZN7rocprim17ROCPRIM_400000_NS6detail17trampoline_kernelINS0_14default_configENS1_35adjacent_difference_config_selectorILb1EjEEZNS1_24adjacent_difference_implIS3_Lb1ELb0EPKjPjN6thrust23THRUST_200600_302600_NS4plusIjEEEE10hipError_tPvRmT2_T3_mT4_P12ihipStream_tbEUlT_E_NS1_11comp_targetILNS1_3genE5ELNS1_11target_archE942ELNS1_3gpuE9ELNS1_3repE0EEENS1_30default_config_static_selectorELNS0_4arch9wavefront6targetE0EEEvT1_,comdat
	.protected	_ZN7rocprim17ROCPRIM_400000_NS6detail17trampoline_kernelINS0_14default_configENS1_35adjacent_difference_config_selectorILb1EjEEZNS1_24adjacent_difference_implIS3_Lb1ELb0EPKjPjN6thrust23THRUST_200600_302600_NS4plusIjEEEE10hipError_tPvRmT2_T3_mT4_P12ihipStream_tbEUlT_E_NS1_11comp_targetILNS1_3genE5ELNS1_11target_archE942ELNS1_3gpuE9ELNS1_3repE0EEENS1_30default_config_static_selectorELNS0_4arch9wavefront6targetE0EEEvT1_ ; -- Begin function _ZN7rocprim17ROCPRIM_400000_NS6detail17trampoline_kernelINS0_14default_configENS1_35adjacent_difference_config_selectorILb1EjEEZNS1_24adjacent_difference_implIS3_Lb1ELb0EPKjPjN6thrust23THRUST_200600_302600_NS4plusIjEEEE10hipError_tPvRmT2_T3_mT4_P12ihipStream_tbEUlT_E_NS1_11comp_targetILNS1_3genE5ELNS1_11target_archE942ELNS1_3gpuE9ELNS1_3repE0EEENS1_30default_config_static_selectorELNS0_4arch9wavefront6targetE0EEEvT1_
	.globl	_ZN7rocprim17ROCPRIM_400000_NS6detail17trampoline_kernelINS0_14default_configENS1_35adjacent_difference_config_selectorILb1EjEEZNS1_24adjacent_difference_implIS3_Lb1ELb0EPKjPjN6thrust23THRUST_200600_302600_NS4plusIjEEEE10hipError_tPvRmT2_T3_mT4_P12ihipStream_tbEUlT_E_NS1_11comp_targetILNS1_3genE5ELNS1_11target_archE942ELNS1_3gpuE9ELNS1_3repE0EEENS1_30default_config_static_selectorELNS0_4arch9wavefront6targetE0EEEvT1_
	.p2align	8
	.type	_ZN7rocprim17ROCPRIM_400000_NS6detail17trampoline_kernelINS0_14default_configENS1_35adjacent_difference_config_selectorILb1EjEEZNS1_24adjacent_difference_implIS3_Lb1ELb0EPKjPjN6thrust23THRUST_200600_302600_NS4plusIjEEEE10hipError_tPvRmT2_T3_mT4_P12ihipStream_tbEUlT_E_NS1_11comp_targetILNS1_3genE5ELNS1_11target_archE942ELNS1_3gpuE9ELNS1_3repE0EEENS1_30default_config_static_selectorELNS0_4arch9wavefront6targetE0EEEvT1_,@function
_ZN7rocprim17ROCPRIM_400000_NS6detail17trampoline_kernelINS0_14default_configENS1_35adjacent_difference_config_selectorILb1EjEEZNS1_24adjacent_difference_implIS3_Lb1ELb0EPKjPjN6thrust23THRUST_200600_302600_NS4plusIjEEEE10hipError_tPvRmT2_T3_mT4_P12ihipStream_tbEUlT_E_NS1_11comp_targetILNS1_3genE5ELNS1_11target_archE942ELNS1_3gpuE9ELNS1_3repE0EEENS1_30default_config_static_selectorELNS0_4arch9wavefront6targetE0EEEvT1_: ; @_ZN7rocprim17ROCPRIM_400000_NS6detail17trampoline_kernelINS0_14default_configENS1_35adjacent_difference_config_selectorILb1EjEEZNS1_24adjacent_difference_implIS3_Lb1ELb0EPKjPjN6thrust23THRUST_200600_302600_NS4plusIjEEEE10hipError_tPvRmT2_T3_mT4_P12ihipStream_tbEUlT_E_NS1_11comp_targetILNS1_3genE5ELNS1_11target_archE942ELNS1_3gpuE9ELNS1_3repE0EEENS1_30default_config_static_selectorELNS0_4arch9wavefront6targetE0EEEvT1_
; %bb.0:
	.section	.rodata,"a",@progbits
	.p2align	6, 0x0
	.amdhsa_kernel _ZN7rocprim17ROCPRIM_400000_NS6detail17trampoline_kernelINS0_14default_configENS1_35adjacent_difference_config_selectorILb1EjEEZNS1_24adjacent_difference_implIS3_Lb1ELb0EPKjPjN6thrust23THRUST_200600_302600_NS4plusIjEEEE10hipError_tPvRmT2_T3_mT4_P12ihipStream_tbEUlT_E_NS1_11comp_targetILNS1_3genE5ELNS1_11target_archE942ELNS1_3gpuE9ELNS1_3repE0EEENS1_30default_config_static_selectorELNS0_4arch9wavefront6targetE0EEEvT1_
		.amdhsa_group_segment_fixed_size 0
		.amdhsa_private_segment_fixed_size 0
		.amdhsa_kernarg_size 56
		.amdhsa_user_sgpr_count 15
		.amdhsa_user_sgpr_dispatch_ptr 0
		.amdhsa_user_sgpr_queue_ptr 0
		.amdhsa_user_sgpr_kernarg_segment_ptr 1
		.amdhsa_user_sgpr_dispatch_id 0
		.amdhsa_user_sgpr_private_segment_size 0
		.amdhsa_wavefront_size32 1
		.amdhsa_uses_dynamic_stack 0
		.amdhsa_enable_private_segment 0
		.amdhsa_system_sgpr_workgroup_id_x 1
		.amdhsa_system_sgpr_workgroup_id_y 0
		.amdhsa_system_sgpr_workgroup_id_z 0
		.amdhsa_system_sgpr_workgroup_info 0
		.amdhsa_system_vgpr_workitem_id 0
		.amdhsa_next_free_vgpr 1
		.amdhsa_next_free_sgpr 1
		.amdhsa_reserve_vcc 0
		.amdhsa_float_round_mode_32 0
		.amdhsa_float_round_mode_16_64 0
		.amdhsa_float_denorm_mode_32 3
		.amdhsa_float_denorm_mode_16_64 3
		.amdhsa_dx10_clamp 1
		.amdhsa_ieee_mode 1
		.amdhsa_fp16_overflow 0
		.amdhsa_workgroup_processor_mode 1
		.amdhsa_memory_ordered 1
		.amdhsa_forward_progress 0
		.amdhsa_shared_vgpr_count 0
		.amdhsa_exception_fp_ieee_invalid_op 0
		.amdhsa_exception_fp_denorm_src 0
		.amdhsa_exception_fp_ieee_div_zero 0
		.amdhsa_exception_fp_ieee_overflow 0
		.amdhsa_exception_fp_ieee_underflow 0
		.amdhsa_exception_fp_ieee_inexact 0
		.amdhsa_exception_int_div_zero 0
	.end_amdhsa_kernel
	.section	.text._ZN7rocprim17ROCPRIM_400000_NS6detail17trampoline_kernelINS0_14default_configENS1_35adjacent_difference_config_selectorILb1EjEEZNS1_24adjacent_difference_implIS3_Lb1ELb0EPKjPjN6thrust23THRUST_200600_302600_NS4plusIjEEEE10hipError_tPvRmT2_T3_mT4_P12ihipStream_tbEUlT_E_NS1_11comp_targetILNS1_3genE5ELNS1_11target_archE942ELNS1_3gpuE9ELNS1_3repE0EEENS1_30default_config_static_selectorELNS0_4arch9wavefront6targetE0EEEvT1_,"axG",@progbits,_ZN7rocprim17ROCPRIM_400000_NS6detail17trampoline_kernelINS0_14default_configENS1_35adjacent_difference_config_selectorILb1EjEEZNS1_24adjacent_difference_implIS3_Lb1ELb0EPKjPjN6thrust23THRUST_200600_302600_NS4plusIjEEEE10hipError_tPvRmT2_T3_mT4_P12ihipStream_tbEUlT_E_NS1_11comp_targetILNS1_3genE5ELNS1_11target_archE942ELNS1_3gpuE9ELNS1_3repE0EEENS1_30default_config_static_selectorELNS0_4arch9wavefront6targetE0EEEvT1_,comdat
.Lfunc_end667:
	.size	_ZN7rocprim17ROCPRIM_400000_NS6detail17trampoline_kernelINS0_14default_configENS1_35adjacent_difference_config_selectorILb1EjEEZNS1_24adjacent_difference_implIS3_Lb1ELb0EPKjPjN6thrust23THRUST_200600_302600_NS4plusIjEEEE10hipError_tPvRmT2_T3_mT4_P12ihipStream_tbEUlT_E_NS1_11comp_targetILNS1_3genE5ELNS1_11target_archE942ELNS1_3gpuE9ELNS1_3repE0EEENS1_30default_config_static_selectorELNS0_4arch9wavefront6targetE0EEEvT1_, .Lfunc_end667-_ZN7rocprim17ROCPRIM_400000_NS6detail17trampoline_kernelINS0_14default_configENS1_35adjacent_difference_config_selectorILb1EjEEZNS1_24adjacent_difference_implIS3_Lb1ELb0EPKjPjN6thrust23THRUST_200600_302600_NS4plusIjEEEE10hipError_tPvRmT2_T3_mT4_P12ihipStream_tbEUlT_E_NS1_11comp_targetILNS1_3genE5ELNS1_11target_archE942ELNS1_3gpuE9ELNS1_3repE0EEENS1_30default_config_static_selectorELNS0_4arch9wavefront6targetE0EEEvT1_
                                        ; -- End function
	.section	.AMDGPU.csdata,"",@progbits
; Kernel info:
; codeLenInByte = 0
; NumSgprs: 0
; NumVgprs: 0
; ScratchSize: 0
; MemoryBound: 0
; FloatMode: 240
; IeeeMode: 1
; LDSByteSize: 0 bytes/workgroup (compile time only)
; SGPRBlocks: 0
; VGPRBlocks: 0
; NumSGPRsForWavesPerEU: 1
; NumVGPRsForWavesPerEU: 1
; Occupancy: 16
; WaveLimiterHint : 0
; COMPUTE_PGM_RSRC2:SCRATCH_EN: 0
; COMPUTE_PGM_RSRC2:USER_SGPR: 15
; COMPUTE_PGM_RSRC2:TRAP_HANDLER: 0
; COMPUTE_PGM_RSRC2:TGID_X_EN: 1
; COMPUTE_PGM_RSRC2:TGID_Y_EN: 0
; COMPUTE_PGM_RSRC2:TGID_Z_EN: 0
; COMPUTE_PGM_RSRC2:TIDIG_COMP_CNT: 0
	.section	.text._ZN7rocprim17ROCPRIM_400000_NS6detail17trampoline_kernelINS0_14default_configENS1_35adjacent_difference_config_selectorILb1EjEEZNS1_24adjacent_difference_implIS3_Lb1ELb0EPKjPjN6thrust23THRUST_200600_302600_NS4plusIjEEEE10hipError_tPvRmT2_T3_mT4_P12ihipStream_tbEUlT_E_NS1_11comp_targetILNS1_3genE4ELNS1_11target_archE910ELNS1_3gpuE8ELNS1_3repE0EEENS1_30default_config_static_selectorELNS0_4arch9wavefront6targetE0EEEvT1_,"axG",@progbits,_ZN7rocprim17ROCPRIM_400000_NS6detail17trampoline_kernelINS0_14default_configENS1_35adjacent_difference_config_selectorILb1EjEEZNS1_24adjacent_difference_implIS3_Lb1ELb0EPKjPjN6thrust23THRUST_200600_302600_NS4plusIjEEEE10hipError_tPvRmT2_T3_mT4_P12ihipStream_tbEUlT_E_NS1_11comp_targetILNS1_3genE4ELNS1_11target_archE910ELNS1_3gpuE8ELNS1_3repE0EEENS1_30default_config_static_selectorELNS0_4arch9wavefront6targetE0EEEvT1_,comdat
	.protected	_ZN7rocprim17ROCPRIM_400000_NS6detail17trampoline_kernelINS0_14default_configENS1_35adjacent_difference_config_selectorILb1EjEEZNS1_24adjacent_difference_implIS3_Lb1ELb0EPKjPjN6thrust23THRUST_200600_302600_NS4plusIjEEEE10hipError_tPvRmT2_T3_mT4_P12ihipStream_tbEUlT_E_NS1_11comp_targetILNS1_3genE4ELNS1_11target_archE910ELNS1_3gpuE8ELNS1_3repE0EEENS1_30default_config_static_selectorELNS0_4arch9wavefront6targetE0EEEvT1_ ; -- Begin function _ZN7rocprim17ROCPRIM_400000_NS6detail17trampoline_kernelINS0_14default_configENS1_35adjacent_difference_config_selectorILb1EjEEZNS1_24adjacent_difference_implIS3_Lb1ELb0EPKjPjN6thrust23THRUST_200600_302600_NS4plusIjEEEE10hipError_tPvRmT2_T3_mT4_P12ihipStream_tbEUlT_E_NS1_11comp_targetILNS1_3genE4ELNS1_11target_archE910ELNS1_3gpuE8ELNS1_3repE0EEENS1_30default_config_static_selectorELNS0_4arch9wavefront6targetE0EEEvT1_
	.globl	_ZN7rocprim17ROCPRIM_400000_NS6detail17trampoline_kernelINS0_14default_configENS1_35adjacent_difference_config_selectorILb1EjEEZNS1_24adjacent_difference_implIS3_Lb1ELb0EPKjPjN6thrust23THRUST_200600_302600_NS4plusIjEEEE10hipError_tPvRmT2_T3_mT4_P12ihipStream_tbEUlT_E_NS1_11comp_targetILNS1_3genE4ELNS1_11target_archE910ELNS1_3gpuE8ELNS1_3repE0EEENS1_30default_config_static_selectorELNS0_4arch9wavefront6targetE0EEEvT1_
	.p2align	8
	.type	_ZN7rocprim17ROCPRIM_400000_NS6detail17trampoline_kernelINS0_14default_configENS1_35adjacent_difference_config_selectorILb1EjEEZNS1_24adjacent_difference_implIS3_Lb1ELb0EPKjPjN6thrust23THRUST_200600_302600_NS4plusIjEEEE10hipError_tPvRmT2_T3_mT4_P12ihipStream_tbEUlT_E_NS1_11comp_targetILNS1_3genE4ELNS1_11target_archE910ELNS1_3gpuE8ELNS1_3repE0EEENS1_30default_config_static_selectorELNS0_4arch9wavefront6targetE0EEEvT1_,@function
_ZN7rocprim17ROCPRIM_400000_NS6detail17trampoline_kernelINS0_14default_configENS1_35adjacent_difference_config_selectorILb1EjEEZNS1_24adjacent_difference_implIS3_Lb1ELb0EPKjPjN6thrust23THRUST_200600_302600_NS4plusIjEEEE10hipError_tPvRmT2_T3_mT4_P12ihipStream_tbEUlT_E_NS1_11comp_targetILNS1_3genE4ELNS1_11target_archE910ELNS1_3gpuE8ELNS1_3repE0EEENS1_30default_config_static_selectorELNS0_4arch9wavefront6targetE0EEEvT1_: ; @_ZN7rocprim17ROCPRIM_400000_NS6detail17trampoline_kernelINS0_14default_configENS1_35adjacent_difference_config_selectorILb1EjEEZNS1_24adjacent_difference_implIS3_Lb1ELb0EPKjPjN6thrust23THRUST_200600_302600_NS4plusIjEEEE10hipError_tPvRmT2_T3_mT4_P12ihipStream_tbEUlT_E_NS1_11comp_targetILNS1_3genE4ELNS1_11target_archE910ELNS1_3gpuE8ELNS1_3repE0EEENS1_30default_config_static_selectorELNS0_4arch9wavefront6targetE0EEEvT1_
; %bb.0:
	.section	.rodata,"a",@progbits
	.p2align	6, 0x0
	.amdhsa_kernel _ZN7rocprim17ROCPRIM_400000_NS6detail17trampoline_kernelINS0_14default_configENS1_35adjacent_difference_config_selectorILb1EjEEZNS1_24adjacent_difference_implIS3_Lb1ELb0EPKjPjN6thrust23THRUST_200600_302600_NS4plusIjEEEE10hipError_tPvRmT2_T3_mT4_P12ihipStream_tbEUlT_E_NS1_11comp_targetILNS1_3genE4ELNS1_11target_archE910ELNS1_3gpuE8ELNS1_3repE0EEENS1_30default_config_static_selectorELNS0_4arch9wavefront6targetE0EEEvT1_
		.amdhsa_group_segment_fixed_size 0
		.amdhsa_private_segment_fixed_size 0
		.amdhsa_kernarg_size 56
		.amdhsa_user_sgpr_count 15
		.amdhsa_user_sgpr_dispatch_ptr 0
		.amdhsa_user_sgpr_queue_ptr 0
		.amdhsa_user_sgpr_kernarg_segment_ptr 1
		.amdhsa_user_sgpr_dispatch_id 0
		.amdhsa_user_sgpr_private_segment_size 0
		.amdhsa_wavefront_size32 1
		.amdhsa_uses_dynamic_stack 0
		.amdhsa_enable_private_segment 0
		.amdhsa_system_sgpr_workgroup_id_x 1
		.amdhsa_system_sgpr_workgroup_id_y 0
		.amdhsa_system_sgpr_workgroup_id_z 0
		.amdhsa_system_sgpr_workgroup_info 0
		.amdhsa_system_vgpr_workitem_id 0
		.amdhsa_next_free_vgpr 1
		.amdhsa_next_free_sgpr 1
		.amdhsa_reserve_vcc 0
		.amdhsa_float_round_mode_32 0
		.amdhsa_float_round_mode_16_64 0
		.amdhsa_float_denorm_mode_32 3
		.amdhsa_float_denorm_mode_16_64 3
		.amdhsa_dx10_clamp 1
		.amdhsa_ieee_mode 1
		.amdhsa_fp16_overflow 0
		.amdhsa_workgroup_processor_mode 1
		.amdhsa_memory_ordered 1
		.amdhsa_forward_progress 0
		.amdhsa_shared_vgpr_count 0
		.amdhsa_exception_fp_ieee_invalid_op 0
		.amdhsa_exception_fp_denorm_src 0
		.amdhsa_exception_fp_ieee_div_zero 0
		.amdhsa_exception_fp_ieee_overflow 0
		.amdhsa_exception_fp_ieee_underflow 0
		.amdhsa_exception_fp_ieee_inexact 0
		.amdhsa_exception_int_div_zero 0
	.end_amdhsa_kernel
	.section	.text._ZN7rocprim17ROCPRIM_400000_NS6detail17trampoline_kernelINS0_14default_configENS1_35adjacent_difference_config_selectorILb1EjEEZNS1_24adjacent_difference_implIS3_Lb1ELb0EPKjPjN6thrust23THRUST_200600_302600_NS4plusIjEEEE10hipError_tPvRmT2_T3_mT4_P12ihipStream_tbEUlT_E_NS1_11comp_targetILNS1_3genE4ELNS1_11target_archE910ELNS1_3gpuE8ELNS1_3repE0EEENS1_30default_config_static_selectorELNS0_4arch9wavefront6targetE0EEEvT1_,"axG",@progbits,_ZN7rocprim17ROCPRIM_400000_NS6detail17trampoline_kernelINS0_14default_configENS1_35adjacent_difference_config_selectorILb1EjEEZNS1_24adjacent_difference_implIS3_Lb1ELb0EPKjPjN6thrust23THRUST_200600_302600_NS4plusIjEEEE10hipError_tPvRmT2_T3_mT4_P12ihipStream_tbEUlT_E_NS1_11comp_targetILNS1_3genE4ELNS1_11target_archE910ELNS1_3gpuE8ELNS1_3repE0EEENS1_30default_config_static_selectorELNS0_4arch9wavefront6targetE0EEEvT1_,comdat
.Lfunc_end668:
	.size	_ZN7rocprim17ROCPRIM_400000_NS6detail17trampoline_kernelINS0_14default_configENS1_35adjacent_difference_config_selectorILb1EjEEZNS1_24adjacent_difference_implIS3_Lb1ELb0EPKjPjN6thrust23THRUST_200600_302600_NS4plusIjEEEE10hipError_tPvRmT2_T3_mT4_P12ihipStream_tbEUlT_E_NS1_11comp_targetILNS1_3genE4ELNS1_11target_archE910ELNS1_3gpuE8ELNS1_3repE0EEENS1_30default_config_static_selectorELNS0_4arch9wavefront6targetE0EEEvT1_, .Lfunc_end668-_ZN7rocprim17ROCPRIM_400000_NS6detail17trampoline_kernelINS0_14default_configENS1_35adjacent_difference_config_selectorILb1EjEEZNS1_24adjacent_difference_implIS3_Lb1ELb0EPKjPjN6thrust23THRUST_200600_302600_NS4plusIjEEEE10hipError_tPvRmT2_T3_mT4_P12ihipStream_tbEUlT_E_NS1_11comp_targetILNS1_3genE4ELNS1_11target_archE910ELNS1_3gpuE8ELNS1_3repE0EEENS1_30default_config_static_selectorELNS0_4arch9wavefront6targetE0EEEvT1_
                                        ; -- End function
	.section	.AMDGPU.csdata,"",@progbits
; Kernel info:
; codeLenInByte = 0
; NumSgprs: 0
; NumVgprs: 0
; ScratchSize: 0
; MemoryBound: 0
; FloatMode: 240
; IeeeMode: 1
; LDSByteSize: 0 bytes/workgroup (compile time only)
; SGPRBlocks: 0
; VGPRBlocks: 0
; NumSGPRsForWavesPerEU: 1
; NumVGPRsForWavesPerEU: 1
; Occupancy: 16
; WaveLimiterHint : 0
; COMPUTE_PGM_RSRC2:SCRATCH_EN: 0
; COMPUTE_PGM_RSRC2:USER_SGPR: 15
; COMPUTE_PGM_RSRC2:TRAP_HANDLER: 0
; COMPUTE_PGM_RSRC2:TGID_X_EN: 1
; COMPUTE_PGM_RSRC2:TGID_Y_EN: 0
; COMPUTE_PGM_RSRC2:TGID_Z_EN: 0
; COMPUTE_PGM_RSRC2:TIDIG_COMP_CNT: 0
	.section	.text._ZN7rocprim17ROCPRIM_400000_NS6detail17trampoline_kernelINS0_14default_configENS1_35adjacent_difference_config_selectorILb1EjEEZNS1_24adjacent_difference_implIS3_Lb1ELb0EPKjPjN6thrust23THRUST_200600_302600_NS4plusIjEEEE10hipError_tPvRmT2_T3_mT4_P12ihipStream_tbEUlT_E_NS1_11comp_targetILNS1_3genE3ELNS1_11target_archE908ELNS1_3gpuE7ELNS1_3repE0EEENS1_30default_config_static_selectorELNS0_4arch9wavefront6targetE0EEEvT1_,"axG",@progbits,_ZN7rocprim17ROCPRIM_400000_NS6detail17trampoline_kernelINS0_14default_configENS1_35adjacent_difference_config_selectorILb1EjEEZNS1_24adjacent_difference_implIS3_Lb1ELb0EPKjPjN6thrust23THRUST_200600_302600_NS4plusIjEEEE10hipError_tPvRmT2_T3_mT4_P12ihipStream_tbEUlT_E_NS1_11comp_targetILNS1_3genE3ELNS1_11target_archE908ELNS1_3gpuE7ELNS1_3repE0EEENS1_30default_config_static_selectorELNS0_4arch9wavefront6targetE0EEEvT1_,comdat
	.protected	_ZN7rocprim17ROCPRIM_400000_NS6detail17trampoline_kernelINS0_14default_configENS1_35adjacent_difference_config_selectorILb1EjEEZNS1_24adjacent_difference_implIS3_Lb1ELb0EPKjPjN6thrust23THRUST_200600_302600_NS4plusIjEEEE10hipError_tPvRmT2_T3_mT4_P12ihipStream_tbEUlT_E_NS1_11comp_targetILNS1_3genE3ELNS1_11target_archE908ELNS1_3gpuE7ELNS1_3repE0EEENS1_30default_config_static_selectorELNS0_4arch9wavefront6targetE0EEEvT1_ ; -- Begin function _ZN7rocprim17ROCPRIM_400000_NS6detail17trampoline_kernelINS0_14default_configENS1_35adjacent_difference_config_selectorILb1EjEEZNS1_24adjacent_difference_implIS3_Lb1ELb0EPKjPjN6thrust23THRUST_200600_302600_NS4plusIjEEEE10hipError_tPvRmT2_T3_mT4_P12ihipStream_tbEUlT_E_NS1_11comp_targetILNS1_3genE3ELNS1_11target_archE908ELNS1_3gpuE7ELNS1_3repE0EEENS1_30default_config_static_selectorELNS0_4arch9wavefront6targetE0EEEvT1_
	.globl	_ZN7rocprim17ROCPRIM_400000_NS6detail17trampoline_kernelINS0_14default_configENS1_35adjacent_difference_config_selectorILb1EjEEZNS1_24adjacent_difference_implIS3_Lb1ELb0EPKjPjN6thrust23THRUST_200600_302600_NS4plusIjEEEE10hipError_tPvRmT2_T3_mT4_P12ihipStream_tbEUlT_E_NS1_11comp_targetILNS1_3genE3ELNS1_11target_archE908ELNS1_3gpuE7ELNS1_3repE0EEENS1_30default_config_static_selectorELNS0_4arch9wavefront6targetE0EEEvT1_
	.p2align	8
	.type	_ZN7rocprim17ROCPRIM_400000_NS6detail17trampoline_kernelINS0_14default_configENS1_35adjacent_difference_config_selectorILb1EjEEZNS1_24adjacent_difference_implIS3_Lb1ELb0EPKjPjN6thrust23THRUST_200600_302600_NS4plusIjEEEE10hipError_tPvRmT2_T3_mT4_P12ihipStream_tbEUlT_E_NS1_11comp_targetILNS1_3genE3ELNS1_11target_archE908ELNS1_3gpuE7ELNS1_3repE0EEENS1_30default_config_static_selectorELNS0_4arch9wavefront6targetE0EEEvT1_,@function
_ZN7rocprim17ROCPRIM_400000_NS6detail17trampoline_kernelINS0_14default_configENS1_35adjacent_difference_config_selectorILb1EjEEZNS1_24adjacent_difference_implIS3_Lb1ELb0EPKjPjN6thrust23THRUST_200600_302600_NS4plusIjEEEE10hipError_tPvRmT2_T3_mT4_P12ihipStream_tbEUlT_E_NS1_11comp_targetILNS1_3genE3ELNS1_11target_archE908ELNS1_3gpuE7ELNS1_3repE0EEENS1_30default_config_static_selectorELNS0_4arch9wavefront6targetE0EEEvT1_: ; @_ZN7rocprim17ROCPRIM_400000_NS6detail17trampoline_kernelINS0_14default_configENS1_35adjacent_difference_config_selectorILb1EjEEZNS1_24adjacent_difference_implIS3_Lb1ELb0EPKjPjN6thrust23THRUST_200600_302600_NS4plusIjEEEE10hipError_tPvRmT2_T3_mT4_P12ihipStream_tbEUlT_E_NS1_11comp_targetILNS1_3genE3ELNS1_11target_archE908ELNS1_3gpuE7ELNS1_3repE0EEENS1_30default_config_static_selectorELNS0_4arch9wavefront6targetE0EEEvT1_
; %bb.0:
	.section	.rodata,"a",@progbits
	.p2align	6, 0x0
	.amdhsa_kernel _ZN7rocprim17ROCPRIM_400000_NS6detail17trampoline_kernelINS0_14default_configENS1_35adjacent_difference_config_selectorILb1EjEEZNS1_24adjacent_difference_implIS3_Lb1ELb0EPKjPjN6thrust23THRUST_200600_302600_NS4plusIjEEEE10hipError_tPvRmT2_T3_mT4_P12ihipStream_tbEUlT_E_NS1_11comp_targetILNS1_3genE3ELNS1_11target_archE908ELNS1_3gpuE7ELNS1_3repE0EEENS1_30default_config_static_selectorELNS0_4arch9wavefront6targetE0EEEvT1_
		.amdhsa_group_segment_fixed_size 0
		.amdhsa_private_segment_fixed_size 0
		.amdhsa_kernarg_size 56
		.amdhsa_user_sgpr_count 15
		.amdhsa_user_sgpr_dispatch_ptr 0
		.amdhsa_user_sgpr_queue_ptr 0
		.amdhsa_user_sgpr_kernarg_segment_ptr 1
		.amdhsa_user_sgpr_dispatch_id 0
		.amdhsa_user_sgpr_private_segment_size 0
		.amdhsa_wavefront_size32 1
		.amdhsa_uses_dynamic_stack 0
		.amdhsa_enable_private_segment 0
		.amdhsa_system_sgpr_workgroup_id_x 1
		.amdhsa_system_sgpr_workgroup_id_y 0
		.amdhsa_system_sgpr_workgroup_id_z 0
		.amdhsa_system_sgpr_workgroup_info 0
		.amdhsa_system_vgpr_workitem_id 0
		.amdhsa_next_free_vgpr 1
		.amdhsa_next_free_sgpr 1
		.amdhsa_reserve_vcc 0
		.amdhsa_float_round_mode_32 0
		.amdhsa_float_round_mode_16_64 0
		.amdhsa_float_denorm_mode_32 3
		.amdhsa_float_denorm_mode_16_64 3
		.amdhsa_dx10_clamp 1
		.amdhsa_ieee_mode 1
		.amdhsa_fp16_overflow 0
		.amdhsa_workgroup_processor_mode 1
		.amdhsa_memory_ordered 1
		.amdhsa_forward_progress 0
		.amdhsa_shared_vgpr_count 0
		.amdhsa_exception_fp_ieee_invalid_op 0
		.amdhsa_exception_fp_denorm_src 0
		.amdhsa_exception_fp_ieee_div_zero 0
		.amdhsa_exception_fp_ieee_overflow 0
		.amdhsa_exception_fp_ieee_underflow 0
		.amdhsa_exception_fp_ieee_inexact 0
		.amdhsa_exception_int_div_zero 0
	.end_amdhsa_kernel
	.section	.text._ZN7rocprim17ROCPRIM_400000_NS6detail17trampoline_kernelINS0_14default_configENS1_35adjacent_difference_config_selectorILb1EjEEZNS1_24adjacent_difference_implIS3_Lb1ELb0EPKjPjN6thrust23THRUST_200600_302600_NS4plusIjEEEE10hipError_tPvRmT2_T3_mT4_P12ihipStream_tbEUlT_E_NS1_11comp_targetILNS1_3genE3ELNS1_11target_archE908ELNS1_3gpuE7ELNS1_3repE0EEENS1_30default_config_static_selectorELNS0_4arch9wavefront6targetE0EEEvT1_,"axG",@progbits,_ZN7rocprim17ROCPRIM_400000_NS6detail17trampoline_kernelINS0_14default_configENS1_35adjacent_difference_config_selectorILb1EjEEZNS1_24adjacent_difference_implIS3_Lb1ELb0EPKjPjN6thrust23THRUST_200600_302600_NS4plusIjEEEE10hipError_tPvRmT2_T3_mT4_P12ihipStream_tbEUlT_E_NS1_11comp_targetILNS1_3genE3ELNS1_11target_archE908ELNS1_3gpuE7ELNS1_3repE0EEENS1_30default_config_static_selectorELNS0_4arch9wavefront6targetE0EEEvT1_,comdat
.Lfunc_end669:
	.size	_ZN7rocprim17ROCPRIM_400000_NS6detail17trampoline_kernelINS0_14default_configENS1_35adjacent_difference_config_selectorILb1EjEEZNS1_24adjacent_difference_implIS3_Lb1ELb0EPKjPjN6thrust23THRUST_200600_302600_NS4plusIjEEEE10hipError_tPvRmT2_T3_mT4_P12ihipStream_tbEUlT_E_NS1_11comp_targetILNS1_3genE3ELNS1_11target_archE908ELNS1_3gpuE7ELNS1_3repE0EEENS1_30default_config_static_selectorELNS0_4arch9wavefront6targetE0EEEvT1_, .Lfunc_end669-_ZN7rocprim17ROCPRIM_400000_NS6detail17trampoline_kernelINS0_14default_configENS1_35adjacent_difference_config_selectorILb1EjEEZNS1_24adjacent_difference_implIS3_Lb1ELb0EPKjPjN6thrust23THRUST_200600_302600_NS4plusIjEEEE10hipError_tPvRmT2_T3_mT4_P12ihipStream_tbEUlT_E_NS1_11comp_targetILNS1_3genE3ELNS1_11target_archE908ELNS1_3gpuE7ELNS1_3repE0EEENS1_30default_config_static_selectorELNS0_4arch9wavefront6targetE0EEEvT1_
                                        ; -- End function
	.section	.AMDGPU.csdata,"",@progbits
; Kernel info:
; codeLenInByte = 0
; NumSgprs: 0
; NumVgprs: 0
; ScratchSize: 0
; MemoryBound: 0
; FloatMode: 240
; IeeeMode: 1
; LDSByteSize: 0 bytes/workgroup (compile time only)
; SGPRBlocks: 0
; VGPRBlocks: 0
; NumSGPRsForWavesPerEU: 1
; NumVGPRsForWavesPerEU: 1
; Occupancy: 16
; WaveLimiterHint : 0
; COMPUTE_PGM_RSRC2:SCRATCH_EN: 0
; COMPUTE_PGM_RSRC2:USER_SGPR: 15
; COMPUTE_PGM_RSRC2:TRAP_HANDLER: 0
; COMPUTE_PGM_RSRC2:TGID_X_EN: 1
; COMPUTE_PGM_RSRC2:TGID_Y_EN: 0
; COMPUTE_PGM_RSRC2:TGID_Z_EN: 0
; COMPUTE_PGM_RSRC2:TIDIG_COMP_CNT: 0
	.section	.text._ZN7rocprim17ROCPRIM_400000_NS6detail17trampoline_kernelINS0_14default_configENS1_35adjacent_difference_config_selectorILb1EjEEZNS1_24adjacent_difference_implIS3_Lb1ELb0EPKjPjN6thrust23THRUST_200600_302600_NS4plusIjEEEE10hipError_tPvRmT2_T3_mT4_P12ihipStream_tbEUlT_E_NS1_11comp_targetILNS1_3genE2ELNS1_11target_archE906ELNS1_3gpuE6ELNS1_3repE0EEENS1_30default_config_static_selectorELNS0_4arch9wavefront6targetE0EEEvT1_,"axG",@progbits,_ZN7rocprim17ROCPRIM_400000_NS6detail17trampoline_kernelINS0_14default_configENS1_35adjacent_difference_config_selectorILb1EjEEZNS1_24adjacent_difference_implIS3_Lb1ELb0EPKjPjN6thrust23THRUST_200600_302600_NS4plusIjEEEE10hipError_tPvRmT2_T3_mT4_P12ihipStream_tbEUlT_E_NS1_11comp_targetILNS1_3genE2ELNS1_11target_archE906ELNS1_3gpuE6ELNS1_3repE0EEENS1_30default_config_static_selectorELNS0_4arch9wavefront6targetE0EEEvT1_,comdat
	.protected	_ZN7rocprim17ROCPRIM_400000_NS6detail17trampoline_kernelINS0_14default_configENS1_35adjacent_difference_config_selectorILb1EjEEZNS1_24adjacent_difference_implIS3_Lb1ELb0EPKjPjN6thrust23THRUST_200600_302600_NS4plusIjEEEE10hipError_tPvRmT2_T3_mT4_P12ihipStream_tbEUlT_E_NS1_11comp_targetILNS1_3genE2ELNS1_11target_archE906ELNS1_3gpuE6ELNS1_3repE0EEENS1_30default_config_static_selectorELNS0_4arch9wavefront6targetE0EEEvT1_ ; -- Begin function _ZN7rocprim17ROCPRIM_400000_NS6detail17trampoline_kernelINS0_14default_configENS1_35adjacent_difference_config_selectorILb1EjEEZNS1_24adjacent_difference_implIS3_Lb1ELb0EPKjPjN6thrust23THRUST_200600_302600_NS4plusIjEEEE10hipError_tPvRmT2_T3_mT4_P12ihipStream_tbEUlT_E_NS1_11comp_targetILNS1_3genE2ELNS1_11target_archE906ELNS1_3gpuE6ELNS1_3repE0EEENS1_30default_config_static_selectorELNS0_4arch9wavefront6targetE0EEEvT1_
	.globl	_ZN7rocprim17ROCPRIM_400000_NS6detail17trampoline_kernelINS0_14default_configENS1_35adjacent_difference_config_selectorILb1EjEEZNS1_24adjacent_difference_implIS3_Lb1ELb0EPKjPjN6thrust23THRUST_200600_302600_NS4plusIjEEEE10hipError_tPvRmT2_T3_mT4_P12ihipStream_tbEUlT_E_NS1_11comp_targetILNS1_3genE2ELNS1_11target_archE906ELNS1_3gpuE6ELNS1_3repE0EEENS1_30default_config_static_selectorELNS0_4arch9wavefront6targetE0EEEvT1_
	.p2align	8
	.type	_ZN7rocprim17ROCPRIM_400000_NS6detail17trampoline_kernelINS0_14default_configENS1_35adjacent_difference_config_selectorILb1EjEEZNS1_24adjacent_difference_implIS3_Lb1ELb0EPKjPjN6thrust23THRUST_200600_302600_NS4plusIjEEEE10hipError_tPvRmT2_T3_mT4_P12ihipStream_tbEUlT_E_NS1_11comp_targetILNS1_3genE2ELNS1_11target_archE906ELNS1_3gpuE6ELNS1_3repE0EEENS1_30default_config_static_selectorELNS0_4arch9wavefront6targetE0EEEvT1_,@function
_ZN7rocprim17ROCPRIM_400000_NS6detail17trampoline_kernelINS0_14default_configENS1_35adjacent_difference_config_selectorILb1EjEEZNS1_24adjacent_difference_implIS3_Lb1ELb0EPKjPjN6thrust23THRUST_200600_302600_NS4plusIjEEEE10hipError_tPvRmT2_T3_mT4_P12ihipStream_tbEUlT_E_NS1_11comp_targetILNS1_3genE2ELNS1_11target_archE906ELNS1_3gpuE6ELNS1_3repE0EEENS1_30default_config_static_selectorELNS0_4arch9wavefront6targetE0EEEvT1_: ; @_ZN7rocprim17ROCPRIM_400000_NS6detail17trampoline_kernelINS0_14default_configENS1_35adjacent_difference_config_selectorILb1EjEEZNS1_24adjacent_difference_implIS3_Lb1ELb0EPKjPjN6thrust23THRUST_200600_302600_NS4plusIjEEEE10hipError_tPvRmT2_T3_mT4_P12ihipStream_tbEUlT_E_NS1_11comp_targetILNS1_3genE2ELNS1_11target_archE906ELNS1_3gpuE6ELNS1_3repE0EEENS1_30default_config_static_selectorELNS0_4arch9wavefront6targetE0EEEvT1_
; %bb.0:
	.section	.rodata,"a",@progbits
	.p2align	6, 0x0
	.amdhsa_kernel _ZN7rocprim17ROCPRIM_400000_NS6detail17trampoline_kernelINS0_14default_configENS1_35adjacent_difference_config_selectorILb1EjEEZNS1_24adjacent_difference_implIS3_Lb1ELb0EPKjPjN6thrust23THRUST_200600_302600_NS4plusIjEEEE10hipError_tPvRmT2_T3_mT4_P12ihipStream_tbEUlT_E_NS1_11comp_targetILNS1_3genE2ELNS1_11target_archE906ELNS1_3gpuE6ELNS1_3repE0EEENS1_30default_config_static_selectorELNS0_4arch9wavefront6targetE0EEEvT1_
		.amdhsa_group_segment_fixed_size 0
		.amdhsa_private_segment_fixed_size 0
		.amdhsa_kernarg_size 56
		.amdhsa_user_sgpr_count 15
		.amdhsa_user_sgpr_dispatch_ptr 0
		.amdhsa_user_sgpr_queue_ptr 0
		.amdhsa_user_sgpr_kernarg_segment_ptr 1
		.amdhsa_user_sgpr_dispatch_id 0
		.amdhsa_user_sgpr_private_segment_size 0
		.amdhsa_wavefront_size32 1
		.amdhsa_uses_dynamic_stack 0
		.amdhsa_enable_private_segment 0
		.amdhsa_system_sgpr_workgroup_id_x 1
		.amdhsa_system_sgpr_workgroup_id_y 0
		.amdhsa_system_sgpr_workgroup_id_z 0
		.amdhsa_system_sgpr_workgroup_info 0
		.amdhsa_system_vgpr_workitem_id 0
		.amdhsa_next_free_vgpr 1
		.amdhsa_next_free_sgpr 1
		.amdhsa_reserve_vcc 0
		.amdhsa_float_round_mode_32 0
		.amdhsa_float_round_mode_16_64 0
		.amdhsa_float_denorm_mode_32 3
		.amdhsa_float_denorm_mode_16_64 3
		.amdhsa_dx10_clamp 1
		.amdhsa_ieee_mode 1
		.amdhsa_fp16_overflow 0
		.amdhsa_workgroup_processor_mode 1
		.amdhsa_memory_ordered 1
		.amdhsa_forward_progress 0
		.amdhsa_shared_vgpr_count 0
		.amdhsa_exception_fp_ieee_invalid_op 0
		.amdhsa_exception_fp_denorm_src 0
		.amdhsa_exception_fp_ieee_div_zero 0
		.amdhsa_exception_fp_ieee_overflow 0
		.amdhsa_exception_fp_ieee_underflow 0
		.amdhsa_exception_fp_ieee_inexact 0
		.amdhsa_exception_int_div_zero 0
	.end_amdhsa_kernel
	.section	.text._ZN7rocprim17ROCPRIM_400000_NS6detail17trampoline_kernelINS0_14default_configENS1_35adjacent_difference_config_selectorILb1EjEEZNS1_24adjacent_difference_implIS3_Lb1ELb0EPKjPjN6thrust23THRUST_200600_302600_NS4plusIjEEEE10hipError_tPvRmT2_T3_mT4_P12ihipStream_tbEUlT_E_NS1_11comp_targetILNS1_3genE2ELNS1_11target_archE906ELNS1_3gpuE6ELNS1_3repE0EEENS1_30default_config_static_selectorELNS0_4arch9wavefront6targetE0EEEvT1_,"axG",@progbits,_ZN7rocprim17ROCPRIM_400000_NS6detail17trampoline_kernelINS0_14default_configENS1_35adjacent_difference_config_selectorILb1EjEEZNS1_24adjacent_difference_implIS3_Lb1ELb0EPKjPjN6thrust23THRUST_200600_302600_NS4plusIjEEEE10hipError_tPvRmT2_T3_mT4_P12ihipStream_tbEUlT_E_NS1_11comp_targetILNS1_3genE2ELNS1_11target_archE906ELNS1_3gpuE6ELNS1_3repE0EEENS1_30default_config_static_selectorELNS0_4arch9wavefront6targetE0EEEvT1_,comdat
.Lfunc_end670:
	.size	_ZN7rocprim17ROCPRIM_400000_NS6detail17trampoline_kernelINS0_14default_configENS1_35adjacent_difference_config_selectorILb1EjEEZNS1_24adjacent_difference_implIS3_Lb1ELb0EPKjPjN6thrust23THRUST_200600_302600_NS4plusIjEEEE10hipError_tPvRmT2_T3_mT4_P12ihipStream_tbEUlT_E_NS1_11comp_targetILNS1_3genE2ELNS1_11target_archE906ELNS1_3gpuE6ELNS1_3repE0EEENS1_30default_config_static_selectorELNS0_4arch9wavefront6targetE0EEEvT1_, .Lfunc_end670-_ZN7rocprim17ROCPRIM_400000_NS6detail17trampoline_kernelINS0_14default_configENS1_35adjacent_difference_config_selectorILb1EjEEZNS1_24adjacent_difference_implIS3_Lb1ELb0EPKjPjN6thrust23THRUST_200600_302600_NS4plusIjEEEE10hipError_tPvRmT2_T3_mT4_P12ihipStream_tbEUlT_E_NS1_11comp_targetILNS1_3genE2ELNS1_11target_archE906ELNS1_3gpuE6ELNS1_3repE0EEENS1_30default_config_static_selectorELNS0_4arch9wavefront6targetE0EEEvT1_
                                        ; -- End function
	.section	.AMDGPU.csdata,"",@progbits
; Kernel info:
; codeLenInByte = 0
; NumSgprs: 0
; NumVgprs: 0
; ScratchSize: 0
; MemoryBound: 0
; FloatMode: 240
; IeeeMode: 1
; LDSByteSize: 0 bytes/workgroup (compile time only)
; SGPRBlocks: 0
; VGPRBlocks: 0
; NumSGPRsForWavesPerEU: 1
; NumVGPRsForWavesPerEU: 1
; Occupancy: 16
; WaveLimiterHint : 0
; COMPUTE_PGM_RSRC2:SCRATCH_EN: 0
; COMPUTE_PGM_RSRC2:USER_SGPR: 15
; COMPUTE_PGM_RSRC2:TRAP_HANDLER: 0
; COMPUTE_PGM_RSRC2:TGID_X_EN: 1
; COMPUTE_PGM_RSRC2:TGID_Y_EN: 0
; COMPUTE_PGM_RSRC2:TGID_Z_EN: 0
; COMPUTE_PGM_RSRC2:TIDIG_COMP_CNT: 0
	.section	.text._ZN7rocprim17ROCPRIM_400000_NS6detail17trampoline_kernelINS0_14default_configENS1_35adjacent_difference_config_selectorILb1EjEEZNS1_24adjacent_difference_implIS3_Lb1ELb0EPKjPjN6thrust23THRUST_200600_302600_NS4plusIjEEEE10hipError_tPvRmT2_T3_mT4_P12ihipStream_tbEUlT_E_NS1_11comp_targetILNS1_3genE9ELNS1_11target_archE1100ELNS1_3gpuE3ELNS1_3repE0EEENS1_30default_config_static_selectorELNS0_4arch9wavefront6targetE0EEEvT1_,"axG",@progbits,_ZN7rocprim17ROCPRIM_400000_NS6detail17trampoline_kernelINS0_14default_configENS1_35adjacent_difference_config_selectorILb1EjEEZNS1_24adjacent_difference_implIS3_Lb1ELb0EPKjPjN6thrust23THRUST_200600_302600_NS4plusIjEEEE10hipError_tPvRmT2_T3_mT4_P12ihipStream_tbEUlT_E_NS1_11comp_targetILNS1_3genE9ELNS1_11target_archE1100ELNS1_3gpuE3ELNS1_3repE0EEENS1_30default_config_static_selectorELNS0_4arch9wavefront6targetE0EEEvT1_,comdat
	.protected	_ZN7rocprim17ROCPRIM_400000_NS6detail17trampoline_kernelINS0_14default_configENS1_35adjacent_difference_config_selectorILb1EjEEZNS1_24adjacent_difference_implIS3_Lb1ELb0EPKjPjN6thrust23THRUST_200600_302600_NS4plusIjEEEE10hipError_tPvRmT2_T3_mT4_P12ihipStream_tbEUlT_E_NS1_11comp_targetILNS1_3genE9ELNS1_11target_archE1100ELNS1_3gpuE3ELNS1_3repE0EEENS1_30default_config_static_selectorELNS0_4arch9wavefront6targetE0EEEvT1_ ; -- Begin function _ZN7rocprim17ROCPRIM_400000_NS6detail17trampoline_kernelINS0_14default_configENS1_35adjacent_difference_config_selectorILb1EjEEZNS1_24adjacent_difference_implIS3_Lb1ELb0EPKjPjN6thrust23THRUST_200600_302600_NS4plusIjEEEE10hipError_tPvRmT2_T3_mT4_P12ihipStream_tbEUlT_E_NS1_11comp_targetILNS1_3genE9ELNS1_11target_archE1100ELNS1_3gpuE3ELNS1_3repE0EEENS1_30default_config_static_selectorELNS0_4arch9wavefront6targetE0EEEvT1_
	.globl	_ZN7rocprim17ROCPRIM_400000_NS6detail17trampoline_kernelINS0_14default_configENS1_35adjacent_difference_config_selectorILb1EjEEZNS1_24adjacent_difference_implIS3_Lb1ELb0EPKjPjN6thrust23THRUST_200600_302600_NS4plusIjEEEE10hipError_tPvRmT2_T3_mT4_P12ihipStream_tbEUlT_E_NS1_11comp_targetILNS1_3genE9ELNS1_11target_archE1100ELNS1_3gpuE3ELNS1_3repE0EEENS1_30default_config_static_selectorELNS0_4arch9wavefront6targetE0EEEvT1_
	.p2align	8
	.type	_ZN7rocprim17ROCPRIM_400000_NS6detail17trampoline_kernelINS0_14default_configENS1_35adjacent_difference_config_selectorILb1EjEEZNS1_24adjacent_difference_implIS3_Lb1ELb0EPKjPjN6thrust23THRUST_200600_302600_NS4plusIjEEEE10hipError_tPvRmT2_T3_mT4_P12ihipStream_tbEUlT_E_NS1_11comp_targetILNS1_3genE9ELNS1_11target_archE1100ELNS1_3gpuE3ELNS1_3repE0EEENS1_30default_config_static_selectorELNS0_4arch9wavefront6targetE0EEEvT1_,@function
_ZN7rocprim17ROCPRIM_400000_NS6detail17trampoline_kernelINS0_14default_configENS1_35adjacent_difference_config_selectorILb1EjEEZNS1_24adjacent_difference_implIS3_Lb1ELb0EPKjPjN6thrust23THRUST_200600_302600_NS4plusIjEEEE10hipError_tPvRmT2_T3_mT4_P12ihipStream_tbEUlT_E_NS1_11comp_targetILNS1_3genE9ELNS1_11target_archE1100ELNS1_3gpuE3ELNS1_3repE0EEENS1_30default_config_static_selectorELNS0_4arch9wavefront6targetE0EEEvT1_: ; @_ZN7rocprim17ROCPRIM_400000_NS6detail17trampoline_kernelINS0_14default_configENS1_35adjacent_difference_config_selectorILb1EjEEZNS1_24adjacent_difference_implIS3_Lb1ELb0EPKjPjN6thrust23THRUST_200600_302600_NS4plusIjEEEE10hipError_tPvRmT2_T3_mT4_P12ihipStream_tbEUlT_E_NS1_11comp_targetILNS1_3genE9ELNS1_11target_archE1100ELNS1_3gpuE3ELNS1_3repE0EEENS1_30default_config_static_selectorELNS0_4arch9wavefront6targetE0EEEvT1_
; %bb.0:
	s_load_b256 s[36:43], s[0:1], 0x0
	s_mov_b32 s2, 0x411a7a30
	s_mov_b32 s8, s15
	s_delay_alu instid0(SALU_CYCLE_1) | instskip(SKIP_2) | instid1(SALU_CYCLE_1)
	s_mul_i32 s30, s8, 0xe80
	s_waitcnt lgkmcnt(0)
	s_lshl_b64 s[34:35], s[38:39], 2
	s_add_u32 s14, s36, s34
	s_addc_u32 s15, s37, s35
	s_add_u32 s2, 0x76, s2
	s_addc_u32 s3, 0, 0
	v_add_co_u32 v1, s2, 0x20000000, s2
	s_delay_alu instid0(VALU_DEP_1) | instskip(SKIP_1) | instid1(VALU_DEP_1)
	s_cmp_lg_u32 s2, 0
	s_addc_u32 s3, s3, 0x11a7b9
	v_readfirstlane_b32 s2, v1
	s_mul_i32 s4, s3, 0xfffff180
	s_delay_alu instid0(VALU_DEP_1)
	s_mul_hi_u32 s5, s2, 0xfffff180
	s_mul_i32 s6, s2, 0xfffff180
	s_sub_i32 s5, s5, s2
	s_mul_hi_u32 s7, s2, s6
	s_add_i32 s5, s5, s4
	s_mul_hi_u32 s9, s3, s6
	s_mul_i32 s4, s3, s6
	s_mul_hi_u32 s6, s2, s5
	s_mul_i32 s2, s2, s5
	s_mul_hi_u32 s10, s3, s5
	s_add_u32 s2, s7, s2
	s_addc_u32 s6, 0, s6
	s_add_u32 s2, s2, s4
	s_mul_i32 s5, s3, s5
	s_addc_u32 s2, s6, s9
	s_addc_u32 s4, s10, 0
	s_add_u32 s2, s2, s5
	s_addc_u32 s4, 0, s4
	v_add_co_u32 v1, s2, v1, s2
	s_delay_alu instid0(VALU_DEP_1) | instskip(SKIP_1) | instid1(VALU_DEP_1)
	s_cmp_lg_u32 s2, 0
	s_addc_u32 s2, s3, s4
	v_readfirstlane_b32 s3, v1
	s_mul_i32 s5, s42, s2
	s_mul_hi_u32 s4, s42, s2
	s_mul_hi_u32 s6, s43, s2
	s_mul_i32 s2, s43, s2
	s_mul_hi_u32 s7, s42, s3
	s_mul_hi_u32 s9, s43, s3
	s_mul_i32 s3, s43, s3
	s_add_u32 s5, s7, s5
	s_addc_u32 s4, 0, s4
	s_add_u32 s3, s5, s3
	s_addc_u32 s3, s4, s9
	s_addc_u32 s4, s6, 0
	s_add_u32 s5, s3, s2
	s_addc_u32 s4, 0, s4
	s_mul_i32 s3, s5, 0xe80
	s_add_u32 s2, s5, 1
	v_sub_co_u32 v1, s3, s42, s3
	s_mul_hi_u32 s6, s5, 0xe80
	s_addc_u32 s7, s4, 0
	s_mul_i32 s9, s4, 0xe80
	s_delay_alu instid0(VALU_DEP_1)
	v_subrev_co_u32 v2, s10, 0xe80, v1
	s_add_u32 s11, s5, 2
	s_addc_u32 s12, s4, 0
	s_add_i32 s6, s6, s9
	s_cmp_lg_u32 s3, 0
	v_readfirstlane_b32 s3, v2
	s_subb_u32 s6, s43, s6
	s_cmp_lg_u32 s10, 0
	s_subb_u32 s9, s6, 0
	s_delay_alu instid0(VALU_DEP_1) | instskip(SKIP_4) | instid1(SALU_CYCLE_1)
	s_cmpk_gt_u32 s3, 0xe7f
	s_cselect_b32 s3, -1, 0
	s_cmp_eq_u32 s9, 0
	v_readfirstlane_b32 s9, v1
	s_cselect_b32 s3, s3, -1
	s_cmp_lg_u32 s3, 0
	s_cselect_b32 s10, s11, s2
	s_cselect_b32 s7, s12, s7
	s_cmpk_gt_u32 s9, 0xe7f
	s_mov_b32 s12, -1
	s_cselect_b32 s2, -1, 0
	s_cmp_eq_u32 s6, 0
	s_cselect_b32 s2, s2, -1
	s_delay_alu instid0(SALU_CYCLE_1)
	s_cmp_lg_u32 s2, 0
	s_load_b128 s[0:3], s[0:1], 0x28
	s_cselect_b32 s6, s7, s4
	s_cselect_b32 s7, s10, s5
	s_mul_i32 s4, s6, 0xe80
	s_mul_hi_u32 s5, s7, 0xe80
	s_mul_i32 s9, s7, 0xe80
	s_add_i32 s5, s5, s4
	s_sub_u32 s4, s42, s9
	s_subb_u32 s5, s43, s5
	s_mov_b32 s9, 0
	s_cmp_lg_u64 s[4:5], 0
	s_cselect_b32 s4, -1, 0
	s_delay_alu instid0(SALU_CYCLE_1) | instskip(NEXT) | instid1(VALU_DEP_1)
	v_cndmask_b32_e64 v1, 0, 1, s4
	v_readfirstlane_b32 s4, v1
	s_delay_alu instid0(VALU_DEP_1)
	s_add_u32 s4, s7, s4
	s_addc_u32 s5, s6, 0
	s_waitcnt lgkmcnt(0)
	s_add_u32 s6, s2, s8
	s_addc_u32 s7, s3, 0
	s_add_u32 s10, s4, -1
	s_addc_u32 s11, s5, -1
	s_mul_i32 s29, s10, 0xfffff180
	v_cmp_ge_u64_e64 s33, s[6:7], s[10:11]
	s_delay_alu instid0(VALU_DEP_1)
	s_and_b32 vcc_lo, exec_lo, s33
	s_cbranch_vccz .LBB671_60
; %bb.1:
	s_mov_b32 s31, s9
	s_add_i32 s16, s29, s42
	s_lshl_b64 s[12:13], s[30:31], 2
	s_mov_b32 s17, exec_lo
	s_add_u32 s12, s14, s12
	s_addc_u32 s13, s15, s13
                                        ; implicit-def: $vgpr1
	v_cmpx_gt_u32_e64 s16, v0
	s_cbranch_execz .LBB671_3
; %bb.2:
	v_lshlrev_b32_e32 v1, 2, v0
	global_load_b32 v1, v1, s[12:13]
.LBB671_3:
	s_or_b32 exec_lo, exec_lo, s17
	v_or_b32_e32 v2, 0x80, v0
	s_delay_alu instid0(VALU_DEP_1)
	v_cmp_gt_u32_e32 vcc_lo, s16, v2
                                        ; implicit-def: $vgpr2
	s_and_saveexec_b32 s17, vcc_lo
	s_cbranch_execz .LBB671_5
; %bb.4:
	v_lshlrev_b32_e32 v2, 2, v0
	global_load_b32 v2, v2, s[12:13] offset:512
.LBB671_5:
	s_or_b32 exec_lo, exec_lo, s17
	v_or_b32_e32 v3, 0x100, v0
	s_delay_alu instid0(VALU_DEP_1)
	v_cmp_gt_u32_e32 vcc_lo, s16, v3
                                        ; implicit-def: $vgpr3
	s_and_saveexec_b32 s17, vcc_lo
	s_cbranch_execz .LBB671_7
; %bb.6:
	v_lshlrev_b32_e32 v3, 2, v0
	global_load_b32 v3, v3, s[12:13] offset:1024
.LBB671_7:
	s_or_b32 exec_lo, exec_lo, s17
	v_or_b32_e32 v4, 0x180, v0
	s_delay_alu instid0(VALU_DEP_1)
	v_cmp_gt_u32_e32 vcc_lo, s16, v4
                                        ; implicit-def: $vgpr4
	s_and_saveexec_b32 s17, vcc_lo
	s_cbranch_execz .LBB671_9
; %bb.8:
	v_lshlrev_b32_e32 v4, 2, v0
	global_load_b32 v4, v4, s[12:13] offset:1536
.LBB671_9:
	s_or_b32 exec_lo, exec_lo, s17
	v_or_b32_e32 v5, 0x200, v0
	s_delay_alu instid0(VALU_DEP_1)
	v_cmp_gt_u32_e32 vcc_lo, s16, v5
                                        ; implicit-def: $vgpr5
	s_and_saveexec_b32 s17, vcc_lo
	s_cbranch_execz .LBB671_11
; %bb.10:
	v_lshlrev_b32_e32 v5, 2, v0
	global_load_b32 v5, v5, s[12:13] offset:2048
.LBB671_11:
	s_or_b32 exec_lo, exec_lo, s17
	v_or_b32_e32 v6, 0x280, v0
	s_delay_alu instid0(VALU_DEP_1)
	v_cmp_gt_u32_e32 vcc_lo, s16, v6
                                        ; implicit-def: $vgpr6
	s_and_saveexec_b32 s17, vcc_lo
	s_cbranch_execz .LBB671_13
; %bb.12:
	v_lshlrev_b32_e32 v6, 2, v0
	global_load_b32 v6, v6, s[12:13] offset:2560
.LBB671_13:
	s_or_b32 exec_lo, exec_lo, s17
	v_or_b32_e32 v7, 0x300, v0
	s_delay_alu instid0(VALU_DEP_1)
	v_cmp_gt_u32_e32 vcc_lo, s16, v7
                                        ; implicit-def: $vgpr7
	s_and_saveexec_b32 s17, vcc_lo
	s_cbranch_execz .LBB671_15
; %bb.14:
	v_lshlrev_b32_e32 v7, 2, v0
	global_load_b32 v7, v7, s[12:13] offset:3072
.LBB671_15:
	s_or_b32 exec_lo, exec_lo, s17
	v_or_b32_e32 v8, 0x380, v0
	s_delay_alu instid0(VALU_DEP_1)
	v_cmp_gt_u32_e32 vcc_lo, s16, v8
                                        ; implicit-def: $vgpr8
	s_and_saveexec_b32 s17, vcc_lo
	s_cbranch_execz .LBB671_17
; %bb.16:
	v_lshlrev_b32_e32 v8, 2, v0
	global_load_b32 v8, v8, s[12:13] offset:3584
.LBB671_17:
	s_or_b32 exec_lo, exec_lo, s17
	v_or_b32_e32 v10, 0x400, v0
	s_mov_b32 s17, exec_lo
                                        ; implicit-def: $vgpr9
	s_delay_alu instid0(VALU_DEP_1)
	v_cmpx_gt_u32_e64 s16, v10
	s_cbranch_execz .LBB671_19
; %bb.18:
	v_lshlrev_b32_e32 v9, 2, v10
	global_load_b32 v9, v9, s[12:13]
.LBB671_19:
	s_or_b32 exec_lo, exec_lo, s17
	v_or_b32_e32 v11, 0x480, v0
	s_mov_b32 s17, exec_lo
                                        ; implicit-def: $vgpr10
	s_delay_alu instid0(VALU_DEP_1)
	v_cmpx_gt_u32_e64 s16, v11
	s_cbranch_execz .LBB671_21
; %bb.20:
	v_lshlrev_b32_e32 v10, 2, v11
	global_load_b32 v10, v10, s[12:13]
.LBB671_21:
	s_or_b32 exec_lo, exec_lo, s17
	v_or_b32_e32 v12, 0x500, v0
	s_mov_b32 s17, exec_lo
                                        ; implicit-def: $vgpr11
	s_delay_alu instid0(VALU_DEP_1)
	v_cmpx_gt_u32_e64 s16, v12
	s_cbranch_execz .LBB671_23
; %bb.22:
	v_lshlrev_b32_e32 v11, 2, v12
	global_load_b32 v11, v11, s[12:13]
.LBB671_23:
	s_or_b32 exec_lo, exec_lo, s17
	v_or_b32_e32 v13, 0x580, v0
	s_mov_b32 s17, exec_lo
                                        ; implicit-def: $vgpr12
	s_delay_alu instid0(VALU_DEP_1)
	v_cmpx_gt_u32_e64 s16, v13
	s_cbranch_execz .LBB671_25
; %bb.24:
	v_lshlrev_b32_e32 v12, 2, v13
	global_load_b32 v12, v12, s[12:13]
.LBB671_25:
	s_or_b32 exec_lo, exec_lo, s17
	v_or_b32_e32 v14, 0x600, v0
	s_mov_b32 s17, exec_lo
                                        ; implicit-def: $vgpr13
	s_delay_alu instid0(VALU_DEP_1)
	v_cmpx_gt_u32_e64 s16, v14
	s_cbranch_execz .LBB671_27
; %bb.26:
	v_lshlrev_b32_e32 v13, 2, v14
	global_load_b32 v13, v13, s[12:13]
.LBB671_27:
	s_or_b32 exec_lo, exec_lo, s17
	v_or_b32_e32 v15, 0x680, v0
	s_mov_b32 s17, exec_lo
                                        ; implicit-def: $vgpr14
	s_delay_alu instid0(VALU_DEP_1)
	v_cmpx_gt_u32_e64 s16, v15
	s_cbranch_execz .LBB671_29
; %bb.28:
	v_lshlrev_b32_e32 v14, 2, v15
	global_load_b32 v14, v14, s[12:13]
.LBB671_29:
	s_or_b32 exec_lo, exec_lo, s17
	v_or_b32_e32 v16, 0x700, v0
	s_mov_b32 s17, exec_lo
                                        ; implicit-def: $vgpr15
	s_delay_alu instid0(VALU_DEP_1)
	v_cmpx_gt_u32_e64 s16, v16
	s_cbranch_execz .LBB671_31
; %bb.30:
	v_lshlrev_b32_e32 v15, 2, v16
	global_load_b32 v15, v15, s[12:13]
.LBB671_31:
	s_or_b32 exec_lo, exec_lo, s17
	v_or_b32_e32 v17, 0x780, v0
	s_mov_b32 s17, exec_lo
                                        ; implicit-def: $vgpr16
	s_delay_alu instid0(VALU_DEP_1)
	v_cmpx_gt_u32_e64 s16, v17
	s_cbranch_execz .LBB671_33
; %bb.32:
	v_lshlrev_b32_e32 v16, 2, v17
	global_load_b32 v16, v16, s[12:13]
.LBB671_33:
	s_or_b32 exec_lo, exec_lo, s17
	v_or_b32_e32 v18, 0x800, v0
	s_mov_b32 s17, exec_lo
                                        ; implicit-def: $vgpr17
	s_delay_alu instid0(VALU_DEP_1)
	v_cmpx_gt_u32_e64 s16, v18
	s_cbranch_execz .LBB671_35
; %bb.34:
	v_lshlrev_b32_e32 v17, 2, v18
	global_load_b32 v17, v17, s[12:13]
.LBB671_35:
	s_or_b32 exec_lo, exec_lo, s17
	v_or_b32_e32 v19, 0x880, v0
	s_mov_b32 s17, exec_lo
                                        ; implicit-def: $vgpr18
	s_delay_alu instid0(VALU_DEP_1)
	v_cmpx_gt_u32_e64 s16, v19
	s_cbranch_execz .LBB671_37
; %bb.36:
	v_lshlrev_b32_e32 v18, 2, v19
	global_load_b32 v18, v18, s[12:13]
.LBB671_37:
	s_or_b32 exec_lo, exec_lo, s17
	v_or_b32_e32 v20, 0x900, v0
	s_mov_b32 s17, exec_lo
                                        ; implicit-def: $vgpr19
	s_delay_alu instid0(VALU_DEP_1)
	v_cmpx_gt_u32_e64 s16, v20
	s_cbranch_execz .LBB671_39
; %bb.38:
	v_lshlrev_b32_e32 v19, 2, v20
	global_load_b32 v19, v19, s[12:13]
.LBB671_39:
	s_or_b32 exec_lo, exec_lo, s17
	v_or_b32_e32 v21, 0x980, v0
	s_mov_b32 s17, exec_lo
                                        ; implicit-def: $vgpr20
	s_delay_alu instid0(VALU_DEP_1)
	v_cmpx_gt_u32_e64 s16, v21
	s_cbranch_execz .LBB671_41
; %bb.40:
	v_lshlrev_b32_e32 v20, 2, v21
	global_load_b32 v20, v20, s[12:13]
.LBB671_41:
	s_or_b32 exec_lo, exec_lo, s17
	v_or_b32_e32 v22, 0xa00, v0
	s_mov_b32 s17, exec_lo
                                        ; implicit-def: $vgpr21
	s_delay_alu instid0(VALU_DEP_1)
	v_cmpx_gt_u32_e64 s16, v22
	s_cbranch_execz .LBB671_43
; %bb.42:
	v_lshlrev_b32_e32 v21, 2, v22
	global_load_b32 v21, v21, s[12:13]
.LBB671_43:
	s_or_b32 exec_lo, exec_lo, s17
	v_or_b32_e32 v23, 0xa80, v0
	s_mov_b32 s17, exec_lo
                                        ; implicit-def: $vgpr22
	s_delay_alu instid0(VALU_DEP_1)
	v_cmpx_gt_u32_e64 s16, v23
	s_cbranch_execz .LBB671_45
; %bb.44:
	v_lshlrev_b32_e32 v22, 2, v23
	global_load_b32 v22, v22, s[12:13]
.LBB671_45:
	s_or_b32 exec_lo, exec_lo, s17
	v_or_b32_e32 v24, 0xb00, v0
	s_mov_b32 s17, exec_lo
                                        ; implicit-def: $vgpr23
	s_delay_alu instid0(VALU_DEP_1)
	v_cmpx_gt_u32_e64 s16, v24
	s_cbranch_execz .LBB671_47
; %bb.46:
	v_lshlrev_b32_e32 v23, 2, v24
	global_load_b32 v23, v23, s[12:13]
.LBB671_47:
	s_or_b32 exec_lo, exec_lo, s17
	v_or_b32_e32 v25, 0xb80, v0
	s_mov_b32 s17, exec_lo
                                        ; implicit-def: $vgpr24
	s_delay_alu instid0(VALU_DEP_1)
	v_cmpx_gt_u32_e64 s16, v25
	s_cbranch_execz .LBB671_49
; %bb.48:
	v_lshlrev_b32_e32 v24, 2, v25
	global_load_b32 v24, v24, s[12:13]
.LBB671_49:
	s_or_b32 exec_lo, exec_lo, s17
	v_or_b32_e32 v26, 0xc00, v0
	s_mov_b32 s17, exec_lo
                                        ; implicit-def: $vgpr25
	s_delay_alu instid0(VALU_DEP_1)
	v_cmpx_gt_u32_e64 s16, v26
	s_cbranch_execz .LBB671_51
; %bb.50:
	v_lshlrev_b32_e32 v25, 2, v26
	global_load_b32 v25, v25, s[12:13]
.LBB671_51:
	s_or_b32 exec_lo, exec_lo, s17
	v_or_b32_e32 v27, 0xc80, v0
	s_mov_b32 s17, exec_lo
                                        ; implicit-def: $vgpr26
	s_delay_alu instid0(VALU_DEP_1)
	v_cmpx_gt_u32_e64 s16, v27
	s_cbranch_execz .LBB671_53
; %bb.52:
	v_lshlrev_b32_e32 v26, 2, v27
	global_load_b32 v26, v26, s[12:13]
.LBB671_53:
	s_or_b32 exec_lo, exec_lo, s17
	v_or_b32_e32 v28, 0xd00, v0
	s_mov_b32 s17, exec_lo
                                        ; implicit-def: $vgpr27
	s_delay_alu instid0(VALU_DEP_1)
	v_cmpx_gt_u32_e64 s16, v28
	s_cbranch_execz .LBB671_55
; %bb.54:
	v_lshlrev_b32_e32 v27, 2, v28
	global_load_b32 v27, v27, s[12:13]
.LBB671_55:
	s_or_b32 exec_lo, exec_lo, s17
	v_or_b32_e32 v29, 0xd80, v0
	s_mov_b32 s17, exec_lo
                                        ; implicit-def: $vgpr28
	s_delay_alu instid0(VALU_DEP_1)
	v_cmpx_gt_u32_e64 s16, v29
	s_cbranch_execz .LBB671_57
; %bb.56:
	v_lshlrev_b32_e32 v28, 2, v29
	global_load_b32 v28, v28, s[12:13]
.LBB671_57:
	s_or_b32 exec_lo, exec_lo, s17
	v_or_b32_e32 v30, 0xe00, v0
                                        ; implicit-def: $vgpr29
	s_delay_alu instid0(VALU_DEP_1)
	v_cmp_gt_u32_e32 vcc_lo, s16, v30
	s_and_saveexec_b32 s16, vcc_lo
	s_cbranch_execz .LBB671_59
; %bb.58:
	v_lshlrev_b32_e32 v29, 2, v30
	global_load_b32 v29, v29, s[12:13]
.LBB671_59:
	s_or_b32 exec_lo, exec_lo, s16
	v_lshlrev_b32_e32 v30, 2, v0
	s_mov_b32 s12, 0
	s_waitcnt vmcnt(0)
	ds_store_2addr_stride64_b32 v30, v1, v2 offset1:2
	ds_store_2addr_stride64_b32 v30, v3, v4 offset0:4 offset1:6
	ds_store_2addr_stride64_b32 v30, v5, v6 offset0:8 offset1:10
	ds_store_2addr_stride64_b32 v30, v7, v8 offset0:12 offset1:14
	ds_store_2addr_stride64_b32 v30, v9, v10 offset0:16 offset1:18
	ds_store_2addr_stride64_b32 v30, v11, v12 offset0:20 offset1:22
	ds_store_2addr_stride64_b32 v30, v13, v14 offset0:24 offset1:26
	ds_store_2addr_stride64_b32 v30, v15, v16 offset0:28 offset1:30
	ds_store_2addr_stride64_b32 v30, v17, v18 offset0:32 offset1:34
	ds_store_2addr_stride64_b32 v30, v19, v20 offset0:36 offset1:38
	ds_store_2addr_stride64_b32 v30, v21, v22 offset0:40 offset1:42
	ds_store_2addr_stride64_b32 v30, v23, v24 offset0:44 offset1:46
	ds_store_2addr_stride64_b32 v30, v25, v26 offset0:48 offset1:50
	ds_store_2addr_stride64_b32 v30, v27, v28 offset0:52 offset1:54
	ds_store_b32 v30, v29 offset:14336
	s_waitcnt lgkmcnt(0)
	s_barrier
.LBB671_60:
	v_lshlrev_b32_e32 v31, 2, v0
	s_and_b32 vcc_lo, exec_lo, s12
	s_cbranch_vccz .LBB671_62
; %bb.61:
	s_mov_b32 s31, 0
	s_delay_alu instid0(SALU_CYCLE_1) | instskip(NEXT) | instid1(SALU_CYCLE_1)
	s_lshl_b64 s[12:13], s[30:31], 2
	s_add_u32 s12, s14, s12
	s_addc_u32 s13, s15, s13
	v_add_co_u32 v7, s14, s12, v31
	s_delay_alu instid0(VALU_DEP_1)
	v_add_co_ci_u32_e64 v8, null, s13, 0, s14
	s_clause 0x6
	global_load_b32 v9, v31, s[12:13] offset:512
	global_load_b32 v10, v31, s[12:13] offset:1024
	global_load_b32 v11, v31, s[12:13] offset:1536
	global_load_b32 v12, v31, s[12:13] offset:2048
	global_load_b32 v13, v31, s[12:13] offset:2560
	global_load_b32 v14, v31, s[12:13] offset:3072
	global_load_b32 v15, v31, s[12:13] offset:3584
	v_add_co_u32 v1, vcc_lo, v7, 0x2000
	v_add_co_ci_u32_e32 v2, vcc_lo, 0, v8, vcc_lo
	v_add_co_u32 v3, vcc_lo, 0x1000, v7
	v_add_co_ci_u32_e32 v4, vcc_lo, 0, v8, vcc_lo
	;; [unrolled: 2-line block ×3, first 2 shown]
	s_clause 0xa
	global_load_b32 v16, v[1:2], off offset:-4096
	global_load_b32 v17, v31, s[12:13]
	global_load_b32 v18, v[1:2], off
	global_load_b32 v19, v[3:4], off offset:512
	global_load_b32 v20, v[3:4], off offset:1024
	;; [unrolled: 1-line block ×8, first 2 shown]
	v_add_co_u32 v1, vcc_lo, 0x3000, v7
	v_add_co_ci_u32_e32 v2, vcc_lo, 0, v8, vcc_lo
	s_clause 0xa
	global_load_b32 v7, v[5:6], off offset:1024
	global_load_b32 v8, v[5:6], off offset:1536
	;; [unrolled: 1-line block ×6, first 2 shown]
	global_load_b32 v6, v[1:2], off
	global_load_b32 v28, v[1:2], off offset:512
	global_load_b32 v29, v[1:2], off offset:1024
	;; [unrolled: 1-line block ×4, first 2 shown]
	s_waitcnt vmcnt(20)
	ds_store_2addr_stride64_b32 v31, v17, v9 offset1:2
	ds_store_2addr_stride64_b32 v31, v10, v11 offset0:4 offset1:6
	ds_store_2addr_stride64_b32 v31, v12, v13 offset0:8 offset1:10
	;; [unrolled: 1-line block ×3, first 2 shown]
	s_waitcnt vmcnt(18)
	ds_store_2addr_stride64_b32 v31, v16, v19 offset0:16 offset1:18
	s_waitcnt vmcnt(16)
	ds_store_2addr_stride64_b32 v31, v20, v21 offset0:20 offset1:22
	s_waitcnt vmcnt(14)
	ds_store_2addr_stride64_b32 v31, v22, v23 offset0:24 offset1:26
	s_waitcnt vmcnt(12)
	ds_store_2addr_stride64_b32 v31, v24, v3 offset0:28 offset1:30
	s_waitcnt vmcnt(11)
	ds_store_2addr_stride64_b32 v31, v18, v4 offset0:32 offset1:34
	s_waitcnt vmcnt(9)
	ds_store_2addr_stride64_b32 v31, v7, v8 offset0:36 offset1:38
	s_waitcnt vmcnt(7)
	ds_store_2addr_stride64_b32 v31, v25, v26 offset0:40 offset1:42
	s_waitcnt vmcnt(5)
	ds_store_2addr_stride64_b32 v31, v27, v5 offset0:44 offset1:46
	s_waitcnt vmcnt(3)
	ds_store_2addr_stride64_b32 v31, v6, v28 offset0:48 offset1:50
	s_waitcnt vmcnt(1)
	ds_store_2addr_stride64_b32 v31, v29, v30 offset0:52 offset1:54
	s_waitcnt vmcnt(0)
	ds_store_b32 v31, v1 offset:14336
	s_waitcnt lgkmcnt(0)
	s_barrier
.LBB671_62:
	v_mul_u32_u24_e32 v1, 29, v0
	buffer_gl0_inv
	s_cmp_eq_u64 s[6:7], 0
	v_lshlrev_b32_e32 v27, 2, v1
	ds_load_b32 v29, v27 offset:112
	ds_load_2addr_b32 v[1:2], v27 offset0:26 offset1:27
	ds_load_2addr_b32 v[3:4], v27 offset0:24 offset1:25
	ds_load_2addr_b32 v[5:6], v27 offset1:1
	ds_load_2addr_b32 v[7:8], v27 offset0:2 offset1:3
	ds_load_2addr_b32 v[9:10], v27 offset0:4 offset1:5
	;; [unrolled: 1-line block ×11, first 2 shown]
	s_waitcnt lgkmcnt(0)
	s_barrier
	buffer_gl0_inv
	s_cbranch_scc1 .LBB671_67
; %bb.63:
	s_lshl_b64 s[2:3], s[2:3], 2
	s_delay_alu instid0(SALU_CYCLE_1) | instskip(SKIP_2) | instid1(SALU_CYCLE_1)
	s_add_u32 s2, s0, s2
	s_addc_u32 s3, s1, s3
	s_lshl_b64 s[0:1], s[8:9], 2
	s_add_u32 s0, s2, s0
	s_addc_u32 s1, s3, s1
	s_add_u32 s0, s0, -4
	s_addc_u32 s1, s1, -1
	s_cmp_eq_u64 s[6:7], s[10:11]
	s_load_b32 s0, s[0:1], 0x0
	s_cbranch_scc1 .LBB671_68
; %bb.64:
	s_waitcnt lgkmcnt(0)
	v_mov_b32_e32 v30, s0
	s_mov_b32 s1, 0
	s_mov_b32 s2, exec_lo
	ds_store_b32 v31, v29
	s_waitcnt lgkmcnt(0)
	s_barrier
	buffer_gl0_inv
	v_cmpx_ne_u32_e32 0, v0
	s_cbranch_execz .LBB671_66
; %bb.65:
	v_add_nc_u32_e32 v30, -4, v31
	ds_load_b32 v30, v30
.LBB671_66:
	s_or_b32 exec_lo, exec_lo, s2
	s_waitcnt lgkmcnt(0)
	v_add_nc_u32_e32 v32, v30, v5
	s_branch .LBB671_69
.LBB671_67:
                                        ; implicit-def: $vgpr32
                                        ; implicit-def: $vgpr34
                                        ; implicit-def: $vgpr35
                                        ; implicit-def: $vgpr36
                                        ; implicit-def: $vgpr37
                                        ; implicit-def: $vgpr38
                                        ; implicit-def: $vgpr39
                                        ; implicit-def: $vgpr40
                                        ; implicit-def: $vgpr41
                                        ; implicit-def: $vgpr42
                                        ; implicit-def: $vgpr43
                                        ; implicit-def: $vgpr45
                                        ; implicit-def: $vgpr46
                                        ; implicit-def: $vgpr49
                                        ; implicit-def: $vgpr50
                                        ; implicit-def: $vgpr52
                                        ; implicit-def: $vgpr53
                                        ; implicit-def: $vgpr54
                                        ; implicit-def: $vgpr55
                                        ; implicit-def: $vgpr56
                                        ; implicit-def: $vgpr57
                                        ; implicit-def: $vgpr58
                                        ; implicit-def: $vgpr59
                                        ; implicit-def: $vgpr51
                                        ; implicit-def: $vgpr44
                                        ; implicit-def: $vgpr47
                                        ; implicit-def: $vgpr48
                                        ; implicit-def: $vgpr30
                                        ; implicit-def: $vgpr33
	s_branch .LBB671_74
.LBB671_68:
	s_mov_b32 s1, -1
                                        ; implicit-def: $vgpr32
.LBB671_69:
	v_dual_mov_b32 v34, v5 :: v_dual_mov_b32 v35, v6
	v_dual_mov_b32 v36, v7 :: v_dual_mov_b32 v37, v8
	;; [unrolled: 1-line block ×14, first 2 shown]
	s_and_b32 vcc_lo, exec_lo, s1
	s_cbranch_vccz .LBB671_73
; %bb.70:
	v_mul_u32_u24_e32 v32, 29, v0
	s_waitcnt lgkmcnt(0)
	v_mov_b32_e32 v34, s0
	s_mov_b32 s0, exec_lo
	ds_store_b32 v31, v29
	s_waitcnt lgkmcnt(0)
	s_barrier
	buffer_gl0_inv
	v_cmpx_ne_u32_e32 0, v0
	s_cbranch_execz .LBB671_72
; %bb.71:
	v_add_nc_u32_e32 v30, -4, v31
	ds_load_b32 v34, v30
.LBB671_72:
	s_or_b32 exec_lo, exec_lo, s0
	v_add_nc_u32_e32 v30, 28, v32
	s_mul_i32 s0, s6, 0xfffff180
	v_add_nc_u32_e32 v35, 27, v32
	s_add_i32 s0, s0, s42
	v_add_nc_u32_e32 v36, 26, v32
	v_cmp_gt_u32_e32 vcc_lo, s0, v30
	v_add_nc_u32_e32 v37, 24, v32
	v_add_nc_u32_e32 v60, 2, v32
	;; [unrolled: 1-line block ×3, first 2 shown]
	v_cndmask_b32_e32 v33, 0, v2, vcc_lo
	v_cmp_gt_u32_e32 vcc_lo, s0, v35
	v_dual_cndmask_b32 v30, 0, v1 :: v_dual_add_nc_u32 v35, 25, v32
	v_cmp_gt_u32_e32 vcc_lo, s0, v36
	v_add_nc_u32_e32 v36, 23, v32
	v_cndmask_b32_e32 v48, 0, v4, vcc_lo
	s_delay_alu instid0(VALU_DEP_4)
	v_cmp_gt_u32_e32 vcc_lo, s0, v35
	v_add_nc_u32_e32 v35, 22, v32
	v_cndmask_b32_e32 v47, 0, v3, vcc_lo
	v_cmp_gt_u32_e32 vcc_lo, s0, v37
	v_add_nc_u32_e32 v37, 20, v32
	v_cndmask_b32_e32 v44, 0, v28, vcc_lo
	v_cmp_gt_u32_e32 vcc_lo, s0, v36
	v_dual_cndmask_b32 v51, 0, v27 :: v_dual_add_nc_u32 v36, 21, v32
	v_cmp_gt_u32_e32 vcc_lo, s0, v35
	v_add_nc_u32_e32 v35, 19, v32
	v_cndmask_b32_e32 v59, 0, v26, vcc_lo
	s_delay_alu instid0(VALU_DEP_4)
	v_cmp_gt_u32_e32 vcc_lo, s0, v36
	v_add_nc_u32_e32 v36, 18, v32
	v_cndmask_b32_e32 v58, 0, v25, vcc_lo
	v_cmp_gt_u32_e32 vcc_lo, s0, v37
	v_add_nc_u32_e32 v37, 16, v32
	v_cndmask_b32_e32 v57, 0, v24, vcc_lo
	v_cmp_gt_u32_e32 vcc_lo, s0, v35
	v_dual_cndmask_b32 v56, 0, v23 :: v_dual_add_nc_u32 v35, 17, v32
	v_cmp_gt_u32_e32 vcc_lo, s0, v36
	v_dual_cndmask_b32 v55, 0, v22 :: v_dual_add_nc_u32 v36, 15, v32
	s_delay_alu instid0(VALU_DEP_3)
	v_cmp_gt_u32_e32 vcc_lo, s0, v35
	v_dual_cndmask_b32 v54, 0, v21 :: v_dual_add_nc_u32 v35, 14, v32
	v_cmp_gt_u32_e32 vcc_lo, s0, v37
	v_add_nc_u32_e32 v37, 12, v32
	v_cndmask_b32_e32 v53, 0, v20, vcc_lo
	v_cmp_gt_u32_e32 vcc_lo, s0, v36
	v_add_nc_u32_e32 v36, 13, v32
	v_cndmask_b32_e32 v52, 0, v19, vcc_lo
	v_cmp_gt_u32_e32 vcc_lo, s0, v35
	v_dual_cndmask_b32 v50, 0, v18 :: v_dual_add_nc_u32 v35, 11, v32
	s_delay_alu instid0(VALU_DEP_4)
	v_cmp_gt_u32_e32 vcc_lo, s0, v36
	v_dual_cndmask_b32 v49, 0, v17 :: v_dual_add_nc_u32 v36, 10, v32
	v_cmp_gt_u32_e32 vcc_lo, s0, v37
	v_add_nc_u32_e32 v37, 8, v32
	v_cndmask_b32_e32 v46, 0, v16, vcc_lo
	v_cmp_gt_u32_e32 vcc_lo, s0, v35
	v_add_nc_u32_e32 v35, 9, v32
	v_cndmask_b32_e32 v45, 0, v15, vcc_lo
	v_cmp_gt_u32_e32 vcc_lo, s0, v36
	v_dual_cndmask_b32 v43, 0, v14 :: v_dual_add_nc_u32 v36, 7, v32
	s_delay_alu instid0(VALU_DEP_4)
	v_cmp_gt_u32_e32 vcc_lo, s0, v35
	v_dual_cndmask_b32 v42, 0, v13 :: v_dual_add_nc_u32 v35, 6, v32
	v_cmp_gt_u32_e32 vcc_lo, s0, v37
	v_add_nc_u32_e32 v37, 4, v32
	v_cndmask_b32_e32 v41, 0, v12, vcc_lo
	v_cmp_gt_u32_e32 vcc_lo, s0, v36
	v_add_nc_u32_e32 v36, 5, v32
	v_cndmask_b32_e32 v40, 0, v11, vcc_lo
	;; [unrolled: 3-line block ×3, first 2 shown]
	v_cmp_gt_u32_e32 vcc_lo, s0, v36
	v_cndmask_b32_e32 v38, 0, v9, vcc_lo
	v_cmp_gt_u32_e32 vcc_lo, s0, v37
	v_cndmask_b32_e32 v37, 0, v8, vcc_lo
	v_cmp_gt_u32_e32 vcc_lo, s0, v35
	v_cndmask_b32_e32 v36, 0, v7, vcc_lo
	v_cmp_gt_u32_e32 vcc_lo, s0, v32
	s_waitcnt lgkmcnt(0)
	v_cndmask_b32_e32 v32, 0, v34, vcc_lo
	v_cmp_gt_u32_e32 vcc_lo, s0, v60
	s_delay_alu instid0(VALU_DEP_2)
	v_dual_cndmask_b32 v35, 0, v6 :: v_dual_add_nc_u32 v32, v32, v5
	v_cmp_gt_u32_e32 vcc_lo, s0, v61
	v_cndmask_b32_e32 v34, 0, v5, vcc_lo
.LBB671_73:
	s_waitcnt lgkmcnt(0)
	s_cbranch_execnz .LBB671_84
.LBB671_74:
	v_cmp_ne_u32_e32 vcc_lo, 0, v0
	s_cmp_eq_u64 s[4:5], 1
	s_cbranch_scc1 .LBB671_78
; %bb.75:
	v_mov_b32_e32 v32, v5
	s_mov_b32 s0, 0
	ds_store_b32 v31, v29
	s_waitcnt lgkmcnt(0)
	s_barrier
	buffer_gl0_inv
	s_and_saveexec_b32 s1, vcc_lo
	s_cbranch_execz .LBB671_77
; %bb.76:
	v_add_nc_u32_e32 v30, -4, v31
	ds_load_b32 v30, v30
	s_waitcnt lgkmcnt(0)
	v_add_nc_u32_e32 v32, v30, v5
.LBB671_77:
	s_or_b32 exec_lo, exec_lo, s1
	s_branch .LBB671_79
.LBB671_78:
	s_mov_b32 s0, -1
                                        ; implicit-def: $vgpr32
.LBB671_79:
	v_dual_mov_b32 v35, v6 :: v_dual_mov_b32 v36, v7
	v_dual_mov_b32 v37, v8 :: v_dual_mov_b32 v38, v9
	v_dual_mov_b32 v39, v10 :: v_dual_mov_b32 v40, v11
	v_dual_mov_b32 v41, v12 :: v_dual_mov_b32 v42, v13
	v_dual_mov_b32 v43, v14 :: v_dual_mov_b32 v46, v16
	v_dual_mov_b32 v45, v15 :: v_dual_mov_b32 v50, v18
	v_dual_mov_b32 v49, v17 :: v_dual_mov_b32 v52, v19
	v_dual_mov_b32 v53, v20 :: v_dual_mov_b32 v54, v21
	v_dual_mov_b32 v55, v22 :: v_dual_mov_b32 v56, v23
	v_dual_mov_b32 v57, v24 :: v_dual_mov_b32 v58, v25
	v_dual_mov_b32 v59, v26 :: v_dual_mov_b32 v44, v28
	v_dual_mov_b32 v51, v27 :: v_dual_mov_b32 v48, v4
	v_dual_mov_b32 v47, v3 :: v_dual_mov_b32 v30, v1
	v_mov_b32_e32 v33, v2
	s_and_not1_b32 vcc_lo, exec_lo, s0
	s_cbranch_vccnz .LBB671_83
; %bb.80:
	v_mad_u32_u24 v30, v0, 29, 28
	v_mad_u32_u24 v32, v0, 29, 27
	;; [unrolled: 1-line block ×4, first 2 shown]
	v_mul_u32_u24_e32 v33, 29, v0
	v_cmp_gt_u32_e32 vcc_lo, s42, v30
	v_mad_u32_u24 v30, v0, 29, 25
	v_cmp_gt_u32_e64 s0, s42, v32
	v_mad_u32_u24 v32, v0, 29, 24
	v_cmp_gt_u32_e64 s1, s42, v34
	;; [unrolled: 2-line block ×5, first 2 shown]
	v_cmp_gt_u32_e64 s5, s42, v35
	v_cmp_gt_u32_e64 s6, s42, v30
	v_mad_u32_u24 v30, v0, 29, 18
	v_cmp_gt_u32_e64 s7, s42, v32
	v_mad_u32_u24 v32, v0, 29, 16
	v_mad_u32_u24 v34, v0, 29, 19
	;; [unrolled: 1-line block ×3, first 2 shown]
	v_cmp_gt_u32_e64 s9, s42, v30
	v_mad_u32_u24 v30, v0, 29, 15
	v_cmp_gt_u32_e64 s11, s42, v32
	v_mad_u32_u24 v32, v0, 29, 13
	v_cmp_gt_u32_e64 s8, s42, v34
	v_cmp_gt_u32_e64 s10, s42, v35
	;; [unrolled: 1-line block ×3, first 2 shown]
	v_mad_u32_u24 v30, v0, 29, 11
	v_mad_u32_u24 v34, v0, 29, 14
	;; [unrolled: 1-line block ×3, first 2 shown]
	v_cmp_gt_u32_e64 s14, s42, v32
	v_mad_u32_u24 v32, v0, 29, 10
	v_cmp_gt_u32_e64 s16, s42, v30
	v_mad_u32_u24 v30, v0, 29, 8
	v_cmp_gt_u32_e64 s13, s42, v34
	v_cmp_gt_u32_e64 s15, s42, v35
	v_mad_u32_u24 v34, v0, 29, 9
	v_mad_u32_u24 v35, v0, 29, 7
	v_cmp_gt_u32_e64 s17, s42, v32
	v_mad_u32_u24 v32, v0, 29, 6
	v_cmp_gt_u32_e64 s19, s42, v30
	;; [unrolled: 2-line block ×3, first 2 shown]
	v_cmp_gt_u32_e64 s20, s42, v35
	v_mad_u32_u24 v34, v0, 29, 4
	v_cmp_gt_u32_e64 s21, s42, v32
	v_mad_u32_u24 v32, v0, 29, 3
	v_mad_u32_u24 v35, v0, 29, 2
	v_cmp_gt_u32_e64 s22, s42, v30
	v_mad_u32_u24 v30, v0, 29, 1
	v_cmp_ne_u32_e64 s27, 0, v0
	v_cmp_gt_u32_e64 s28, s42, v33
	v_cmp_gt_u32_e64 s23, s42, v34
	;; [unrolled: 1-line block ×5, first 2 shown]
	v_mov_b32_e32 v32, v5
	s_and_b32 s28, s27, s28
	ds_store_b32 v31, v29
	s_waitcnt lgkmcnt(0)
	s_barrier
	buffer_gl0_inv
	s_and_saveexec_b32 s27, s28
	s_cbranch_execz .LBB671_82
; %bb.81:
	v_add_nc_u32_e32 v30, -4, v31
	ds_load_b32 v30, v30
	s_waitcnt lgkmcnt(0)
	v_add_nc_u32_e32 v32, v30, v5
.LBB671_82:
	s_or_b32 exec_lo, exec_lo, s27
	v_cndmask_b32_e32 v33, 0, v2, vcc_lo
	v_cndmask_b32_e64 v30, 0, v1, s0
	v_cndmask_b32_e64 v48, 0, v4, s1
	;; [unrolled: 1-line block ×27, first 2 shown]
.LBB671_83:
	s_delay_alu instid0(VALU_DEP_1)
	v_mov_b32_e32 v34, v5
.LBB671_84:
	s_delay_alu instid0(VALU_DEP_2) | instskip(NEXT) | instid1(VALU_DEP_2)
	v_add_nc_u32_e32 v33, v33, v29
	v_add_nc_u32_e32 v34, v34, v6
	;; [unrolled: 1-line block ×28, first 2 shown]
	v_mul_u32_u24_e32 v61, 0x74, v0
	v_mul_i32_i24_e32 v62, 0xffffff90, v0
	s_add_u32 s1, s40, s34
	s_addc_u32 s0, s41, s35
	s_and_b32 vcc_lo, exec_lo, s33
	s_barrier
	buffer_gl0_inv
	s_cbranch_vccz .LBB671_142
; %bb.85:
	v_mad_u32_u24 v1, 0x74, v0, v62
	ds_store_2addr_b32 v61, v32, v34 offset1:1
	ds_store_2addr_b32 v61, v35, v36 offset0:2 offset1:3
	ds_store_2addr_b32 v61, v37, v38 offset0:4 offset1:5
	;; [unrolled: 1-line block ×13, first 2 shown]
	ds_store_b32 v61, v33 offset:112
	s_waitcnt lgkmcnt(0)
	s_barrier
	buffer_gl0_inv
	ds_load_2addr_stride64_b32 v[29:30], v1 offset0:2 offset1:4
	ds_load_2addr_stride64_b32 v[27:28], v1 offset0:6 offset1:8
	;; [unrolled: 1-line block ×14, first 2 shown]
	s_mov_b32 s31, 0
	s_add_i32 s29, s29, s42
	s_lshl_b64 s[2:3], s[30:31], 2
	s_delay_alu instid0(SALU_CYCLE_1) | instskip(SKIP_2) | instid1(VALU_DEP_1)
	s_add_u32 s2, s1, s2
	s_addc_u32 s3, s0, s3
	v_add_co_u32 v3, s2, s2, v31
	v_add_co_ci_u32_e64 v4, null, s3, 0, s2
	s_mov_b32 s2, exec_lo
	v_cmpx_gt_u32_e64 s29, v0
	s_cbranch_execz .LBB671_87
; %bb.86:
	v_add_nc_u32_e32 v63, v61, v62
	ds_load_b32 v63, v63
	s_waitcnt lgkmcnt(0)
	global_store_b32 v[3:4], v63, off
.LBB671_87:
	s_or_b32 exec_lo, exec_lo, s2
	v_or_b32_e32 v63, 0x80, v0
	s_mov_b32 s2, exec_lo
	s_delay_alu instid0(VALU_DEP_1)
	v_cmpx_gt_u32_e64 s29, v63
	s_cbranch_execz .LBB671_89
; %bb.88:
	s_waitcnt lgkmcnt(13)
	global_store_b32 v[3:4], v29, off offset:512
.LBB671_89:
	s_or_b32 exec_lo, exec_lo, s2
	s_waitcnt lgkmcnt(13)
	v_or_b32_e32 v29, 0x100, v0
	s_mov_b32 s2, exec_lo
	s_delay_alu instid0(VALU_DEP_1)
	v_cmpx_gt_u32_e64 s29, v29
	s_cbranch_execz .LBB671_91
; %bb.90:
	global_store_b32 v[3:4], v30, off offset:1024
.LBB671_91:
	s_or_b32 exec_lo, exec_lo, s2
	v_or_b32_e32 v29, 0x180, v0
	s_mov_b32 s2, exec_lo
	s_delay_alu instid0(VALU_DEP_1)
	v_cmpx_gt_u32_e64 s29, v29
	s_cbranch_execz .LBB671_93
; %bb.92:
	s_waitcnt lgkmcnt(12)
	global_store_b32 v[3:4], v27, off offset:1536
.LBB671_93:
	s_or_b32 exec_lo, exec_lo, s2
	s_waitcnt lgkmcnt(12)
	v_or_b32_e32 v27, 0x200, v0
	s_mov_b32 s2, exec_lo
	s_delay_alu instid0(VALU_DEP_1)
	v_cmpx_gt_u32_e64 s29, v27
	s_cbranch_execz .LBB671_95
; %bb.94:
	global_store_b32 v[3:4], v28, off offset:2048
.LBB671_95:
	;; [unrolled: 20-line block ×3, first 2 shown]
	s_or_b32 exec_lo, exec_lo, s2
	v_or_b32_e32 v25, 0x380, v0
	s_mov_b32 s2, exec_lo
	s_delay_alu instid0(VALU_DEP_1)
	v_cmpx_gt_u32_e64 s29, v25
	s_cbranch_execz .LBB671_101
; %bb.100:
	s_waitcnt lgkmcnt(10)
	global_store_b32 v[3:4], v23, off offset:3584
.LBB671_101:
	s_or_b32 exec_lo, exec_lo, s2
	s_waitcnt lgkmcnt(10)
	v_or_b32_e32 v23, 0x400, v0
	s_mov_b32 s2, exec_lo
	s_delay_alu instid0(VALU_DEP_1)
	v_cmpx_gt_u32_e64 s29, v23
	s_cbranch_execz .LBB671_103
; %bb.102:
	v_add_co_u32 v25, vcc_lo, 0x1000, v3
	v_add_co_ci_u32_e32 v26, vcc_lo, 0, v4, vcc_lo
	global_store_b32 v[25:26], v24, off
.LBB671_103:
	s_or_b32 exec_lo, exec_lo, s2
	v_or_b32_e32 v23, 0x480, v0
	s_mov_b32 s2, exec_lo
	s_delay_alu instid0(VALU_DEP_1)
	v_cmpx_gt_u32_e64 s29, v23
	s_cbranch_execz .LBB671_105
; %bb.104:
	v_add_co_u32 v23, vcc_lo, 0x1000, v3
	v_add_co_ci_u32_e32 v24, vcc_lo, 0, v4, vcc_lo
	s_waitcnt lgkmcnt(9)
	global_store_b32 v[23:24], v21, off offset:512
.LBB671_105:
	s_or_b32 exec_lo, exec_lo, s2
	s_waitcnt lgkmcnt(9)
	v_or_b32_e32 v21, 0x500, v0
	s_mov_b32 s2, exec_lo
	s_delay_alu instid0(VALU_DEP_1)
	v_cmpx_gt_u32_e64 s29, v21
	s_cbranch_execz .LBB671_107
; %bb.106:
	v_add_co_u32 v23, vcc_lo, 0x1000, v3
	v_add_co_ci_u32_e32 v24, vcc_lo, 0, v4, vcc_lo
	global_store_b32 v[23:24], v22, off offset:1024
.LBB671_107:
	s_or_b32 exec_lo, exec_lo, s2
	v_or_b32_e32 v21, 0x580, v0
	s_mov_b32 s2, exec_lo
	s_delay_alu instid0(VALU_DEP_1)
	v_cmpx_gt_u32_e64 s29, v21
	s_cbranch_execz .LBB671_109
; %bb.108:
	v_add_co_u32 v21, vcc_lo, 0x1000, v3
	v_add_co_ci_u32_e32 v22, vcc_lo, 0, v4, vcc_lo
	s_waitcnt lgkmcnt(8)
	global_store_b32 v[21:22], v19, off offset:1536
.LBB671_109:
	s_or_b32 exec_lo, exec_lo, s2
	s_waitcnt lgkmcnt(8)
	v_or_b32_e32 v19, 0x600, v0
	s_mov_b32 s2, exec_lo
	s_delay_alu instid0(VALU_DEP_1)
	v_cmpx_gt_u32_e64 s29, v19
	s_cbranch_execz .LBB671_111
; %bb.110:
	v_add_co_u32 v21, vcc_lo, 0x1000, v3
	v_add_co_ci_u32_e32 v22, vcc_lo, 0, v4, vcc_lo
	global_store_b32 v[21:22], v20, off offset:2048
.LBB671_111:
	;; [unrolled: 24-line block ×3, first 2 shown]
	s_or_b32 exec_lo, exec_lo, s2
	v_or_b32_e32 v17, 0x780, v0
	s_mov_b32 s2, exec_lo
	s_delay_alu instid0(VALU_DEP_1)
	v_cmpx_gt_u32_e64 s29, v17
	s_cbranch_execz .LBB671_117
; %bb.116:
	v_add_co_u32 v17, vcc_lo, 0x1000, v3
	v_add_co_ci_u32_e32 v18, vcc_lo, 0, v4, vcc_lo
	s_waitcnt lgkmcnt(6)
	global_store_b32 v[17:18], v15, off offset:3584
.LBB671_117:
	s_or_b32 exec_lo, exec_lo, s2
	s_waitcnt lgkmcnt(6)
	v_or_b32_e32 v15, 0x800, v0
	s_mov_b32 s2, exec_lo
	s_delay_alu instid0(VALU_DEP_1)
	v_cmpx_gt_u32_e64 s29, v15
	s_cbranch_execz .LBB671_119
; %bb.118:
	v_add_co_u32 v17, vcc_lo, 0x2000, v3
	v_add_co_ci_u32_e32 v18, vcc_lo, 0, v4, vcc_lo
	global_store_b32 v[17:18], v16, off
.LBB671_119:
	s_or_b32 exec_lo, exec_lo, s2
	v_or_b32_e32 v15, 0x880, v0
	s_mov_b32 s2, exec_lo
	s_delay_alu instid0(VALU_DEP_1)
	v_cmpx_gt_u32_e64 s29, v15
	s_cbranch_execz .LBB671_121
; %bb.120:
	v_add_co_u32 v15, vcc_lo, 0x2000, v3
	v_add_co_ci_u32_e32 v16, vcc_lo, 0, v4, vcc_lo
	s_waitcnt lgkmcnt(5)
	global_store_b32 v[15:16], v13, off offset:512
.LBB671_121:
	s_or_b32 exec_lo, exec_lo, s2
	s_waitcnt lgkmcnt(5)
	v_or_b32_e32 v13, 0x900, v0
	s_mov_b32 s2, exec_lo
	s_delay_alu instid0(VALU_DEP_1)
	v_cmpx_gt_u32_e64 s29, v13
	s_cbranch_execz .LBB671_123
; %bb.122:
	v_add_co_u32 v15, vcc_lo, 0x2000, v3
	v_add_co_ci_u32_e32 v16, vcc_lo, 0, v4, vcc_lo
	global_store_b32 v[15:16], v14, off offset:1024
.LBB671_123:
	s_or_b32 exec_lo, exec_lo, s2
	v_or_b32_e32 v13, 0x980, v0
	s_mov_b32 s2, exec_lo
	s_delay_alu instid0(VALU_DEP_1)
	v_cmpx_gt_u32_e64 s29, v13
	s_cbranch_execz .LBB671_125
; %bb.124:
	v_add_co_u32 v13, vcc_lo, 0x2000, v3
	v_add_co_ci_u32_e32 v14, vcc_lo, 0, v4, vcc_lo
	s_waitcnt lgkmcnt(4)
	global_store_b32 v[13:14], v11, off offset:1536
.LBB671_125:
	s_or_b32 exec_lo, exec_lo, s2
	s_waitcnt lgkmcnt(4)
	v_or_b32_e32 v11, 0xa00, v0
	s_mov_b32 s2, exec_lo
	s_delay_alu instid0(VALU_DEP_1)
	v_cmpx_gt_u32_e64 s29, v11
	s_cbranch_execz .LBB671_127
; %bb.126:
	v_add_co_u32 v13, vcc_lo, 0x2000, v3
	v_add_co_ci_u32_e32 v14, vcc_lo, 0, v4, vcc_lo
	global_store_b32 v[13:14], v12, off offset:2048
.LBB671_127:
	;; [unrolled: 24-line block ×3, first 2 shown]
	s_or_b32 exec_lo, exec_lo, s2
	v_or_b32_e32 v9, 0xb80, v0
	s_mov_b32 s2, exec_lo
	s_delay_alu instid0(VALU_DEP_1)
	v_cmpx_gt_u32_e64 s29, v9
	s_cbranch_execz .LBB671_133
; %bb.132:
	v_add_co_u32 v9, vcc_lo, 0x2000, v3
	v_add_co_ci_u32_e32 v10, vcc_lo, 0, v4, vcc_lo
	s_waitcnt lgkmcnt(2)
	global_store_b32 v[9:10], v7, off offset:3584
.LBB671_133:
	s_or_b32 exec_lo, exec_lo, s2
	s_waitcnt lgkmcnt(2)
	v_or_b32_e32 v7, 0xc00, v0
	s_mov_b32 s2, exec_lo
	s_delay_alu instid0(VALU_DEP_1)
	v_cmpx_gt_u32_e64 s29, v7
	s_cbranch_execz .LBB671_135
; %bb.134:
	v_add_co_u32 v9, vcc_lo, 0x3000, v3
	v_add_co_ci_u32_e32 v10, vcc_lo, 0, v4, vcc_lo
	global_store_b32 v[9:10], v8, off
.LBB671_135:
	s_or_b32 exec_lo, exec_lo, s2
	v_or_b32_e32 v7, 0xc80, v0
	s_mov_b32 s2, exec_lo
	s_delay_alu instid0(VALU_DEP_1)
	v_cmpx_gt_u32_e64 s29, v7
	s_cbranch_execz .LBB671_137
; %bb.136:
	v_add_co_u32 v7, vcc_lo, 0x3000, v3
	v_add_co_ci_u32_e32 v8, vcc_lo, 0, v4, vcc_lo
	s_waitcnt lgkmcnt(1)
	global_store_b32 v[7:8], v5, off offset:512
.LBB671_137:
	s_or_b32 exec_lo, exec_lo, s2
	s_waitcnt lgkmcnt(1)
	v_or_b32_e32 v5, 0xd00, v0
	s_mov_b32 s2, exec_lo
	s_delay_alu instid0(VALU_DEP_1)
	v_cmpx_gt_u32_e64 s29, v5
	s_cbranch_execz .LBB671_139
; %bb.138:
	v_add_co_u32 v7, vcc_lo, 0x3000, v3
	v_add_co_ci_u32_e32 v8, vcc_lo, 0, v4, vcc_lo
	global_store_b32 v[7:8], v6, off offset:1024
.LBB671_139:
	s_or_b32 exec_lo, exec_lo, s2
	v_or_b32_e32 v5, 0xd80, v0
	s_mov_b32 s2, exec_lo
	s_delay_alu instid0(VALU_DEP_1)
	v_cmpx_gt_u32_e64 s29, v5
	s_cbranch_execz .LBB671_141
; %bb.140:
	v_add_co_u32 v5, vcc_lo, 0x3000, v3
	v_add_co_ci_u32_e32 v6, vcc_lo, 0, v4, vcc_lo
	s_waitcnt lgkmcnt(0)
	global_store_b32 v[5:6], v1, off offset:1536
.LBB671_141:
	s_or_b32 exec_lo, exec_lo, s2
	s_waitcnt lgkmcnt(0)
	v_or_b32_e32 v1, 0xe00, v0
	s_delay_alu instid0(VALU_DEP_1)
	v_cmp_gt_u32_e64 s2, s29, v1
	s_branch .LBB671_144
.LBB671_142:
	s_mov_b32 s2, 0
                                        ; implicit-def: $vgpr2
                                        ; implicit-def: $vgpr3_vgpr4
	s_cbranch_execz .LBB671_144
; %bb.143:
	v_mad_u32_u24 v2, 0x74, v0, v62
	ds_store_2addr_b32 v61, v32, v34 offset1:1
	ds_store_2addr_b32 v61, v35, v36 offset0:2 offset1:3
	ds_store_2addr_b32 v61, v37, v38 offset0:4 offset1:5
	;; [unrolled: 1-line block ×13, first 2 shown]
	ds_store_b32 v61, v33 offset:112
	s_waitcnt lgkmcnt(0)
	s_waitcnt_vscnt null, 0x0
	s_barrier
	buffer_gl0_inv
	ds_load_2addr_stride64_b32 v[0:1], v2 offset1:2
	ds_load_2addr_stride64_b32 v[5:6], v2 offset0:4 offset1:6
	s_mov_b32 s31, 0
	ds_load_2addr_stride64_b32 v[7:8], v2 offset0:8 offset1:10
	ds_load_2addr_stride64_b32 v[9:10], v2 offset0:12 offset1:14
	;; [unrolled: 1-line block ×12, first 2 shown]
	ds_load_b32 v2, v2 offset:14336
	s_lshl_b64 s[4:5], s[30:31], 2
	s_delay_alu instid0(SALU_CYCLE_1) | instskip(SKIP_2) | instid1(VALU_DEP_1)
	s_add_u32 s4, s1, s4
	s_addc_u32 s5, s0, s5
	v_add_co_u32 v3, s0, s4, v31
	v_add_co_ci_u32_e64 v4, null, s5, 0, s0
	s_or_b32 s2, s2, exec_lo
	s_waitcnt lgkmcnt(14)
	global_store_b32 v31, v1, s[4:5] offset:512
	s_waitcnt lgkmcnt(13)
	s_clause 0x1
	global_store_b32 v31, v5, s[4:5] offset:1024
	global_store_b32 v31, v6, s[4:5] offset:1536
	s_waitcnt lgkmcnt(12)
	s_clause 0x1
	global_store_b32 v31, v7, s[4:5] offset:2048
	;; [unrolled: 4-line block ×3, first 2 shown]
	global_store_b32 v31, v10, s[4:5] offset:3584
	v_add_co_u32 v5, vcc_lo, v3, 0x2000
	v_add_co_ci_u32_e32 v6, vcc_lo, 0, v4, vcc_lo
	v_add_co_u32 v7, vcc_lo, 0x3000, v3
	v_add_co_ci_u32_e32 v8, vcc_lo, 0, v4, vcc_lo
	v_add_co_u32 v9, vcc_lo, 0x1000, v3
	v_add_co_ci_u32_e32 v10, vcc_lo, 0, v4, vcc_lo
	v_add_co_u32 v32, vcc_lo, 0x2000, v3
	s_waitcnt lgkmcnt(1)
	s_clause 0x1
	global_store_b32 v[7:8], v29, off offset:1024
	global_store_b32 v[5:6], v11, off offset:-4096
	v_add_co_ci_u32_e32 v33, vcc_lo, 0, v4, vcc_lo
	s_clause 0x12
	global_store_b32 v31, v0, s[4:5]
	global_store_b32 v[5:6], v19, off
	global_store_b32 v[9:10], v12, off offset:512
	global_store_b32 v[9:10], v13, off offset:1024
	;; [unrolled: 1-line block ×14, first 2 shown]
	global_store_b32 v[7:8], v27, off
	global_store_b32 v[7:8], v28, off offset:512
	global_store_b32 v[7:8], v30, off offset:1536
.LBB671_144:
	s_delay_alu instid0(VALU_DEP_1)
	s_and_saveexec_b32 s0, s2
	s_cbranch_execnz .LBB671_146
; %bb.145:
	s_nop 0
	s_sendmsg sendmsg(MSG_DEALLOC_VGPRS)
	s_endpgm
.LBB671_146:
	v_add_co_u32 v0, vcc_lo, 0x3000, v3
	v_add_co_ci_u32_e32 v1, vcc_lo, 0, v4, vcc_lo
	s_waitcnt lgkmcnt(0)
	global_store_b32 v[0:1], v2, off offset:2048
	s_nop 0
	s_sendmsg sendmsg(MSG_DEALLOC_VGPRS)
	s_endpgm
	.section	.rodata,"a",@progbits
	.p2align	6, 0x0
	.amdhsa_kernel _ZN7rocprim17ROCPRIM_400000_NS6detail17trampoline_kernelINS0_14default_configENS1_35adjacent_difference_config_selectorILb1EjEEZNS1_24adjacent_difference_implIS3_Lb1ELb0EPKjPjN6thrust23THRUST_200600_302600_NS4plusIjEEEE10hipError_tPvRmT2_T3_mT4_P12ihipStream_tbEUlT_E_NS1_11comp_targetILNS1_3genE9ELNS1_11target_archE1100ELNS1_3gpuE3ELNS1_3repE0EEENS1_30default_config_static_selectorELNS0_4arch9wavefront6targetE0EEEvT1_
		.amdhsa_group_segment_fixed_size 14848
		.amdhsa_private_segment_fixed_size 0
		.amdhsa_kernarg_size 56
		.amdhsa_user_sgpr_count 15
		.amdhsa_user_sgpr_dispatch_ptr 0
		.amdhsa_user_sgpr_queue_ptr 0
		.amdhsa_user_sgpr_kernarg_segment_ptr 1
		.amdhsa_user_sgpr_dispatch_id 0
		.amdhsa_user_sgpr_private_segment_size 0
		.amdhsa_wavefront_size32 1
		.amdhsa_uses_dynamic_stack 0
		.amdhsa_enable_private_segment 0
		.amdhsa_system_sgpr_workgroup_id_x 1
		.amdhsa_system_sgpr_workgroup_id_y 0
		.amdhsa_system_sgpr_workgroup_id_z 0
		.amdhsa_system_sgpr_workgroup_info 0
		.amdhsa_system_vgpr_workitem_id 0
		.amdhsa_next_free_vgpr 64
		.amdhsa_next_free_sgpr 44
		.amdhsa_reserve_vcc 1
		.amdhsa_float_round_mode_32 0
		.amdhsa_float_round_mode_16_64 0
		.amdhsa_float_denorm_mode_32 3
		.amdhsa_float_denorm_mode_16_64 3
		.amdhsa_dx10_clamp 1
		.amdhsa_ieee_mode 1
		.amdhsa_fp16_overflow 0
		.amdhsa_workgroup_processor_mode 1
		.amdhsa_memory_ordered 1
		.amdhsa_forward_progress 0
		.amdhsa_shared_vgpr_count 0
		.amdhsa_exception_fp_ieee_invalid_op 0
		.amdhsa_exception_fp_denorm_src 0
		.amdhsa_exception_fp_ieee_div_zero 0
		.amdhsa_exception_fp_ieee_overflow 0
		.amdhsa_exception_fp_ieee_underflow 0
		.amdhsa_exception_fp_ieee_inexact 0
		.amdhsa_exception_int_div_zero 0
	.end_amdhsa_kernel
	.section	.text._ZN7rocprim17ROCPRIM_400000_NS6detail17trampoline_kernelINS0_14default_configENS1_35adjacent_difference_config_selectorILb1EjEEZNS1_24adjacent_difference_implIS3_Lb1ELb0EPKjPjN6thrust23THRUST_200600_302600_NS4plusIjEEEE10hipError_tPvRmT2_T3_mT4_P12ihipStream_tbEUlT_E_NS1_11comp_targetILNS1_3genE9ELNS1_11target_archE1100ELNS1_3gpuE3ELNS1_3repE0EEENS1_30default_config_static_selectorELNS0_4arch9wavefront6targetE0EEEvT1_,"axG",@progbits,_ZN7rocprim17ROCPRIM_400000_NS6detail17trampoline_kernelINS0_14default_configENS1_35adjacent_difference_config_selectorILb1EjEEZNS1_24adjacent_difference_implIS3_Lb1ELb0EPKjPjN6thrust23THRUST_200600_302600_NS4plusIjEEEE10hipError_tPvRmT2_T3_mT4_P12ihipStream_tbEUlT_E_NS1_11comp_targetILNS1_3genE9ELNS1_11target_archE1100ELNS1_3gpuE3ELNS1_3repE0EEENS1_30default_config_static_selectorELNS0_4arch9wavefront6targetE0EEEvT1_,comdat
.Lfunc_end671:
	.size	_ZN7rocprim17ROCPRIM_400000_NS6detail17trampoline_kernelINS0_14default_configENS1_35adjacent_difference_config_selectorILb1EjEEZNS1_24adjacent_difference_implIS3_Lb1ELb0EPKjPjN6thrust23THRUST_200600_302600_NS4plusIjEEEE10hipError_tPvRmT2_T3_mT4_P12ihipStream_tbEUlT_E_NS1_11comp_targetILNS1_3genE9ELNS1_11target_archE1100ELNS1_3gpuE3ELNS1_3repE0EEENS1_30default_config_static_selectorELNS0_4arch9wavefront6targetE0EEEvT1_, .Lfunc_end671-_ZN7rocprim17ROCPRIM_400000_NS6detail17trampoline_kernelINS0_14default_configENS1_35adjacent_difference_config_selectorILb1EjEEZNS1_24adjacent_difference_implIS3_Lb1ELb0EPKjPjN6thrust23THRUST_200600_302600_NS4plusIjEEEE10hipError_tPvRmT2_T3_mT4_P12ihipStream_tbEUlT_E_NS1_11comp_targetILNS1_3genE9ELNS1_11target_archE1100ELNS1_3gpuE3ELNS1_3repE0EEENS1_30default_config_static_selectorELNS0_4arch9wavefront6targetE0EEEvT1_
                                        ; -- End function
	.section	.AMDGPU.csdata,"",@progbits
; Kernel info:
; codeLenInByte = 7068
; NumSgprs: 46
; NumVgprs: 64
; ScratchSize: 0
; MemoryBound: 0
; FloatMode: 240
; IeeeMode: 1
; LDSByteSize: 14848 bytes/workgroup (compile time only)
; SGPRBlocks: 5
; VGPRBlocks: 7
; NumSGPRsForWavesPerEU: 46
; NumVGPRsForWavesPerEU: 64
; Occupancy: 8
; WaveLimiterHint : 1
; COMPUTE_PGM_RSRC2:SCRATCH_EN: 0
; COMPUTE_PGM_RSRC2:USER_SGPR: 15
; COMPUTE_PGM_RSRC2:TRAP_HANDLER: 0
; COMPUTE_PGM_RSRC2:TGID_X_EN: 1
; COMPUTE_PGM_RSRC2:TGID_Y_EN: 0
; COMPUTE_PGM_RSRC2:TGID_Z_EN: 0
; COMPUTE_PGM_RSRC2:TIDIG_COMP_CNT: 0
	.section	.text._ZN7rocprim17ROCPRIM_400000_NS6detail17trampoline_kernelINS0_14default_configENS1_35adjacent_difference_config_selectorILb1EjEEZNS1_24adjacent_difference_implIS3_Lb1ELb0EPKjPjN6thrust23THRUST_200600_302600_NS4plusIjEEEE10hipError_tPvRmT2_T3_mT4_P12ihipStream_tbEUlT_E_NS1_11comp_targetILNS1_3genE8ELNS1_11target_archE1030ELNS1_3gpuE2ELNS1_3repE0EEENS1_30default_config_static_selectorELNS0_4arch9wavefront6targetE0EEEvT1_,"axG",@progbits,_ZN7rocprim17ROCPRIM_400000_NS6detail17trampoline_kernelINS0_14default_configENS1_35adjacent_difference_config_selectorILb1EjEEZNS1_24adjacent_difference_implIS3_Lb1ELb0EPKjPjN6thrust23THRUST_200600_302600_NS4plusIjEEEE10hipError_tPvRmT2_T3_mT4_P12ihipStream_tbEUlT_E_NS1_11comp_targetILNS1_3genE8ELNS1_11target_archE1030ELNS1_3gpuE2ELNS1_3repE0EEENS1_30default_config_static_selectorELNS0_4arch9wavefront6targetE0EEEvT1_,comdat
	.protected	_ZN7rocprim17ROCPRIM_400000_NS6detail17trampoline_kernelINS0_14default_configENS1_35adjacent_difference_config_selectorILb1EjEEZNS1_24adjacent_difference_implIS3_Lb1ELb0EPKjPjN6thrust23THRUST_200600_302600_NS4plusIjEEEE10hipError_tPvRmT2_T3_mT4_P12ihipStream_tbEUlT_E_NS1_11comp_targetILNS1_3genE8ELNS1_11target_archE1030ELNS1_3gpuE2ELNS1_3repE0EEENS1_30default_config_static_selectorELNS0_4arch9wavefront6targetE0EEEvT1_ ; -- Begin function _ZN7rocprim17ROCPRIM_400000_NS6detail17trampoline_kernelINS0_14default_configENS1_35adjacent_difference_config_selectorILb1EjEEZNS1_24adjacent_difference_implIS3_Lb1ELb0EPKjPjN6thrust23THRUST_200600_302600_NS4plusIjEEEE10hipError_tPvRmT2_T3_mT4_P12ihipStream_tbEUlT_E_NS1_11comp_targetILNS1_3genE8ELNS1_11target_archE1030ELNS1_3gpuE2ELNS1_3repE0EEENS1_30default_config_static_selectorELNS0_4arch9wavefront6targetE0EEEvT1_
	.globl	_ZN7rocprim17ROCPRIM_400000_NS6detail17trampoline_kernelINS0_14default_configENS1_35adjacent_difference_config_selectorILb1EjEEZNS1_24adjacent_difference_implIS3_Lb1ELb0EPKjPjN6thrust23THRUST_200600_302600_NS4plusIjEEEE10hipError_tPvRmT2_T3_mT4_P12ihipStream_tbEUlT_E_NS1_11comp_targetILNS1_3genE8ELNS1_11target_archE1030ELNS1_3gpuE2ELNS1_3repE0EEENS1_30default_config_static_selectorELNS0_4arch9wavefront6targetE0EEEvT1_
	.p2align	8
	.type	_ZN7rocprim17ROCPRIM_400000_NS6detail17trampoline_kernelINS0_14default_configENS1_35adjacent_difference_config_selectorILb1EjEEZNS1_24adjacent_difference_implIS3_Lb1ELb0EPKjPjN6thrust23THRUST_200600_302600_NS4plusIjEEEE10hipError_tPvRmT2_T3_mT4_P12ihipStream_tbEUlT_E_NS1_11comp_targetILNS1_3genE8ELNS1_11target_archE1030ELNS1_3gpuE2ELNS1_3repE0EEENS1_30default_config_static_selectorELNS0_4arch9wavefront6targetE0EEEvT1_,@function
_ZN7rocprim17ROCPRIM_400000_NS6detail17trampoline_kernelINS0_14default_configENS1_35adjacent_difference_config_selectorILb1EjEEZNS1_24adjacent_difference_implIS3_Lb1ELb0EPKjPjN6thrust23THRUST_200600_302600_NS4plusIjEEEE10hipError_tPvRmT2_T3_mT4_P12ihipStream_tbEUlT_E_NS1_11comp_targetILNS1_3genE8ELNS1_11target_archE1030ELNS1_3gpuE2ELNS1_3repE0EEENS1_30default_config_static_selectorELNS0_4arch9wavefront6targetE0EEEvT1_: ; @_ZN7rocprim17ROCPRIM_400000_NS6detail17trampoline_kernelINS0_14default_configENS1_35adjacent_difference_config_selectorILb1EjEEZNS1_24adjacent_difference_implIS3_Lb1ELb0EPKjPjN6thrust23THRUST_200600_302600_NS4plusIjEEEE10hipError_tPvRmT2_T3_mT4_P12ihipStream_tbEUlT_E_NS1_11comp_targetILNS1_3genE8ELNS1_11target_archE1030ELNS1_3gpuE2ELNS1_3repE0EEENS1_30default_config_static_selectorELNS0_4arch9wavefront6targetE0EEEvT1_
; %bb.0:
	.section	.rodata,"a",@progbits
	.p2align	6, 0x0
	.amdhsa_kernel _ZN7rocprim17ROCPRIM_400000_NS6detail17trampoline_kernelINS0_14default_configENS1_35adjacent_difference_config_selectorILb1EjEEZNS1_24adjacent_difference_implIS3_Lb1ELb0EPKjPjN6thrust23THRUST_200600_302600_NS4plusIjEEEE10hipError_tPvRmT2_T3_mT4_P12ihipStream_tbEUlT_E_NS1_11comp_targetILNS1_3genE8ELNS1_11target_archE1030ELNS1_3gpuE2ELNS1_3repE0EEENS1_30default_config_static_selectorELNS0_4arch9wavefront6targetE0EEEvT1_
		.amdhsa_group_segment_fixed_size 0
		.amdhsa_private_segment_fixed_size 0
		.amdhsa_kernarg_size 56
		.amdhsa_user_sgpr_count 15
		.amdhsa_user_sgpr_dispatch_ptr 0
		.amdhsa_user_sgpr_queue_ptr 0
		.amdhsa_user_sgpr_kernarg_segment_ptr 1
		.amdhsa_user_sgpr_dispatch_id 0
		.amdhsa_user_sgpr_private_segment_size 0
		.amdhsa_wavefront_size32 1
		.amdhsa_uses_dynamic_stack 0
		.amdhsa_enable_private_segment 0
		.amdhsa_system_sgpr_workgroup_id_x 1
		.amdhsa_system_sgpr_workgroup_id_y 0
		.amdhsa_system_sgpr_workgroup_id_z 0
		.amdhsa_system_sgpr_workgroup_info 0
		.amdhsa_system_vgpr_workitem_id 0
		.amdhsa_next_free_vgpr 1
		.amdhsa_next_free_sgpr 1
		.amdhsa_reserve_vcc 0
		.amdhsa_float_round_mode_32 0
		.amdhsa_float_round_mode_16_64 0
		.amdhsa_float_denorm_mode_32 3
		.amdhsa_float_denorm_mode_16_64 3
		.amdhsa_dx10_clamp 1
		.amdhsa_ieee_mode 1
		.amdhsa_fp16_overflow 0
		.amdhsa_workgroup_processor_mode 1
		.amdhsa_memory_ordered 1
		.amdhsa_forward_progress 0
		.amdhsa_shared_vgpr_count 0
		.amdhsa_exception_fp_ieee_invalid_op 0
		.amdhsa_exception_fp_denorm_src 0
		.amdhsa_exception_fp_ieee_div_zero 0
		.amdhsa_exception_fp_ieee_overflow 0
		.amdhsa_exception_fp_ieee_underflow 0
		.amdhsa_exception_fp_ieee_inexact 0
		.amdhsa_exception_int_div_zero 0
	.end_amdhsa_kernel
	.section	.text._ZN7rocprim17ROCPRIM_400000_NS6detail17trampoline_kernelINS0_14default_configENS1_35adjacent_difference_config_selectorILb1EjEEZNS1_24adjacent_difference_implIS3_Lb1ELb0EPKjPjN6thrust23THRUST_200600_302600_NS4plusIjEEEE10hipError_tPvRmT2_T3_mT4_P12ihipStream_tbEUlT_E_NS1_11comp_targetILNS1_3genE8ELNS1_11target_archE1030ELNS1_3gpuE2ELNS1_3repE0EEENS1_30default_config_static_selectorELNS0_4arch9wavefront6targetE0EEEvT1_,"axG",@progbits,_ZN7rocprim17ROCPRIM_400000_NS6detail17trampoline_kernelINS0_14default_configENS1_35adjacent_difference_config_selectorILb1EjEEZNS1_24adjacent_difference_implIS3_Lb1ELb0EPKjPjN6thrust23THRUST_200600_302600_NS4plusIjEEEE10hipError_tPvRmT2_T3_mT4_P12ihipStream_tbEUlT_E_NS1_11comp_targetILNS1_3genE8ELNS1_11target_archE1030ELNS1_3gpuE2ELNS1_3repE0EEENS1_30default_config_static_selectorELNS0_4arch9wavefront6targetE0EEEvT1_,comdat
.Lfunc_end672:
	.size	_ZN7rocprim17ROCPRIM_400000_NS6detail17trampoline_kernelINS0_14default_configENS1_35adjacent_difference_config_selectorILb1EjEEZNS1_24adjacent_difference_implIS3_Lb1ELb0EPKjPjN6thrust23THRUST_200600_302600_NS4plusIjEEEE10hipError_tPvRmT2_T3_mT4_P12ihipStream_tbEUlT_E_NS1_11comp_targetILNS1_3genE8ELNS1_11target_archE1030ELNS1_3gpuE2ELNS1_3repE0EEENS1_30default_config_static_selectorELNS0_4arch9wavefront6targetE0EEEvT1_, .Lfunc_end672-_ZN7rocprim17ROCPRIM_400000_NS6detail17trampoline_kernelINS0_14default_configENS1_35adjacent_difference_config_selectorILb1EjEEZNS1_24adjacent_difference_implIS3_Lb1ELb0EPKjPjN6thrust23THRUST_200600_302600_NS4plusIjEEEE10hipError_tPvRmT2_T3_mT4_P12ihipStream_tbEUlT_E_NS1_11comp_targetILNS1_3genE8ELNS1_11target_archE1030ELNS1_3gpuE2ELNS1_3repE0EEENS1_30default_config_static_selectorELNS0_4arch9wavefront6targetE0EEEvT1_
                                        ; -- End function
	.section	.AMDGPU.csdata,"",@progbits
; Kernel info:
; codeLenInByte = 0
; NumSgprs: 0
; NumVgprs: 0
; ScratchSize: 0
; MemoryBound: 0
; FloatMode: 240
; IeeeMode: 1
; LDSByteSize: 0 bytes/workgroup (compile time only)
; SGPRBlocks: 0
; VGPRBlocks: 0
; NumSGPRsForWavesPerEU: 1
; NumVGPRsForWavesPerEU: 1
; Occupancy: 16
; WaveLimiterHint : 0
; COMPUTE_PGM_RSRC2:SCRATCH_EN: 0
; COMPUTE_PGM_RSRC2:USER_SGPR: 15
; COMPUTE_PGM_RSRC2:TRAP_HANDLER: 0
; COMPUTE_PGM_RSRC2:TGID_X_EN: 1
; COMPUTE_PGM_RSRC2:TGID_Y_EN: 0
; COMPUTE_PGM_RSRC2:TGID_Z_EN: 0
; COMPUTE_PGM_RSRC2:TIDIG_COMP_CNT: 0
	.section	.text._ZN7rocprim17ROCPRIM_400000_NS6detail17trampoline_kernelINS0_14default_configENS1_35adjacent_difference_config_selectorILb0EtEEZNS1_24adjacent_difference_implIS3_Lb0ELb0EPKtPtN6thrust23THRUST_200600_302600_NS4plusItEEEE10hipError_tPvRmT2_T3_mT4_P12ihipStream_tbEUlT_E_NS1_11comp_targetILNS1_3genE0ELNS1_11target_archE4294967295ELNS1_3gpuE0ELNS1_3repE0EEENS1_30default_config_static_selectorELNS0_4arch9wavefront6targetE0EEEvT1_,"axG",@progbits,_ZN7rocprim17ROCPRIM_400000_NS6detail17trampoline_kernelINS0_14default_configENS1_35adjacent_difference_config_selectorILb0EtEEZNS1_24adjacent_difference_implIS3_Lb0ELb0EPKtPtN6thrust23THRUST_200600_302600_NS4plusItEEEE10hipError_tPvRmT2_T3_mT4_P12ihipStream_tbEUlT_E_NS1_11comp_targetILNS1_3genE0ELNS1_11target_archE4294967295ELNS1_3gpuE0ELNS1_3repE0EEENS1_30default_config_static_selectorELNS0_4arch9wavefront6targetE0EEEvT1_,comdat
	.protected	_ZN7rocprim17ROCPRIM_400000_NS6detail17trampoline_kernelINS0_14default_configENS1_35adjacent_difference_config_selectorILb0EtEEZNS1_24adjacent_difference_implIS3_Lb0ELb0EPKtPtN6thrust23THRUST_200600_302600_NS4plusItEEEE10hipError_tPvRmT2_T3_mT4_P12ihipStream_tbEUlT_E_NS1_11comp_targetILNS1_3genE0ELNS1_11target_archE4294967295ELNS1_3gpuE0ELNS1_3repE0EEENS1_30default_config_static_selectorELNS0_4arch9wavefront6targetE0EEEvT1_ ; -- Begin function _ZN7rocprim17ROCPRIM_400000_NS6detail17trampoline_kernelINS0_14default_configENS1_35adjacent_difference_config_selectorILb0EtEEZNS1_24adjacent_difference_implIS3_Lb0ELb0EPKtPtN6thrust23THRUST_200600_302600_NS4plusItEEEE10hipError_tPvRmT2_T3_mT4_P12ihipStream_tbEUlT_E_NS1_11comp_targetILNS1_3genE0ELNS1_11target_archE4294967295ELNS1_3gpuE0ELNS1_3repE0EEENS1_30default_config_static_selectorELNS0_4arch9wavefront6targetE0EEEvT1_
	.globl	_ZN7rocprim17ROCPRIM_400000_NS6detail17trampoline_kernelINS0_14default_configENS1_35adjacent_difference_config_selectorILb0EtEEZNS1_24adjacent_difference_implIS3_Lb0ELb0EPKtPtN6thrust23THRUST_200600_302600_NS4plusItEEEE10hipError_tPvRmT2_T3_mT4_P12ihipStream_tbEUlT_E_NS1_11comp_targetILNS1_3genE0ELNS1_11target_archE4294967295ELNS1_3gpuE0ELNS1_3repE0EEENS1_30default_config_static_selectorELNS0_4arch9wavefront6targetE0EEEvT1_
	.p2align	8
	.type	_ZN7rocprim17ROCPRIM_400000_NS6detail17trampoline_kernelINS0_14default_configENS1_35adjacent_difference_config_selectorILb0EtEEZNS1_24adjacent_difference_implIS3_Lb0ELb0EPKtPtN6thrust23THRUST_200600_302600_NS4plusItEEEE10hipError_tPvRmT2_T3_mT4_P12ihipStream_tbEUlT_E_NS1_11comp_targetILNS1_3genE0ELNS1_11target_archE4294967295ELNS1_3gpuE0ELNS1_3repE0EEENS1_30default_config_static_selectorELNS0_4arch9wavefront6targetE0EEEvT1_,@function
_ZN7rocprim17ROCPRIM_400000_NS6detail17trampoline_kernelINS0_14default_configENS1_35adjacent_difference_config_selectorILb0EtEEZNS1_24adjacent_difference_implIS3_Lb0ELb0EPKtPtN6thrust23THRUST_200600_302600_NS4plusItEEEE10hipError_tPvRmT2_T3_mT4_P12ihipStream_tbEUlT_E_NS1_11comp_targetILNS1_3genE0ELNS1_11target_archE4294967295ELNS1_3gpuE0ELNS1_3repE0EEENS1_30default_config_static_selectorELNS0_4arch9wavefront6targetE0EEEvT1_: ; @_ZN7rocprim17ROCPRIM_400000_NS6detail17trampoline_kernelINS0_14default_configENS1_35adjacent_difference_config_selectorILb0EtEEZNS1_24adjacent_difference_implIS3_Lb0ELb0EPKtPtN6thrust23THRUST_200600_302600_NS4plusItEEEE10hipError_tPvRmT2_T3_mT4_P12ihipStream_tbEUlT_E_NS1_11comp_targetILNS1_3genE0ELNS1_11target_archE4294967295ELNS1_3gpuE0ELNS1_3repE0EEENS1_30default_config_static_selectorELNS0_4arch9wavefront6targetE0EEEvT1_
; %bb.0:
	.section	.rodata,"a",@progbits
	.p2align	6, 0x0
	.amdhsa_kernel _ZN7rocprim17ROCPRIM_400000_NS6detail17trampoline_kernelINS0_14default_configENS1_35adjacent_difference_config_selectorILb0EtEEZNS1_24adjacent_difference_implIS3_Lb0ELb0EPKtPtN6thrust23THRUST_200600_302600_NS4plusItEEEE10hipError_tPvRmT2_T3_mT4_P12ihipStream_tbEUlT_E_NS1_11comp_targetILNS1_3genE0ELNS1_11target_archE4294967295ELNS1_3gpuE0ELNS1_3repE0EEENS1_30default_config_static_selectorELNS0_4arch9wavefront6targetE0EEEvT1_
		.amdhsa_group_segment_fixed_size 0
		.amdhsa_private_segment_fixed_size 0
		.amdhsa_kernarg_size 56
		.amdhsa_user_sgpr_count 15
		.amdhsa_user_sgpr_dispatch_ptr 0
		.amdhsa_user_sgpr_queue_ptr 0
		.amdhsa_user_sgpr_kernarg_segment_ptr 1
		.amdhsa_user_sgpr_dispatch_id 0
		.amdhsa_user_sgpr_private_segment_size 0
		.amdhsa_wavefront_size32 1
		.amdhsa_uses_dynamic_stack 0
		.amdhsa_enable_private_segment 0
		.amdhsa_system_sgpr_workgroup_id_x 1
		.amdhsa_system_sgpr_workgroup_id_y 0
		.amdhsa_system_sgpr_workgroup_id_z 0
		.amdhsa_system_sgpr_workgroup_info 0
		.amdhsa_system_vgpr_workitem_id 0
		.amdhsa_next_free_vgpr 1
		.amdhsa_next_free_sgpr 1
		.amdhsa_reserve_vcc 0
		.amdhsa_float_round_mode_32 0
		.amdhsa_float_round_mode_16_64 0
		.amdhsa_float_denorm_mode_32 3
		.amdhsa_float_denorm_mode_16_64 3
		.amdhsa_dx10_clamp 1
		.amdhsa_ieee_mode 1
		.amdhsa_fp16_overflow 0
		.amdhsa_workgroup_processor_mode 1
		.amdhsa_memory_ordered 1
		.amdhsa_forward_progress 0
		.amdhsa_shared_vgpr_count 0
		.amdhsa_exception_fp_ieee_invalid_op 0
		.amdhsa_exception_fp_denorm_src 0
		.amdhsa_exception_fp_ieee_div_zero 0
		.amdhsa_exception_fp_ieee_overflow 0
		.amdhsa_exception_fp_ieee_underflow 0
		.amdhsa_exception_fp_ieee_inexact 0
		.amdhsa_exception_int_div_zero 0
	.end_amdhsa_kernel
	.section	.text._ZN7rocprim17ROCPRIM_400000_NS6detail17trampoline_kernelINS0_14default_configENS1_35adjacent_difference_config_selectorILb0EtEEZNS1_24adjacent_difference_implIS3_Lb0ELb0EPKtPtN6thrust23THRUST_200600_302600_NS4plusItEEEE10hipError_tPvRmT2_T3_mT4_P12ihipStream_tbEUlT_E_NS1_11comp_targetILNS1_3genE0ELNS1_11target_archE4294967295ELNS1_3gpuE0ELNS1_3repE0EEENS1_30default_config_static_selectorELNS0_4arch9wavefront6targetE0EEEvT1_,"axG",@progbits,_ZN7rocprim17ROCPRIM_400000_NS6detail17trampoline_kernelINS0_14default_configENS1_35adjacent_difference_config_selectorILb0EtEEZNS1_24adjacent_difference_implIS3_Lb0ELb0EPKtPtN6thrust23THRUST_200600_302600_NS4plusItEEEE10hipError_tPvRmT2_T3_mT4_P12ihipStream_tbEUlT_E_NS1_11comp_targetILNS1_3genE0ELNS1_11target_archE4294967295ELNS1_3gpuE0ELNS1_3repE0EEENS1_30default_config_static_selectorELNS0_4arch9wavefront6targetE0EEEvT1_,comdat
.Lfunc_end673:
	.size	_ZN7rocprim17ROCPRIM_400000_NS6detail17trampoline_kernelINS0_14default_configENS1_35adjacent_difference_config_selectorILb0EtEEZNS1_24adjacent_difference_implIS3_Lb0ELb0EPKtPtN6thrust23THRUST_200600_302600_NS4plusItEEEE10hipError_tPvRmT2_T3_mT4_P12ihipStream_tbEUlT_E_NS1_11comp_targetILNS1_3genE0ELNS1_11target_archE4294967295ELNS1_3gpuE0ELNS1_3repE0EEENS1_30default_config_static_selectorELNS0_4arch9wavefront6targetE0EEEvT1_, .Lfunc_end673-_ZN7rocprim17ROCPRIM_400000_NS6detail17trampoline_kernelINS0_14default_configENS1_35adjacent_difference_config_selectorILb0EtEEZNS1_24adjacent_difference_implIS3_Lb0ELb0EPKtPtN6thrust23THRUST_200600_302600_NS4plusItEEEE10hipError_tPvRmT2_T3_mT4_P12ihipStream_tbEUlT_E_NS1_11comp_targetILNS1_3genE0ELNS1_11target_archE4294967295ELNS1_3gpuE0ELNS1_3repE0EEENS1_30default_config_static_selectorELNS0_4arch9wavefront6targetE0EEEvT1_
                                        ; -- End function
	.section	.AMDGPU.csdata,"",@progbits
; Kernel info:
; codeLenInByte = 0
; NumSgprs: 0
; NumVgprs: 0
; ScratchSize: 0
; MemoryBound: 0
; FloatMode: 240
; IeeeMode: 1
; LDSByteSize: 0 bytes/workgroup (compile time only)
; SGPRBlocks: 0
; VGPRBlocks: 0
; NumSGPRsForWavesPerEU: 1
; NumVGPRsForWavesPerEU: 1
; Occupancy: 16
; WaveLimiterHint : 0
; COMPUTE_PGM_RSRC2:SCRATCH_EN: 0
; COMPUTE_PGM_RSRC2:USER_SGPR: 15
; COMPUTE_PGM_RSRC2:TRAP_HANDLER: 0
; COMPUTE_PGM_RSRC2:TGID_X_EN: 1
; COMPUTE_PGM_RSRC2:TGID_Y_EN: 0
; COMPUTE_PGM_RSRC2:TGID_Z_EN: 0
; COMPUTE_PGM_RSRC2:TIDIG_COMP_CNT: 0
	.section	.text._ZN7rocprim17ROCPRIM_400000_NS6detail17trampoline_kernelINS0_14default_configENS1_35adjacent_difference_config_selectorILb0EtEEZNS1_24adjacent_difference_implIS3_Lb0ELb0EPKtPtN6thrust23THRUST_200600_302600_NS4plusItEEEE10hipError_tPvRmT2_T3_mT4_P12ihipStream_tbEUlT_E_NS1_11comp_targetILNS1_3genE10ELNS1_11target_archE1201ELNS1_3gpuE5ELNS1_3repE0EEENS1_30default_config_static_selectorELNS0_4arch9wavefront6targetE0EEEvT1_,"axG",@progbits,_ZN7rocprim17ROCPRIM_400000_NS6detail17trampoline_kernelINS0_14default_configENS1_35adjacent_difference_config_selectorILb0EtEEZNS1_24adjacent_difference_implIS3_Lb0ELb0EPKtPtN6thrust23THRUST_200600_302600_NS4plusItEEEE10hipError_tPvRmT2_T3_mT4_P12ihipStream_tbEUlT_E_NS1_11comp_targetILNS1_3genE10ELNS1_11target_archE1201ELNS1_3gpuE5ELNS1_3repE0EEENS1_30default_config_static_selectorELNS0_4arch9wavefront6targetE0EEEvT1_,comdat
	.protected	_ZN7rocprim17ROCPRIM_400000_NS6detail17trampoline_kernelINS0_14default_configENS1_35adjacent_difference_config_selectorILb0EtEEZNS1_24adjacent_difference_implIS3_Lb0ELb0EPKtPtN6thrust23THRUST_200600_302600_NS4plusItEEEE10hipError_tPvRmT2_T3_mT4_P12ihipStream_tbEUlT_E_NS1_11comp_targetILNS1_3genE10ELNS1_11target_archE1201ELNS1_3gpuE5ELNS1_3repE0EEENS1_30default_config_static_selectorELNS0_4arch9wavefront6targetE0EEEvT1_ ; -- Begin function _ZN7rocprim17ROCPRIM_400000_NS6detail17trampoline_kernelINS0_14default_configENS1_35adjacent_difference_config_selectorILb0EtEEZNS1_24adjacent_difference_implIS3_Lb0ELb0EPKtPtN6thrust23THRUST_200600_302600_NS4plusItEEEE10hipError_tPvRmT2_T3_mT4_P12ihipStream_tbEUlT_E_NS1_11comp_targetILNS1_3genE10ELNS1_11target_archE1201ELNS1_3gpuE5ELNS1_3repE0EEENS1_30default_config_static_selectorELNS0_4arch9wavefront6targetE0EEEvT1_
	.globl	_ZN7rocprim17ROCPRIM_400000_NS6detail17trampoline_kernelINS0_14default_configENS1_35adjacent_difference_config_selectorILb0EtEEZNS1_24adjacent_difference_implIS3_Lb0ELb0EPKtPtN6thrust23THRUST_200600_302600_NS4plusItEEEE10hipError_tPvRmT2_T3_mT4_P12ihipStream_tbEUlT_E_NS1_11comp_targetILNS1_3genE10ELNS1_11target_archE1201ELNS1_3gpuE5ELNS1_3repE0EEENS1_30default_config_static_selectorELNS0_4arch9wavefront6targetE0EEEvT1_
	.p2align	8
	.type	_ZN7rocprim17ROCPRIM_400000_NS6detail17trampoline_kernelINS0_14default_configENS1_35adjacent_difference_config_selectorILb0EtEEZNS1_24adjacent_difference_implIS3_Lb0ELb0EPKtPtN6thrust23THRUST_200600_302600_NS4plusItEEEE10hipError_tPvRmT2_T3_mT4_P12ihipStream_tbEUlT_E_NS1_11comp_targetILNS1_3genE10ELNS1_11target_archE1201ELNS1_3gpuE5ELNS1_3repE0EEENS1_30default_config_static_selectorELNS0_4arch9wavefront6targetE0EEEvT1_,@function
_ZN7rocprim17ROCPRIM_400000_NS6detail17trampoline_kernelINS0_14default_configENS1_35adjacent_difference_config_selectorILb0EtEEZNS1_24adjacent_difference_implIS3_Lb0ELb0EPKtPtN6thrust23THRUST_200600_302600_NS4plusItEEEE10hipError_tPvRmT2_T3_mT4_P12ihipStream_tbEUlT_E_NS1_11comp_targetILNS1_3genE10ELNS1_11target_archE1201ELNS1_3gpuE5ELNS1_3repE0EEENS1_30default_config_static_selectorELNS0_4arch9wavefront6targetE0EEEvT1_: ; @_ZN7rocprim17ROCPRIM_400000_NS6detail17trampoline_kernelINS0_14default_configENS1_35adjacent_difference_config_selectorILb0EtEEZNS1_24adjacent_difference_implIS3_Lb0ELb0EPKtPtN6thrust23THRUST_200600_302600_NS4plusItEEEE10hipError_tPvRmT2_T3_mT4_P12ihipStream_tbEUlT_E_NS1_11comp_targetILNS1_3genE10ELNS1_11target_archE1201ELNS1_3gpuE5ELNS1_3repE0EEENS1_30default_config_static_selectorELNS0_4arch9wavefront6targetE0EEEvT1_
; %bb.0:
	.section	.rodata,"a",@progbits
	.p2align	6, 0x0
	.amdhsa_kernel _ZN7rocprim17ROCPRIM_400000_NS6detail17trampoline_kernelINS0_14default_configENS1_35adjacent_difference_config_selectorILb0EtEEZNS1_24adjacent_difference_implIS3_Lb0ELb0EPKtPtN6thrust23THRUST_200600_302600_NS4plusItEEEE10hipError_tPvRmT2_T3_mT4_P12ihipStream_tbEUlT_E_NS1_11comp_targetILNS1_3genE10ELNS1_11target_archE1201ELNS1_3gpuE5ELNS1_3repE0EEENS1_30default_config_static_selectorELNS0_4arch9wavefront6targetE0EEEvT1_
		.amdhsa_group_segment_fixed_size 0
		.amdhsa_private_segment_fixed_size 0
		.amdhsa_kernarg_size 56
		.amdhsa_user_sgpr_count 15
		.amdhsa_user_sgpr_dispatch_ptr 0
		.amdhsa_user_sgpr_queue_ptr 0
		.amdhsa_user_sgpr_kernarg_segment_ptr 1
		.amdhsa_user_sgpr_dispatch_id 0
		.amdhsa_user_sgpr_private_segment_size 0
		.amdhsa_wavefront_size32 1
		.amdhsa_uses_dynamic_stack 0
		.amdhsa_enable_private_segment 0
		.amdhsa_system_sgpr_workgroup_id_x 1
		.amdhsa_system_sgpr_workgroup_id_y 0
		.amdhsa_system_sgpr_workgroup_id_z 0
		.amdhsa_system_sgpr_workgroup_info 0
		.amdhsa_system_vgpr_workitem_id 0
		.amdhsa_next_free_vgpr 1
		.amdhsa_next_free_sgpr 1
		.amdhsa_reserve_vcc 0
		.amdhsa_float_round_mode_32 0
		.amdhsa_float_round_mode_16_64 0
		.amdhsa_float_denorm_mode_32 3
		.amdhsa_float_denorm_mode_16_64 3
		.amdhsa_dx10_clamp 1
		.amdhsa_ieee_mode 1
		.amdhsa_fp16_overflow 0
		.amdhsa_workgroup_processor_mode 1
		.amdhsa_memory_ordered 1
		.amdhsa_forward_progress 0
		.amdhsa_shared_vgpr_count 0
		.amdhsa_exception_fp_ieee_invalid_op 0
		.amdhsa_exception_fp_denorm_src 0
		.amdhsa_exception_fp_ieee_div_zero 0
		.amdhsa_exception_fp_ieee_overflow 0
		.amdhsa_exception_fp_ieee_underflow 0
		.amdhsa_exception_fp_ieee_inexact 0
		.amdhsa_exception_int_div_zero 0
	.end_amdhsa_kernel
	.section	.text._ZN7rocprim17ROCPRIM_400000_NS6detail17trampoline_kernelINS0_14default_configENS1_35adjacent_difference_config_selectorILb0EtEEZNS1_24adjacent_difference_implIS3_Lb0ELb0EPKtPtN6thrust23THRUST_200600_302600_NS4plusItEEEE10hipError_tPvRmT2_T3_mT4_P12ihipStream_tbEUlT_E_NS1_11comp_targetILNS1_3genE10ELNS1_11target_archE1201ELNS1_3gpuE5ELNS1_3repE0EEENS1_30default_config_static_selectorELNS0_4arch9wavefront6targetE0EEEvT1_,"axG",@progbits,_ZN7rocprim17ROCPRIM_400000_NS6detail17trampoline_kernelINS0_14default_configENS1_35adjacent_difference_config_selectorILb0EtEEZNS1_24adjacent_difference_implIS3_Lb0ELb0EPKtPtN6thrust23THRUST_200600_302600_NS4plusItEEEE10hipError_tPvRmT2_T3_mT4_P12ihipStream_tbEUlT_E_NS1_11comp_targetILNS1_3genE10ELNS1_11target_archE1201ELNS1_3gpuE5ELNS1_3repE0EEENS1_30default_config_static_selectorELNS0_4arch9wavefront6targetE0EEEvT1_,comdat
.Lfunc_end674:
	.size	_ZN7rocprim17ROCPRIM_400000_NS6detail17trampoline_kernelINS0_14default_configENS1_35adjacent_difference_config_selectorILb0EtEEZNS1_24adjacent_difference_implIS3_Lb0ELb0EPKtPtN6thrust23THRUST_200600_302600_NS4plusItEEEE10hipError_tPvRmT2_T3_mT4_P12ihipStream_tbEUlT_E_NS1_11comp_targetILNS1_3genE10ELNS1_11target_archE1201ELNS1_3gpuE5ELNS1_3repE0EEENS1_30default_config_static_selectorELNS0_4arch9wavefront6targetE0EEEvT1_, .Lfunc_end674-_ZN7rocprim17ROCPRIM_400000_NS6detail17trampoline_kernelINS0_14default_configENS1_35adjacent_difference_config_selectorILb0EtEEZNS1_24adjacent_difference_implIS3_Lb0ELb0EPKtPtN6thrust23THRUST_200600_302600_NS4plusItEEEE10hipError_tPvRmT2_T3_mT4_P12ihipStream_tbEUlT_E_NS1_11comp_targetILNS1_3genE10ELNS1_11target_archE1201ELNS1_3gpuE5ELNS1_3repE0EEENS1_30default_config_static_selectorELNS0_4arch9wavefront6targetE0EEEvT1_
                                        ; -- End function
	.section	.AMDGPU.csdata,"",@progbits
; Kernel info:
; codeLenInByte = 0
; NumSgprs: 0
; NumVgprs: 0
; ScratchSize: 0
; MemoryBound: 0
; FloatMode: 240
; IeeeMode: 1
; LDSByteSize: 0 bytes/workgroup (compile time only)
; SGPRBlocks: 0
; VGPRBlocks: 0
; NumSGPRsForWavesPerEU: 1
; NumVGPRsForWavesPerEU: 1
; Occupancy: 16
; WaveLimiterHint : 0
; COMPUTE_PGM_RSRC2:SCRATCH_EN: 0
; COMPUTE_PGM_RSRC2:USER_SGPR: 15
; COMPUTE_PGM_RSRC2:TRAP_HANDLER: 0
; COMPUTE_PGM_RSRC2:TGID_X_EN: 1
; COMPUTE_PGM_RSRC2:TGID_Y_EN: 0
; COMPUTE_PGM_RSRC2:TGID_Z_EN: 0
; COMPUTE_PGM_RSRC2:TIDIG_COMP_CNT: 0
	.section	.text._ZN7rocprim17ROCPRIM_400000_NS6detail17trampoline_kernelINS0_14default_configENS1_35adjacent_difference_config_selectorILb0EtEEZNS1_24adjacent_difference_implIS3_Lb0ELb0EPKtPtN6thrust23THRUST_200600_302600_NS4plusItEEEE10hipError_tPvRmT2_T3_mT4_P12ihipStream_tbEUlT_E_NS1_11comp_targetILNS1_3genE5ELNS1_11target_archE942ELNS1_3gpuE9ELNS1_3repE0EEENS1_30default_config_static_selectorELNS0_4arch9wavefront6targetE0EEEvT1_,"axG",@progbits,_ZN7rocprim17ROCPRIM_400000_NS6detail17trampoline_kernelINS0_14default_configENS1_35adjacent_difference_config_selectorILb0EtEEZNS1_24adjacent_difference_implIS3_Lb0ELb0EPKtPtN6thrust23THRUST_200600_302600_NS4plusItEEEE10hipError_tPvRmT2_T3_mT4_P12ihipStream_tbEUlT_E_NS1_11comp_targetILNS1_3genE5ELNS1_11target_archE942ELNS1_3gpuE9ELNS1_3repE0EEENS1_30default_config_static_selectorELNS0_4arch9wavefront6targetE0EEEvT1_,comdat
	.protected	_ZN7rocprim17ROCPRIM_400000_NS6detail17trampoline_kernelINS0_14default_configENS1_35adjacent_difference_config_selectorILb0EtEEZNS1_24adjacent_difference_implIS3_Lb0ELb0EPKtPtN6thrust23THRUST_200600_302600_NS4plusItEEEE10hipError_tPvRmT2_T3_mT4_P12ihipStream_tbEUlT_E_NS1_11comp_targetILNS1_3genE5ELNS1_11target_archE942ELNS1_3gpuE9ELNS1_3repE0EEENS1_30default_config_static_selectorELNS0_4arch9wavefront6targetE0EEEvT1_ ; -- Begin function _ZN7rocprim17ROCPRIM_400000_NS6detail17trampoline_kernelINS0_14default_configENS1_35adjacent_difference_config_selectorILb0EtEEZNS1_24adjacent_difference_implIS3_Lb0ELb0EPKtPtN6thrust23THRUST_200600_302600_NS4plusItEEEE10hipError_tPvRmT2_T3_mT4_P12ihipStream_tbEUlT_E_NS1_11comp_targetILNS1_3genE5ELNS1_11target_archE942ELNS1_3gpuE9ELNS1_3repE0EEENS1_30default_config_static_selectorELNS0_4arch9wavefront6targetE0EEEvT1_
	.globl	_ZN7rocprim17ROCPRIM_400000_NS6detail17trampoline_kernelINS0_14default_configENS1_35adjacent_difference_config_selectorILb0EtEEZNS1_24adjacent_difference_implIS3_Lb0ELb0EPKtPtN6thrust23THRUST_200600_302600_NS4plusItEEEE10hipError_tPvRmT2_T3_mT4_P12ihipStream_tbEUlT_E_NS1_11comp_targetILNS1_3genE5ELNS1_11target_archE942ELNS1_3gpuE9ELNS1_3repE0EEENS1_30default_config_static_selectorELNS0_4arch9wavefront6targetE0EEEvT1_
	.p2align	8
	.type	_ZN7rocprim17ROCPRIM_400000_NS6detail17trampoline_kernelINS0_14default_configENS1_35adjacent_difference_config_selectorILb0EtEEZNS1_24adjacent_difference_implIS3_Lb0ELb0EPKtPtN6thrust23THRUST_200600_302600_NS4plusItEEEE10hipError_tPvRmT2_T3_mT4_P12ihipStream_tbEUlT_E_NS1_11comp_targetILNS1_3genE5ELNS1_11target_archE942ELNS1_3gpuE9ELNS1_3repE0EEENS1_30default_config_static_selectorELNS0_4arch9wavefront6targetE0EEEvT1_,@function
_ZN7rocprim17ROCPRIM_400000_NS6detail17trampoline_kernelINS0_14default_configENS1_35adjacent_difference_config_selectorILb0EtEEZNS1_24adjacent_difference_implIS3_Lb0ELb0EPKtPtN6thrust23THRUST_200600_302600_NS4plusItEEEE10hipError_tPvRmT2_T3_mT4_P12ihipStream_tbEUlT_E_NS1_11comp_targetILNS1_3genE5ELNS1_11target_archE942ELNS1_3gpuE9ELNS1_3repE0EEENS1_30default_config_static_selectorELNS0_4arch9wavefront6targetE0EEEvT1_: ; @_ZN7rocprim17ROCPRIM_400000_NS6detail17trampoline_kernelINS0_14default_configENS1_35adjacent_difference_config_selectorILb0EtEEZNS1_24adjacent_difference_implIS3_Lb0ELb0EPKtPtN6thrust23THRUST_200600_302600_NS4plusItEEEE10hipError_tPvRmT2_T3_mT4_P12ihipStream_tbEUlT_E_NS1_11comp_targetILNS1_3genE5ELNS1_11target_archE942ELNS1_3gpuE9ELNS1_3repE0EEENS1_30default_config_static_selectorELNS0_4arch9wavefront6targetE0EEEvT1_
; %bb.0:
	.section	.rodata,"a",@progbits
	.p2align	6, 0x0
	.amdhsa_kernel _ZN7rocprim17ROCPRIM_400000_NS6detail17trampoline_kernelINS0_14default_configENS1_35adjacent_difference_config_selectorILb0EtEEZNS1_24adjacent_difference_implIS3_Lb0ELb0EPKtPtN6thrust23THRUST_200600_302600_NS4plusItEEEE10hipError_tPvRmT2_T3_mT4_P12ihipStream_tbEUlT_E_NS1_11comp_targetILNS1_3genE5ELNS1_11target_archE942ELNS1_3gpuE9ELNS1_3repE0EEENS1_30default_config_static_selectorELNS0_4arch9wavefront6targetE0EEEvT1_
		.amdhsa_group_segment_fixed_size 0
		.amdhsa_private_segment_fixed_size 0
		.amdhsa_kernarg_size 56
		.amdhsa_user_sgpr_count 15
		.amdhsa_user_sgpr_dispatch_ptr 0
		.amdhsa_user_sgpr_queue_ptr 0
		.amdhsa_user_sgpr_kernarg_segment_ptr 1
		.amdhsa_user_sgpr_dispatch_id 0
		.amdhsa_user_sgpr_private_segment_size 0
		.amdhsa_wavefront_size32 1
		.amdhsa_uses_dynamic_stack 0
		.amdhsa_enable_private_segment 0
		.amdhsa_system_sgpr_workgroup_id_x 1
		.amdhsa_system_sgpr_workgroup_id_y 0
		.amdhsa_system_sgpr_workgroup_id_z 0
		.amdhsa_system_sgpr_workgroup_info 0
		.amdhsa_system_vgpr_workitem_id 0
		.amdhsa_next_free_vgpr 1
		.amdhsa_next_free_sgpr 1
		.amdhsa_reserve_vcc 0
		.amdhsa_float_round_mode_32 0
		.amdhsa_float_round_mode_16_64 0
		.amdhsa_float_denorm_mode_32 3
		.amdhsa_float_denorm_mode_16_64 3
		.amdhsa_dx10_clamp 1
		.amdhsa_ieee_mode 1
		.amdhsa_fp16_overflow 0
		.amdhsa_workgroup_processor_mode 1
		.amdhsa_memory_ordered 1
		.amdhsa_forward_progress 0
		.amdhsa_shared_vgpr_count 0
		.amdhsa_exception_fp_ieee_invalid_op 0
		.amdhsa_exception_fp_denorm_src 0
		.amdhsa_exception_fp_ieee_div_zero 0
		.amdhsa_exception_fp_ieee_overflow 0
		.amdhsa_exception_fp_ieee_underflow 0
		.amdhsa_exception_fp_ieee_inexact 0
		.amdhsa_exception_int_div_zero 0
	.end_amdhsa_kernel
	.section	.text._ZN7rocprim17ROCPRIM_400000_NS6detail17trampoline_kernelINS0_14default_configENS1_35adjacent_difference_config_selectorILb0EtEEZNS1_24adjacent_difference_implIS3_Lb0ELb0EPKtPtN6thrust23THRUST_200600_302600_NS4plusItEEEE10hipError_tPvRmT2_T3_mT4_P12ihipStream_tbEUlT_E_NS1_11comp_targetILNS1_3genE5ELNS1_11target_archE942ELNS1_3gpuE9ELNS1_3repE0EEENS1_30default_config_static_selectorELNS0_4arch9wavefront6targetE0EEEvT1_,"axG",@progbits,_ZN7rocprim17ROCPRIM_400000_NS6detail17trampoline_kernelINS0_14default_configENS1_35adjacent_difference_config_selectorILb0EtEEZNS1_24adjacent_difference_implIS3_Lb0ELb0EPKtPtN6thrust23THRUST_200600_302600_NS4plusItEEEE10hipError_tPvRmT2_T3_mT4_P12ihipStream_tbEUlT_E_NS1_11comp_targetILNS1_3genE5ELNS1_11target_archE942ELNS1_3gpuE9ELNS1_3repE0EEENS1_30default_config_static_selectorELNS0_4arch9wavefront6targetE0EEEvT1_,comdat
.Lfunc_end675:
	.size	_ZN7rocprim17ROCPRIM_400000_NS6detail17trampoline_kernelINS0_14default_configENS1_35adjacent_difference_config_selectorILb0EtEEZNS1_24adjacent_difference_implIS3_Lb0ELb0EPKtPtN6thrust23THRUST_200600_302600_NS4plusItEEEE10hipError_tPvRmT2_T3_mT4_P12ihipStream_tbEUlT_E_NS1_11comp_targetILNS1_3genE5ELNS1_11target_archE942ELNS1_3gpuE9ELNS1_3repE0EEENS1_30default_config_static_selectorELNS0_4arch9wavefront6targetE0EEEvT1_, .Lfunc_end675-_ZN7rocprim17ROCPRIM_400000_NS6detail17trampoline_kernelINS0_14default_configENS1_35adjacent_difference_config_selectorILb0EtEEZNS1_24adjacent_difference_implIS3_Lb0ELb0EPKtPtN6thrust23THRUST_200600_302600_NS4plusItEEEE10hipError_tPvRmT2_T3_mT4_P12ihipStream_tbEUlT_E_NS1_11comp_targetILNS1_3genE5ELNS1_11target_archE942ELNS1_3gpuE9ELNS1_3repE0EEENS1_30default_config_static_selectorELNS0_4arch9wavefront6targetE0EEEvT1_
                                        ; -- End function
	.section	.AMDGPU.csdata,"",@progbits
; Kernel info:
; codeLenInByte = 0
; NumSgprs: 0
; NumVgprs: 0
; ScratchSize: 0
; MemoryBound: 0
; FloatMode: 240
; IeeeMode: 1
; LDSByteSize: 0 bytes/workgroup (compile time only)
; SGPRBlocks: 0
; VGPRBlocks: 0
; NumSGPRsForWavesPerEU: 1
; NumVGPRsForWavesPerEU: 1
; Occupancy: 16
; WaveLimiterHint : 0
; COMPUTE_PGM_RSRC2:SCRATCH_EN: 0
; COMPUTE_PGM_RSRC2:USER_SGPR: 15
; COMPUTE_PGM_RSRC2:TRAP_HANDLER: 0
; COMPUTE_PGM_RSRC2:TGID_X_EN: 1
; COMPUTE_PGM_RSRC2:TGID_Y_EN: 0
; COMPUTE_PGM_RSRC2:TGID_Z_EN: 0
; COMPUTE_PGM_RSRC2:TIDIG_COMP_CNT: 0
	.section	.text._ZN7rocprim17ROCPRIM_400000_NS6detail17trampoline_kernelINS0_14default_configENS1_35adjacent_difference_config_selectorILb0EtEEZNS1_24adjacent_difference_implIS3_Lb0ELb0EPKtPtN6thrust23THRUST_200600_302600_NS4plusItEEEE10hipError_tPvRmT2_T3_mT4_P12ihipStream_tbEUlT_E_NS1_11comp_targetILNS1_3genE4ELNS1_11target_archE910ELNS1_3gpuE8ELNS1_3repE0EEENS1_30default_config_static_selectorELNS0_4arch9wavefront6targetE0EEEvT1_,"axG",@progbits,_ZN7rocprim17ROCPRIM_400000_NS6detail17trampoline_kernelINS0_14default_configENS1_35adjacent_difference_config_selectorILb0EtEEZNS1_24adjacent_difference_implIS3_Lb0ELb0EPKtPtN6thrust23THRUST_200600_302600_NS4plusItEEEE10hipError_tPvRmT2_T3_mT4_P12ihipStream_tbEUlT_E_NS1_11comp_targetILNS1_3genE4ELNS1_11target_archE910ELNS1_3gpuE8ELNS1_3repE0EEENS1_30default_config_static_selectorELNS0_4arch9wavefront6targetE0EEEvT1_,comdat
	.protected	_ZN7rocprim17ROCPRIM_400000_NS6detail17trampoline_kernelINS0_14default_configENS1_35adjacent_difference_config_selectorILb0EtEEZNS1_24adjacent_difference_implIS3_Lb0ELb0EPKtPtN6thrust23THRUST_200600_302600_NS4plusItEEEE10hipError_tPvRmT2_T3_mT4_P12ihipStream_tbEUlT_E_NS1_11comp_targetILNS1_3genE4ELNS1_11target_archE910ELNS1_3gpuE8ELNS1_3repE0EEENS1_30default_config_static_selectorELNS0_4arch9wavefront6targetE0EEEvT1_ ; -- Begin function _ZN7rocprim17ROCPRIM_400000_NS6detail17trampoline_kernelINS0_14default_configENS1_35adjacent_difference_config_selectorILb0EtEEZNS1_24adjacent_difference_implIS3_Lb0ELb0EPKtPtN6thrust23THRUST_200600_302600_NS4plusItEEEE10hipError_tPvRmT2_T3_mT4_P12ihipStream_tbEUlT_E_NS1_11comp_targetILNS1_3genE4ELNS1_11target_archE910ELNS1_3gpuE8ELNS1_3repE0EEENS1_30default_config_static_selectorELNS0_4arch9wavefront6targetE0EEEvT1_
	.globl	_ZN7rocprim17ROCPRIM_400000_NS6detail17trampoline_kernelINS0_14default_configENS1_35adjacent_difference_config_selectorILb0EtEEZNS1_24adjacent_difference_implIS3_Lb0ELb0EPKtPtN6thrust23THRUST_200600_302600_NS4plusItEEEE10hipError_tPvRmT2_T3_mT4_P12ihipStream_tbEUlT_E_NS1_11comp_targetILNS1_3genE4ELNS1_11target_archE910ELNS1_3gpuE8ELNS1_3repE0EEENS1_30default_config_static_selectorELNS0_4arch9wavefront6targetE0EEEvT1_
	.p2align	8
	.type	_ZN7rocprim17ROCPRIM_400000_NS6detail17trampoline_kernelINS0_14default_configENS1_35adjacent_difference_config_selectorILb0EtEEZNS1_24adjacent_difference_implIS3_Lb0ELb0EPKtPtN6thrust23THRUST_200600_302600_NS4plusItEEEE10hipError_tPvRmT2_T3_mT4_P12ihipStream_tbEUlT_E_NS1_11comp_targetILNS1_3genE4ELNS1_11target_archE910ELNS1_3gpuE8ELNS1_3repE0EEENS1_30default_config_static_selectorELNS0_4arch9wavefront6targetE0EEEvT1_,@function
_ZN7rocprim17ROCPRIM_400000_NS6detail17trampoline_kernelINS0_14default_configENS1_35adjacent_difference_config_selectorILb0EtEEZNS1_24adjacent_difference_implIS3_Lb0ELb0EPKtPtN6thrust23THRUST_200600_302600_NS4plusItEEEE10hipError_tPvRmT2_T3_mT4_P12ihipStream_tbEUlT_E_NS1_11comp_targetILNS1_3genE4ELNS1_11target_archE910ELNS1_3gpuE8ELNS1_3repE0EEENS1_30default_config_static_selectorELNS0_4arch9wavefront6targetE0EEEvT1_: ; @_ZN7rocprim17ROCPRIM_400000_NS6detail17trampoline_kernelINS0_14default_configENS1_35adjacent_difference_config_selectorILb0EtEEZNS1_24adjacent_difference_implIS3_Lb0ELb0EPKtPtN6thrust23THRUST_200600_302600_NS4plusItEEEE10hipError_tPvRmT2_T3_mT4_P12ihipStream_tbEUlT_E_NS1_11comp_targetILNS1_3genE4ELNS1_11target_archE910ELNS1_3gpuE8ELNS1_3repE0EEENS1_30default_config_static_selectorELNS0_4arch9wavefront6targetE0EEEvT1_
; %bb.0:
	.section	.rodata,"a",@progbits
	.p2align	6, 0x0
	.amdhsa_kernel _ZN7rocprim17ROCPRIM_400000_NS6detail17trampoline_kernelINS0_14default_configENS1_35adjacent_difference_config_selectorILb0EtEEZNS1_24adjacent_difference_implIS3_Lb0ELb0EPKtPtN6thrust23THRUST_200600_302600_NS4plusItEEEE10hipError_tPvRmT2_T3_mT4_P12ihipStream_tbEUlT_E_NS1_11comp_targetILNS1_3genE4ELNS1_11target_archE910ELNS1_3gpuE8ELNS1_3repE0EEENS1_30default_config_static_selectorELNS0_4arch9wavefront6targetE0EEEvT1_
		.amdhsa_group_segment_fixed_size 0
		.amdhsa_private_segment_fixed_size 0
		.amdhsa_kernarg_size 56
		.amdhsa_user_sgpr_count 15
		.amdhsa_user_sgpr_dispatch_ptr 0
		.amdhsa_user_sgpr_queue_ptr 0
		.amdhsa_user_sgpr_kernarg_segment_ptr 1
		.amdhsa_user_sgpr_dispatch_id 0
		.amdhsa_user_sgpr_private_segment_size 0
		.amdhsa_wavefront_size32 1
		.amdhsa_uses_dynamic_stack 0
		.amdhsa_enable_private_segment 0
		.amdhsa_system_sgpr_workgroup_id_x 1
		.amdhsa_system_sgpr_workgroup_id_y 0
		.amdhsa_system_sgpr_workgroup_id_z 0
		.amdhsa_system_sgpr_workgroup_info 0
		.amdhsa_system_vgpr_workitem_id 0
		.amdhsa_next_free_vgpr 1
		.amdhsa_next_free_sgpr 1
		.amdhsa_reserve_vcc 0
		.amdhsa_float_round_mode_32 0
		.amdhsa_float_round_mode_16_64 0
		.amdhsa_float_denorm_mode_32 3
		.amdhsa_float_denorm_mode_16_64 3
		.amdhsa_dx10_clamp 1
		.amdhsa_ieee_mode 1
		.amdhsa_fp16_overflow 0
		.amdhsa_workgroup_processor_mode 1
		.amdhsa_memory_ordered 1
		.amdhsa_forward_progress 0
		.amdhsa_shared_vgpr_count 0
		.amdhsa_exception_fp_ieee_invalid_op 0
		.amdhsa_exception_fp_denorm_src 0
		.amdhsa_exception_fp_ieee_div_zero 0
		.amdhsa_exception_fp_ieee_overflow 0
		.amdhsa_exception_fp_ieee_underflow 0
		.amdhsa_exception_fp_ieee_inexact 0
		.amdhsa_exception_int_div_zero 0
	.end_amdhsa_kernel
	.section	.text._ZN7rocprim17ROCPRIM_400000_NS6detail17trampoline_kernelINS0_14default_configENS1_35adjacent_difference_config_selectorILb0EtEEZNS1_24adjacent_difference_implIS3_Lb0ELb0EPKtPtN6thrust23THRUST_200600_302600_NS4plusItEEEE10hipError_tPvRmT2_T3_mT4_P12ihipStream_tbEUlT_E_NS1_11comp_targetILNS1_3genE4ELNS1_11target_archE910ELNS1_3gpuE8ELNS1_3repE0EEENS1_30default_config_static_selectorELNS0_4arch9wavefront6targetE0EEEvT1_,"axG",@progbits,_ZN7rocprim17ROCPRIM_400000_NS6detail17trampoline_kernelINS0_14default_configENS1_35adjacent_difference_config_selectorILb0EtEEZNS1_24adjacent_difference_implIS3_Lb0ELb0EPKtPtN6thrust23THRUST_200600_302600_NS4plusItEEEE10hipError_tPvRmT2_T3_mT4_P12ihipStream_tbEUlT_E_NS1_11comp_targetILNS1_3genE4ELNS1_11target_archE910ELNS1_3gpuE8ELNS1_3repE0EEENS1_30default_config_static_selectorELNS0_4arch9wavefront6targetE0EEEvT1_,comdat
.Lfunc_end676:
	.size	_ZN7rocprim17ROCPRIM_400000_NS6detail17trampoline_kernelINS0_14default_configENS1_35adjacent_difference_config_selectorILb0EtEEZNS1_24adjacent_difference_implIS3_Lb0ELb0EPKtPtN6thrust23THRUST_200600_302600_NS4plusItEEEE10hipError_tPvRmT2_T3_mT4_P12ihipStream_tbEUlT_E_NS1_11comp_targetILNS1_3genE4ELNS1_11target_archE910ELNS1_3gpuE8ELNS1_3repE0EEENS1_30default_config_static_selectorELNS0_4arch9wavefront6targetE0EEEvT1_, .Lfunc_end676-_ZN7rocprim17ROCPRIM_400000_NS6detail17trampoline_kernelINS0_14default_configENS1_35adjacent_difference_config_selectorILb0EtEEZNS1_24adjacent_difference_implIS3_Lb0ELb0EPKtPtN6thrust23THRUST_200600_302600_NS4plusItEEEE10hipError_tPvRmT2_T3_mT4_P12ihipStream_tbEUlT_E_NS1_11comp_targetILNS1_3genE4ELNS1_11target_archE910ELNS1_3gpuE8ELNS1_3repE0EEENS1_30default_config_static_selectorELNS0_4arch9wavefront6targetE0EEEvT1_
                                        ; -- End function
	.section	.AMDGPU.csdata,"",@progbits
; Kernel info:
; codeLenInByte = 0
; NumSgprs: 0
; NumVgprs: 0
; ScratchSize: 0
; MemoryBound: 0
; FloatMode: 240
; IeeeMode: 1
; LDSByteSize: 0 bytes/workgroup (compile time only)
; SGPRBlocks: 0
; VGPRBlocks: 0
; NumSGPRsForWavesPerEU: 1
; NumVGPRsForWavesPerEU: 1
; Occupancy: 16
; WaveLimiterHint : 0
; COMPUTE_PGM_RSRC2:SCRATCH_EN: 0
; COMPUTE_PGM_RSRC2:USER_SGPR: 15
; COMPUTE_PGM_RSRC2:TRAP_HANDLER: 0
; COMPUTE_PGM_RSRC2:TGID_X_EN: 1
; COMPUTE_PGM_RSRC2:TGID_Y_EN: 0
; COMPUTE_PGM_RSRC2:TGID_Z_EN: 0
; COMPUTE_PGM_RSRC2:TIDIG_COMP_CNT: 0
	.section	.text._ZN7rocprim17ROCPRIM_400000_NS6detail17trampoline_kernelINS0_14default_configENS1_35adjacent_difference_config_selectorILb0EtEEZNS1_24adjacent_difference_implIS3_Lb0ELb0EPKtPtN6thrust23THRUST_200600_302600_NS4plusItEEEE10hipError_tPvRmT2_T3_mT4_P12ihipStream_tbEUlT_E_NS1_11comp_targetILNS1_3genE3ELNS1_11target_archE908ELNS1_3gpuE7ELNS1_3repE0EEENS1_30default_config_static_selectorELNS0_4arch9wavefront6targetE0EEEvT1_,"axG",@progbits,_ZN7rocprim17ROCPRIM_400000_NS6detail17trampoline_kernelINS0_14default_configENS1_35adjacent_difference_config_selectorILb0EtEEZNS1_24adjacent_difference_implIS3_Lb0ELb0EPKtPtN6thrust23THRUST_200600_302600_NS4plusItEEEE10hipError_tPvRmT2_T3_mT4_P12ihipStream_tbEUlT_E_NS1_11comp_targetILNS1_3genE3ELNS1_11target_archE908ELNS1_3gpuE7ELNS1_3repE0EEENS1_30default_config_static_selectorELNS0_4arch9wavefront6targetE0EEEvT1_,comdat
	.protected	_ZN7rocprim17ROCPRIM_400000_NS6detail17trampoline_kernelINS0_14default_configENS1_35adjacent_difference_config_selectorILb0EtEEZNS1_24adjacent_difference_implIS3_Lb0ELb0EPKtPtN6thrust23THRUST_200600_302600_NS4plusItEEEE10hipError_tPvRmT2_T3_mT4_P12ihipStream_tbEUlT_E_NS1_11comp_targetILNS1_3genE3ELNS1_11target_archE908ELNS1_3gpuE7ELNS1_3repE0EEENS1_30default_config_static_selectorELNS0_4arch9wavefront6targetE0EEEvT1_ ; -- Begin function _ZN7rocprim17ROCPRIM_400000_NS6detail17trampoline_kernelINS0_14default_configENS1_35adjacent_difference_config_selectorILb0EtEEZNS1_24adjacent_difference_implIS3_Lb0ELb0EPKtPtN6thrust23THRUST_200600_302600_NS4plusItEEEE10hipError_tPvRmT2_T3_mT4_P12ihipStream_tbEUlT_E_NS1_11comp_targetILNS1_3genE3ELNS1_11target_archE908ELNS1_3gpuE7ELNS1_3repE0EEENS1_30default_config_static_selectorELNS0_4arch9wavefront6targetE0EEEvT1_
	.globl	_ZN7rocprim17ROCPRIM_400000_NS6detail17trampoline_kernelINS0_14default_configENS1_35adjacent_difference_config_selectorILb0EtEEZNS1_24adjacent_difference_implIS3_Lb0ELb0EPKtPtN6thrust23THRUST_200600_302600_NS4plusItEEEE10hipError_tPvRmT2_T3_mT4_P12ihipStream_tbEUlT_E_NS1_11comp_targetILNS1_3genE3ELNS1_11target_archE908ELNS1_3gpuE7ELNS1_3repE0EEENS1_30default_config_static_selectorELNS0_4arch9wavefront6targetE0EEEvT1_
	.p2align	8
	.type	_ZN7rocprim17ROCPRIM_400000_NS6detail17trampoline_kernelINS0_14default_configENS1_35adjacent_difference_config_selectorILb0EtEEZNS1_24adjacent_difference_implIS3_Lb0ELb0EPKtPtN6thrust23THRUST_200600_302600_NS4plusItEEEE10hipError_tPvRmT2_T3_mT4_P12ihipStream_tbEUlT_E_NS1_11comp_targetILNS1_3genE3ELNS1_11target_archE908ELNS1_3gpuE7ELNS1_3repE0EEENS1_30default_config_static_selectorELNS0_4arch9wavefront6targetE0EEEvT1_,@function
_ZN7rocprim17ROCPRIM_400000_NS6detail17trampoline_kernelINS0_14default_configENS1_35adjacent_difference_config_selectorILb0EtEEZNS1_24adjacent_difference_implIS3_Lb0ELb0EPKtPtN6thrust23THRUST_200600_302600_NS4plusItEEEE10hipError_tPvRmT2_T3_mT4_P12ihipStream_tbEUlT_E_NS1_11comp_targetILNS1_3genE3ELNS1_11target_archE908ELNS1_3gpuE7ELNS1_3repE0EEENS1_30default_config_static_selectorELNS0_4arch9wavefront6targetE0EEEvT1_: ; @_ZN7rocprim17ROCPRIM_400000_NS6detail17trampoline_kernelINS0_14default_configENS1_35adjacent_difference_config_selectorILb0EtEEZNS1_24adjacent_difference_implIS3_Lb0ELb0EPKtPtN6thrust23THRUST_200600_302600_NS4plusItEEEE10hipError_tPvRmT2_T3_mT4_P12ihipStream_tbEUlT_E_NS1_11comp_targetILNS1_3genE3ELNS1_11target_archE908ELNS1_3gpuE7ELNS1_3repE0EEENS1_30default_config_static_selectorELNS0_4arch9wavefront6targetE0EEEvT1_
; %bb.0:
	.section	.rodata,"a",@progbits
	.p2align	6, 0x0
	.amdhsa_kernel _ZN7rocprim17ROCPRIM_400000_NS6detail17trampoline_kernelINS0_14default_configENS1_35adjacent_difference_config_selectorILb0EtEEZNS1_24adjacent_difference_implIS3_Lb0ELb0EPKtPtN6thrust23THRUST_200600_302600_NS4plusItEEEE10hipError_tPvRmT2_T3_mT4_P12ihipStream_tbEUlT_E_NS1_11comp_targetILNS1_3genE3ELNS1_11target_archE908ELNS1_3gpuE7ELNS1_3repE0EEENS1_30default_config_static_selectorELNS0_4arch9wavefront6targetE0EEEvT1_
		.amdhsa_group_segment_fixed_size 0
		.amdhsa_private_segment_fixed_size 0
		.amdhsa_kernarg_size 56
		.amdhsa_user_sgpr_count 15
		.amdhsa_user_sgpr_dispatch_ptr 0
		.amdhsa_user_sgpr_queue_ptr 0
		.amdhsa_user_sgpr_kernarg_segment_ptr 1
		.amdhsa_user_sgpr_dispatch_id 0
		.amdhsa_user_sgpr_private_segment_size 0
		.amdhsa_wavefront_size32 1
		.amdhsa_uses_dynamic_stack 0
		.amdhsa_enable_private_segment 0
		.amdhsa_system_sgpr_workgroup_id_x 1
		.amdhsa_system_sgpr_workgroup_id_y 0
		.amdhsa_system_sgpr_workgroup_id_z 0
		.amdhsa_system_sgpr_workgroup_info 0
		.amdhsa_system_vgpr_workitem_id 0
		.amdhsa_next_free_vgpr 1
		.amdhsa_next_free_sgpr 1
		.amdhsa_reserve_vcc 0
		.amdhsa_float_round_mode_32 0
		.amdhsa_float_round_mode_16_64 0
		.amdhsa_float_denorm_mode_32 3
		.amdhsa_float_denorm_mode_16_64 3
		.amdhsa_dx10_clamp 1
		.amdhsa_ieee_mode 1
		.amdhsa_fp16_overflow 0
		.amdhsa_workgroup_processor_mode 1
		.amdhsa_memory_ordered 1
		.amdhsa_forward_progress 0
		.amdhsa_shared_vgpr_count 0
		.amdhsa_exception_fp_ieee_invalid_op 0
		.amdhsa_exception_fp_denorm_src 0
		.amdhsa_exception_fp_ieee_div_zero 0
		.amdhsa_exception_fp_ieee_overflow 0
		.amdhsa_exception_fp_ieee_underflow 0
		.amdhsa_exception_fp_ieee_inexact 0
		.amdhsa_exception_int_div_zero 0
	.end_amdhsa_kernel
	.section	.text._ZN7rocprim17ROCPRIM_400000_NS6detail17trampoline_kernelINS0_14default_configENS1_35adjacent_difference_config_selectorILb0EtEEZNS1_24adjacent_difference_implIS3_Lb0ELb0EPKtPtN6thrust23THRUST_200600_302600_NS4plusItEEEE10hipError_tPvRmT2_T3_mT4_P12ihipStream_tbEUlT_E_NS1_11comp_targetILNS1_3genE3ELNS1_11target_archE908ELNS1_3gpuE7ELNS1_3repE0EEENS1_30default_config_static_selectorELNS0_4arch9wavefront6targetE0EEEvT1_,"axG",@progbits,_ZN7rocprim17ROCPRIM_400000_NS6detail17trampoline_kernelINS0_14default_configENS1_35adjacent_difference_config_selectorILb0EtEEZNS1_24adjacent_difference_implIS3_Lb0ELb0EPKtPtN6thrust23THRUST_200600_302600_NS4plusItEEEE10hipError_tPvRmT2_T3_mT4_P12ihipStream_tbEUlT_E_NS1_11comp_targetILNS1_3genE3ELNS1_11target_archE908ELNS1_3gpuE7ELNS1_3repE0EEENS1_30default_config_static_selectorELNS0_4arch9wavefront6targetE0EEEvT1_,comdat
.Lfunc_end677:
	.size	_ZN7rocprim17ROCPRIM_400000_NS6detail17trampoline_kernelINS0_14default_configENS1_35adjacent_difference_config_selectorILb0EtEEZNS1_24adjacent_difference_implIS3_Lb0ELb0EPKtPtN6thrust23THRUST_200600_302600_NS4plusItEEEE10hipError_tPvRmT2_T3_mT4_P12ihipStream_tbEUlT_E_NS1_11comp_targetILNS1_3genE3ELNS1_11target_archE908ELNS1_3gpuE7ELNS1_3repE0EEENS1_30default_config_static_selectorELNS0_4arch9wavefront6targetE0EEEvT1_, .Lfunc_end677-_ZN7rocprim17ROCPRIM_400000_NS6detail17trampoline_kernelINS0_14default_configENS1_35adjacent_difference_config_selectorILb0EtEEZNS1_24adjacent_difference_implIS3_Lb0ELb0EPKtPtN6thrust23THRUST_200600_302600_NS4plusItEEEE10hipError_tPvRmT2_T3_mT4_P12ihipStream_tbEUlT_E_NS1_11comp_targetILNS1_3genE3ELNS1_11target_archE908ELNS1_3gpuE7ELNS1_3repE0EEENS1_30default_config_static_selectorELNS0_4arch9wavefront6targetE0EEEvT1_
                                        ; -- End function
	.section	.AMDGPU.csdata,"",@progbits
; Kernel info:
; codeLenInByte = 0
; NumSgprs: 0
; NumVgprs: 0
; ScratchSize: 0
; MemoryBound: 0
; FloatMode: 240
; IeeeMode: 1
; LDSByteSize: 0 bytes/workgroup (compile time only)
; SGPRBlocks: 0
; VGPRBlocks: 0
; NumSGPRsForWavesPerEU: 1
; NumVGPRsForWavesPerEU: 1
; Occupancy: 16
; WaveLimiterHint : 0
; COMPUTE_PGM_RSRC2:SCRATCH_EN: 0
; COMPUTE_PGM_RSRC2:USER_SGPR: 15
; COMPUTE_PGM_RSRC2:TRAP_HANDLER: 0
; COMPUTE_PGM_RSRC2:TGID_X_EN: 1
; COMPUTE_PGM_RSRC2:TGID_Y_EN: 0
; COMPUTE_PGM_RSRC2:TGID_Z_EN: 0
; COMPUTE_PGM_RSRC2:TIDIG_COMP_CNT: 0
	.section	.text._ZN7rocprim17ROCPRIM_400000_NS6detail17trampoline_kernelINS0_14default_configENS1_35adjacent_difference_config_selectorILb0EtEEZNS1_24adjacent_difference_implIS3_Lb0ELb0EPKtPtN6thrust23THRUST_200600_302600_NS4plusItEEEE10hipError_tPvRmT2_T3_mT4_P12ihipStream_tbEUlT_E_NS1_11comp_targetILNS1_3genE2ELNS1_11target_archE906ELNS1_3gpuE6ELNS1_3repE0EEENS1_30default_config_static_selectorELNS0_4arch9wavefront6targetE0EEEvT1_,"axG",@progbits,_ZN7rocprim17ROCPRIM_400000_NS6detail17trampoline_kernelINS0_14default_configENS1_35adjacent_difference_config_selectorILb0EtEEZNS1_24adjacent_difference_implIS3_Lb0ELb0EPKtPtN6thrust23THRUST_200600_302600_NS4plusItEEEE10hipError_tPvRmT2_T3_mT4_P12ihipStream_tbEUlT_E_NS1_11comp_targetILNS1_3genE2ELNS1_11target_archE906ELNS1_3gpuE6ELNS1_3repE0EEENS1_30default_config_static_selectorELNS0_4arch9wavefront6targetE0EEEvT1_,comdat
	.protected	_ZN7rocprim17ROCPRIM_400000_NS6detail17trampoline_kernelINS0_14default_configENS1_35adjacent_difference_config_selectorILb0EtEEZNS1_24adjacent_difference_implIS3_Lb0ELb0EPKtPtN6thrust23THRUST_200600_302600_NS4plusItEEEE10hipError_tPvRmT2_T3_mT4_P12ihipStream_tbEUlT_E_NS1_11comp_targetILNS1_3genE2ELNS1_11target_archE906ELNS1_3gpuE6ELNS1_3repE0EEENS1_30default_config_static_selectorELNS0_4arch9wavefront6targetE0EEEvT1_ ; -- Begin function _ZN7rocprim17ROCPRIM_400000_NS6detail17trampoline_kernelINS0_14default_configENS1_35adjacent_difference_config_selectorILb0EtEEZNS1_24adjacent_difference_implIS3_Lb0ELb0EPKtPtN6thrust23THRUST_200600_302600_NS4plusItEEEE10hipError_tPvRmT2_T3_mT4_P12ihipStream_tbEUlT_E_NS1_11comp_targetILNS1_3genE2ELNS1_11target_archE906ELNS1_3gpuE6ELNS1_3repE0EEENS1_30default_config_static_selectorELNS0_4arch9wavefront6targetE0EEEvT1_
	.globl	_ZN7rocprim17ROCPRIM_400000_NS6detail17trampoline_kernelINS0_14default_configENS1_35adjacent_difference_config_selectorILb0EtEEZNS1_24adjacent_difference_implIS3_Lb0ELb0EPKtPtN6thrust23THRUST_200600_302600_NS4plusItEEEE10hipError_tPvRmT2_T3_mT4_P12ihipStream_tbEUlT_E_NS1_11comp_targetILNS1_3genE2ELNS1_11target_archE906ELNS1_3gpuE6ELNS1_3repE0EEENS1_30default_config_static_selectorELNS0_4arch9wavefront6targetE0EEEvT1_
	.p2align	8
	.type	_ZN7rocprim17ROCPRIM_400000_NS6detail17trampoline_kernelINS0_14default_configENS1_35adjacent_difference_config_selectorILb0EtEEZNS1_24adjacent_difference_implIS3_Lb0ELb0EPKtPtN6thrust23THRUST_200600_302600_NS4plusItEEEE10hipError_tPvRmT2_T3_mT4_P12ihipStream_tbEUlT_E_NS1_11comp_targetILNS1_3genE2ELNS1_11target_archE906ELNS1_3gpuE6ELNS1_3repE0EEENS1_30default_config_static_selectorELNS0_4arch9wavefront6targetE0EEEvT1_,@function
_ZN7rocprim17ROCPRIM_400000_NS6detail17trampoline_kernelINS0_14default_configENS1_35adjacent_difference_config_selectorILb0EtEEZNS1_24adjacent_difference_implIS3_Lb0ELb0EPKtPtN6thrust23THRUST_200600_302600_NS4plusItEEEE10hipError_tPvRmT2_T3_mT4_P12ihipStream_tbEUlT_E_NS1_11comp_targetILNS1_3genE2ELNS1_11target_archE906ELNS1_3gpuE6ELNS1_3repE0EEENS1_30default_config_static_selectorELNS0_4arch9wavefront6targetE0EEEvT1_: ; @_ZN7rocprim17ROCPRIM_400000_NS6detail17trampoline_kernelINS0_14default_configENS1_35adjacent_difference_config_selectorILb0EtEEZNS1_24adjacent_difference_implIS3_Lb0ELb0EPKtPtN6thrust23THRUST_200600_302600_NS4plusItEEEE10hipError_tPvRmT2_T3_mT4_P12ihipStream_tbEUlT_E_NS1_11comp_targetILNS1_3genE2ELNS1_11target_archE906ELNS1_3gpuE6ELNS1_3repE0EEENS1_30default_config_static_selectorELNS0_4arch9wavefront6targetE0EEEvT1_
; %bb.0:
	.section	.rodata,"a",@progbits
	.p2align	6, 0x0
	.amdhsa_kernel _ZN7rocprim17ROCPRIM_400000_NS6detail17trampoline_kernelINS0_14default_configENS1_35adjacent_difference_config_selectorILb0EtEEZNS1_24adjacent_difference_implIS3_Lb0ELb0EPKtPtN6thrust23THRUST_200600_302600_NS4plusItEEEE10hipError_tPvRmT2_T3_mT4_P12ihipStream_tbEUlT_E_NS1_11comp_targetILNS1_3genE2ELNS1_11target_archE906ELNS1_3gpuE6ELNS1_3repE0EEENS1_30default_config_static_selectorELNS0_4arch9wavefront6targetE0EEEvT1_
		.amdhsa_group_segment_fixed_size 0
		.amdhsa_private_segment_fixed_size 0
		.amdhsa_kernarg_size 56
		.amdhsa_user_sgpr_count 15
		.amdhsa_user_sgpr_dispatch_ptr 0
		.amdhsa_user_sgpr_queue_ptr 0
		.amdhsa_user_sgpr_kernarg_segment_ptr 1
		.amdhsa_user_sgpr_dispatch_id 0
		.amdhsa_user_sgpr_private_segment_size 0
		.amdhsa_wavefront_size32 1
		.amdhsa_uses_dynamic_stack 0
		.amdhsa_enable_private_segment 0
		.amdhsa_system_sgpr_workgroup_id_x 1
		.amdhsa_system_sgpr_workgroup_id_y 0
		.amdhsa_system_sgpr_workgroup_id_z 0
		.amdhsa_system_sgpr_workgroup_info 0
		.amdhsa_system_vgpr_workitem_id 0
		.amdhsa_next_free_vgpr 1
		.amdhsa_next_free_sgpr 1
		.amdhsa_reserve_vcc 0
		.amdhsa_float_round_mode_32 0
		.amdhsa_float_round_mode_16_64 0
		.amdhsa_float_denorm_mode_32 3
		.amdhsa_float_denorm_mode_16_64 3
		.amdhsa_dx10_clamp 1
		.amdhsa_ieee_mode 1
		.amdhsa_fp16_overflow 0
		.amdhsa_workgroup_processor_mode 1
		.amdhsa_memory_ordered 1
		.amdhsa_forward_progress 0
		.amdhsa_shared_vgpr_count 0
		.amdhsa_exception_fp_ieee_invalid_op 0
		.amdhsa_exception_fp_denorm_src 0
		.amdhsa_exception_fp_ieee_div_zero 0
		.amdhsa_exception_fp_ieee_overflow 0
		.amdhsa_exception_fp_ieee_underflow 0
		.amdhsa_exception_fp_ieee_inexact 0
		.amdhsa_exception_int_div_zero 0
	.end_amdhsa_kernel
	.section	.text._ZN7rocprim17ROCPRIM_400000_NS6detail17trampoline_kernelINS0_14default_configENS1_35adjacent_difference_config_selectorILb0EtEEZNS1_24adjacent_difference_implIS3_Lb0ELb0EPKtPtN6thrust23THRUST_200600_302600_NS4plusItEEEE10hipError_tPvRmT2_T3_mT4_P12ihipStream_tbEUlT_E_NS1_11comp_targetILNS1_3genE2ELNS1_11target_archE906ELNS1_3gpuE6ELNS1_3repE0EEENS1_30default_config_static_selectorELNS0_4arch9wavefront6targetE0EEEvT1_,"axG",@progbits,_ZN7rocprim17ROCPRIM_400000_NS6detail17trampoline_kernelINS0_14default_configENS1_35adjacent_difference_config_selectorILb0EtEEZNS1_24adjacent_difference_implIS3_Lb0ELb0EPKtPtN6thrust23THRUST_200600_302600_NS4plusItEEEE10hipError_tPvRmT2_T3_mT4_P12ihipStream_tbEUlT_E_NS1_11comp_targetILNS1_3genE2ELNS1_11target_archE906ELNS1_3gpuE6ELNS1_3repE0EEENS1_30default_config_static_selectorELNS0_4arch9wavefront6targetE0EEEvT1_,comdat
.Lfunc_end678:
	.size	_ZN7rocprim17ROCPRIM_400000_NS6detail17trampoline_kernelINS0_14default_configENS1_35adjacent_difference_config_selectorILb0EtEEZNS1_24adjacent_difference_implIS3_Lb0ELb0EPKtPtN6thrust23THRUST_200600_302600_NS4plusItEEEE10hipError_tPvRmT2_T3_mT4_P12ihipStream_tbEUlT_E_NS1_11comp_targetILNS1_3genE2ELNS1_11target_archE906ELNS1_3gpuE6ELNS1_3repE0EEENS1_30default_config_static_selectorELNS0_4arch9wavefront6targetE0EEEvT1_, .Lfunc_end678-_ZN7rocprim17ROCPRIM_400000_NS6detail17trampoline_kernelINS0_14default_configENS1_35adjacent_difference_config_selectorILb0EtEEZNS1_24adjacent_difference_implIS3_Lb0ELb0EPKtPtN6thrust23THRUST_200600_302600_NS4plusItEEEE10hipError_tPvRmT2_T3_mT4_P12ihipStream_tbEUlT_E_NS1_11comp_targetILNS1_3genE2ELNS1_11target_archE906ELNS1_3gpuE6ELNS1_3repE0EEENS1_30default_config_static_selectorELNS0_4arch9wavefront6targetE0EEEvT1_
                                        ; -- End function
	.section	.AMDGPU.csdata,"",@progbits
; Kernel info:
; codeLenInByte = 0
; NumSgprs: 0
; NumVgprs: 0
; ScratchSize: 0
; MemoryBound: 0
; FloatMode: 240
; IeeeMode: 1
; LDSByteSize: 0 bytes/workgroup (compile time only)
; SGPRBlocks: 0
; VGPRBlocks: 0
; NumSGPRsForWavesPerEU: 1
; NumVGPRsForWavesPerEU: 1
; Occupancy: 16
; WaveLimiterHint : 0
; COMPUTE_PGM_RSRC2:SCRATCH_EN: 0
; COMPUTE_PGM_RSRC2:USER_SGPR: 15
; COMPUTE_PGM_RSRC2:TRAP_HANDLER: 0
; COMPUTE_PGM_RSRC2:TGID_X_EN: 1
; COMPUTE_PGM_RSRC2:TGID_Y_EN: 0
; COMPUTE_PGM_RSRC2:TGID_Z_EN: 0
; COMPUTE_PGM_RSRC2:TIDIG_COMP_CNT: 0
	.section	.text._ZN7rocprim17ROCPRIM_400000_NS6detail17trampoline_kernelINS0_14default_configENS1_35adjacent_difference_config_selectorILb0EtEEZNS1_24adjacent_difference_implIS3_Lb0ELb0EPKtPtN6thrust23THRUST_200600_302600_NS4plusItEEEE10hipError_tPvRmT2_T3_mT4_P12ihipStream_tbEUlT_E_NS1_11comp_targetILNS1_3genE9ELNS1_11target_archE1100ELNS1_3gpuE3ELNS1_3repE0EEENS1_30default_config_static_selectorELNS0_4arch9wavefront6targetE0EEEvT1_,"axG",@progbits,_ZN7rocprim17ROCPRIM_400000_NS6detail17trampoline_kernelINS0_14default_configENS1_35adjacent_difference_config_selectorILb0EtEEZNS1_24adjacent_difference_implIS3_Lb0ELb0EPKtPtN6thrust23THRUST_200600_302600_NS4plusItEEEE10hipError_tPvRmT2_T3_mT4_P12ihipStream_tbEUlT_E_NS1_11comp_targetILNS1_3genE9ELNS1_11target_archE1100ELNS1_3gpuE3ELNS1_3repE0EEENS1_30default_config_static_selectorELNS0_4arch9wavefront6targetE0EEEvT1_,comdat
	.protected	_ZN7rocprim17ROCPRIM_400000_NS6detail17trampoline_kernelINS0_14default_configENS1_35adjacent_difference_config_selectorILb0EtEEZNS1_24adjacent_difference_implIS3_Lb0ELb0EPKtPtN6thrust23THRUST_200600_302600_NS4plusItEEEE10hipError_tPvRmT2_T3_mT4_P12ihipStream_tbEUlT_E_NS1_11comp_targetILNS1_3genE9ELNS1_11target_archE1100ELNS1_3gpuE3ELNS1_3repE0EEENS1_30default_config_static_selectorELNS0_4arch9wavefront6targetE0EEEvT1_ ; -- Begin function _ZN7rocprim17ROCPRIM_400000_NS6detail17trampoline_kernelINS0_14default_configENS1_35adjacent_difference_config_selectorILb0EtEEZNS1_24adjacent_difference_implIS3_Lb0ELb0EPKtPtN6thrust23THRUST_200600_302600_NS4plusItEEEE10hipError_tPvRmT2_T3_mT4_P12ihipStream_tbEUlT_E_NS1_11comp_targetILNS1_3genE9ELNS1_11target_archE1100ELNS1_3gpuE3ELNS1_3repE0EEENS1_30default_config_static_selectorELNS0_4arch9wavefront6targetE0EEEvT1_
	.globl	_ZN7rocprim17ROCPRIM_400000_NS6detail17trampoline_kernelINS0_14default_configENS1_35adjacent_difference_config_selectorILb0EtEEZNS1_24adjacent_difference_implIS3_Lb0ELb0EPKtPtN6thrust23THRUST_200600_302600_NS4plusItEEEE10hipError_tPvRmT2_T3_mT4_P12ihipStream_tbEUlT_E_NS1_11comp_targetILNS1_3genE9ELNS1_11target_archE1100ELNS1_3gpuE3ELNS1_3repE0EEENS1_30default_config_static_selectorELNS0_4arch9wavefront6targetE0EEEvT1_
	.p2align	8
	.type	_ZN7rocprim17ROCPRIM_400000_NS6detail17trampoline_kernelINS0_14default_configENS1_35adjacent_difference_config_selectorILb0EtEEZNS1_24adjacent_difference_implIS3_Lb0ELb0EPKtPtN6thrust23THRUST_200600_302600_NS4plusItEEEE10hipError_tPvRmT2_T3_mT4_P12ihipStream_tbEUlT_E_NS1_11comp_targetILNS1_3genE9ELNS1_11target_archE1100ELNS1_3gpuE3ELNS1_3repE0EEENS1_30default_config_static_selectorELNS0_4arch9wavefront6targetE0EEEvT1_,@function
_ZN7rocprim17ROCPRIM_400000_NS6detail17trampoline_kernelINS0_14default_configENS1_35adjacent_difference_config_selectorILb0EtEEZNS1_24adjacent_difference_implIS3_Lb0ELb0EPKtPtN6thrust23THRUST_200600_302600_NS4plusItEEEE10hipError_tPvRmT2_T3_mT4_P12ihipStream_tbEUlT_E_NS1_11comp_targetILNS1_3genE9ELNS1_11target_archE1100ELNS1_3gpuE3ELNS1_3repE0EEENS1_30default_config_static_selectorELNS0_4arch9wavefront6targetE0EEEvT1_: ; @_ZN7rocprim17ROCPRIM_400000_NS6detail17trampoline_kernelINS0_14default_configENS1_35adjacent_difference_config_selectorILb0EtEEZNS1_24adjacent_difference_implIS3_Lb0ELb0EPKtPtN6thrust23THRUST_200600_302600_NS4plusItEEEE10hipError_tPvRmT2_T3_mT4_P12ihipStream_tbEUlT_E_NS1_11comp_targetILNS1_3genE9ELNS1_11target_archE1100ELNS1_3gpuE3ELNS1_3repE0EEENS1_30default_config_static_selectorELNS0_4arch9wavefront6targetE0EEEvT1_
; %bb.0:
	s_load_b256 s[4:11], s[0:1], 0x0
	s_waitcnt lgkmcnt(0)
	s_lshl_b64 s[6:7], s[6:7], 1
	s_delay_alu instid0(SALU_CYCLE_1)
	s_add_u32 s17, s4, s6
	s_addc_u32 s18, s5, s7
	s_add_u32 s2, 0, 0x45249
	s_addc_u32 s3, 0, 0
	;; [unrolled: 2-line block ×3, first 2 shown]
	s_addc_u32 s3, 0, 0
	s_add_u32 s2, s2, 0
	s_addc_u32 s3, 0, s3
	v_add_co_u32 v1, s2, 0x92492040, s2
	s_delay_alu instid0(VALU_DEP_1) | instskip(SKIP_1) | instid1(VALU_DEP_1)
	s_cmp_lg_u32 s2, 0
	s_addc_u32 s2, s3, 0x924924
	v_readfirstlane_b32 s3, v1
	s_mul_i32 s5, s10, s2
	s_mul_hi_u32 s4, s10, s2
	s_mul_hi_u32 s12, s11, s2
	s_mul_i32 s2, s11, s2
	s_mul_hi_u32 s13, s10, s3
	s_mul_hi_u32 s14, s11, s3
	s_mul_i32 s3, s11, s3
	s_add_u32 s5, s13, s5
	s_addc_u32 s4, 0, s4
	s_add_u32 s3, s5, s3
	s_addc_u32 s3, s4, s14
	s_addc_u32 s4, s12, 0
	s_add_u32 s5, s3, s2
	s_addc_u32 s4, 0, s4
	s_mul_i32 s3, s5, 0x1c0
	s_add_u32 s2, s5, 1
	v_sub_co_u32 v1, s3, s10, s3
	s_mul_hi_u32 s12, s5, 0x1c0
	s_addc_u32 s13, s4, 0
	s_mul_i32 s14, s4, 0x1c0
	s_delay_alu instid0(VALU_DEP_1)
	v_subrev_co_u32 v2, s16, 0x1c0, v1
	s_add_u32 s19, s5, 2
	s_addc_u32 s20, s4, 0
	s_add_i32 s12, s12, s14
	s_cmp_lg_u32 s3, 0
	v_readfirstlane_b32 s3, v2
	s_subb_u32 s12, s11, s12
	s_cmp_lg_u32 s16, 0
	s_subb_u32 s14, s12, 0
	s_delay_alu instid0(VALU_DEP_1) | instskip(SKIP_4) | instid1(SALU_CYCLE_1)
	s_cmpk_gt_u32 s3, 0x1bf
	s_cselect_b32 s3, -1, 0
	s_cmp_eq_u32 s14, 0
	v_readfirstlane_b32 s14, v1
	s_cselect_b32 s3, s3, -1
	s_cmp_lg_u32 s3, 0
	s_cselect_b32 s16, s19, s2
	s_cselect_b32 s13, s20, s13
	s_cmpk_gt_u32 s14, 0x1bf
	s_mov_b32 s14, -1
	s_cselect_b32 s2, -1, 0
	s_cmp_eq_u32 s12, 0
	s_cselect_b32 s2, s2, -1
	s_delay_alu instid0(SALU_CYCLE_1)
	s_cmp_lg_u32 s2, 0
	s_load_b64 s[2:3], s[0:1], 0x30
	s_cselect_b32 s4, s13, s4
	s_cselect_b32 s5, s16, s5
	s_mul_i32 s0, s4, 0x1c0
	s_mul_hi_u32 s1, s5, 0x1c0
	s_mul_i32 s12, s5, 0x1c0
	s_add_i32 s1, s1, s0
	s_sub_u32 s0, s10, s12
	s_subb_u32 s1, s11, s1
	s_delay_alu instid0(SALU_CYCLE_1) | instskip(SKIP_1) | instid1(SALU_CYCLE_1)
	s_cmp_lg_u64 s[0:1], 0
	s_cselect_b32 s0, -1, 0
	v_cndmask_b32_e64 v1, 0, 1, s0
	s_delay_alu instid0(VALU_DEP_1) | instskip(NEXT) | instid1(VALU_DEP_1)
	v_readfirstlane_b32 s0, v1
	s_add_u32 s0, s5, s0
	s_addc_u32 s1, s4, 0
	s_waitcnt lgkmcnt(0)
	s_add_u32 s4, s2, s15
	s_addc_u32 s5, s3, 0
	s_add_u32 s12, s0, -1
	s_addc_u32 s13, s1, -1
	s_mul_i32 s2, s15, 0x1c0
	v_cmp_ge_u64_e64 s16, s[4:5], s[12:13]
	s_mov_b32 s3, 0
	s_mul_i32 s11, s12, 0xfffffe40
	s_delay_alu instid0(VALU_DEP_1)
	s_and_b32 vcc_lo, exec_lo, s16
	s_cbranch_vccz .LBB679_16
; %bb.1:
	s_lshl_b64 s[14:15], s[2:3], 1
	s_add_i32 s19, s11, s10
	s_add_u32 s14, s17, s14
	s_addc_u32 s15, s18, s15
	s_mov_b32 s3, exec_lo
                                        ; implicit-def: $vgpr1_vgpr2_vgpr3_vgpr4
	v_cmpx_gt_u32_e64 s19, v0
	s_cbranch_execz .LBB679_3
; %bb.2:
	v_lshlrev_b32_e32 v1, 1, v0
	global_load_d16_b16 v1, v1, s[14:15]
.LBB679_3:
	s_or_b32 exec_lo, exec_lo, s3
	v_or_b32_e32 v5, 64, v0
	s_mov_b32 s3, exec_lo
	s_delay_alu instid0(VALU_DEP_1)
	v_cmpx_gt_u32_e64 s19, v5
	s_cbranch_execz .LBB679_5
; %bb.4:
	v_lshlrev_b32_e32 v5, 1, v0
	global_load_d16_hi_b16 v1, v5, s[14:15] offset:128
.LBB679_5:
	s_or_b32 exec_lo, exec_lo, s3
	v_or_b32_e32 v5, 0x80, v0
	s_mov_b32 s3, exec_lo
	s_delay_alu instid0(VALU_DEP_1)
	v_cmpx_gt_u32_e64 s19, v5
	s_cbranch_execz .LBB679_7
; %bb.6:
	v_lshlrev_b32_e32 v5, 1, v0
	global_load_d16_b16 v2, v5, s[14:15] offset:256
.LBB679_7:
	s_or_b32 exec_lo, exec_lo, s3
	v_or_b32_e32 v5, 0xc0, v0
	s_mov_b32 s3, exec_lo
	s_delay_alu instid0(VALU_DEP_1)
	v_cmpx_gt_u32_e64 s19, v5
	s_cbranch_execz .LBB679_9
; %bb.8:
	v_lshlrev_b32_e32 v5, 1, v0
	global_load_d16_hi_b16 v2, v5, s[14:15] offset:384
.LBB679_9:
	s_or_b32 exec_lo, exec_lo, s3
	v_or_b32_e32 v5, 0x100, v0
	s_mov_b32 s3, exec_lo
	s_delay_alu instid0(VALU_DEP_1)
	v_cmpx_gt_u32_e64 s19, v5
	s_cbranch_execz .LBB679_11
; %bb.10:
	v_lshlrev_b32_e32 v5, 1, v0
	global_load_d16_b16 v3, v5, s[14:15] offset:512
.LBB679_11:
	;; [unrolled: 20-line block ×3, first 2 shown]
	s_or_b32 exec_lo, exec_lo, s3
	v_lshlrev_b32_e32 v5, 1, v0
	s_mov_b32 s14, 0
	s_waitcnt vmcnt(0)
	ds_store_b16 v5, v1
	ds_store_b16_d16_hi v5, v1 offset:128
	ds_store_b16 v5, v2 offset:256
	ds_store_b16_d16_hi v5, v2 offset:384
	ds_store_b16 v5, v3 offset:512
	;; [unrolled: 2-line block ×3, first 2 shown]
	s_waitcnt lgkmcnt(0)
	s_barrier
.LBB679_16:
	v_lshlrev_b32_e32 v8, 1, v0
	s_and_b32 vcc_lo, exec_lo, s14
	s_cbranch_vccz .LBB679_18
; %bb.17:
	s_mov_b32 s3, 0
	s_delay_alu instid0(SALU_CYCLE_1) | instskip(NEXT) | instid1(SALU_CYCLE_1)
	s_lshl_b64 s[14:15], s[2:3], 1
	s_add_u32 s14, s17, s14
	s_addc_u32 s15, s18, s15
	s_clause 0x6
	global_load_u16 v1, v8, s[14:15]
	global_load_u16 v2, v8, s[14:15] offset:128
	global_load_u16 v3, v8, s[14:15] offset:256
	;; [unrolled: 1-line block ×6, first 2 shown]
	s_waitcnt vmcnt(6)
	ds_store_b16 v8, v1
	s_waitcnt vmcnt(5)
	ds_store_b16 v8, v2 offset:128
	s_waitcnt vmcnt(4)
	ds_store_b16 v8, v3 offset:256
	s_waitcnt vmcnt(3)
	ds_store_b16 v8, v4 offset:384
	s_waitcnt vmcnt(2)
	ds_store_b16 v8, v5 offset:512
	s_waitcnt vmcnt(1)
	ds_store_b16 v8, v6 offset:640
	s_waitcnt vmcnt(0)
	ds_store_b16 v8, v7 offset:768
	s_waitcnt lgkmcnt(0)
	s_barrier
.LBB679_18:
	v_mul_u32_u24_e32 v1, 7, v0
	buffer_gl0_inv
	s_cmp_eq_u64 s[4:5], 0
	v_lshlrev_b32_e32 v1, 1, v1
	ds_load_b96 v[5:7], v1
	ds_load_u16 v11, v1 offset:12
	s_waitcnt lgkmcnt(0)
	s_barrier
	buffer_gl0_inv
	v_lshrrev_b32_e32 v10, 16, v5
	v_lshrrev_b32_e32 v12, 16, v6
	;; [unrolled: 1-line block ×3, first 2 shown]
	s_cbranch_scc1 .LBB679_23
; %bb.19:
	s_mov_b32 s3, 0
	v_mov_b32_e32 v1, 0
	s_lshl_b64 s[14:15], s[2:3], 1
	s_delay_alu instid0(SALU_CYCLE_1)
	s_add_u32 s14, s17, s14
	s_addc_u32 s15, s18, s15
	s_cmp_eq_u64 s[4:5], s[12:13]
	global_load_u16 v15, v1, s[14:15] offset:-2
	s_cbranch_scc1 .LBB679_24
; %bb.20:
	v_add_nc_u16 v3, v13, v7
	v_add_nc_u16 v4, v7, v12
	;; [unrolled: 1-line block ×5, first 2 shown]
	s_waitcnt vmcnt(0)
	v_mov_b32_e32 v14, v15
	s_mov_b32 s3, exec_lo
	ds_store_b16 v8, v11
	s_waitcnt lgkmcnt(0)
	s_barrier
	buffer_gl0_inv
	v_cmpx_ne_u32_e32 0, v0
	s_cbranch_execz .LBB679_22
; %bb.21:
	v_add_nc_u32_e32 v9, -2, v8
	ds_load_u16 v14, v9
.LBB679_22:
	s_or_b32 exec_lo, exec_lo, s3
	v_add_nc_u16 v9, v11, v13
	v_lshlrev_b32_e32 v1, 16, v1
	v_perm_b32 v2, v2, v16, 0x5040100
	v_perm_b32 v3, v3, v4, 0x5040100
	s_cbranch_execz .LBB679_25
	s_branch .LBB679_28
.LBB679_23:
	s_mov_b32 s3, 0
                                        ; implicit-def: $vgpr9
                                        ; implicit-def: $vgpr14
                                        ; implicit-def: $vgpr1_vgpr2_vgpr3_vgpr4
	s_branch .LBB679_29
.LBB679_24:
                                        ; implicit-def: $vgpr9
                                        ; implicit-def: $vgpr14
                                        ; implicit-def: $vgpr1_vgpr2_vgpr3_vgpr4
.LBB679_25:
	v_mul_u32_u24_e32 v4, 7, v0
	s_mov_b32 s3, exec_lo
	ds_store_b16 v8, v11
	s_waitcnt vmcnt(0) lgkmcnt(0)
	s_barrier
	buffer_gl0_inv
	v_cmpx_ne_u32_e32 0, v0
	s_cbranch_execz .LBB679_27
; %bb.26:
	v_add_nc_u32_e32 v1, -2, v8
	ds_load_u16 v15, v1
.LBB679_27:
	s_or_b32 exec_lo, exec_lo, s3
	v_add_nc_u16 v3, v11, v13
	v_add_nc_u32_e32 v2, 6, v4
	s_mul_i32 s3, s4, 0xfffffe40
	v_add_nc_u16 v1, v13, v7
	s_add_i32 s3, s3, s10
	v_lshlrev_b32_e32 v16, 16, v13
	v_cmp_gt_u32_e32 vcc_lo, s3, v2
	v_add_nc_u16 v2, v12, v6
	v_lshlrev_b32_e32 v21, 16, v10
	v_add_nc_u16 v17, v7, v12
	v_dual_cndmask_b32 v9, v11, v3 :: v_dual_add_nc_u32 v20, 1, v4
	s_delay_alu instid0(VALU_DEP_4) | instskip(SKIP_3) | instid1(VALU_DEP_2)
	v_lshlrev_b32_e32 v2, 16, v2
	v_lshlrev_b32_e32 v1, 16, v1
	v_add_nc_u32_e32 v14, 5, v4
	v_add_nc_u32_e32 v3, 3, v4
	v_cmp_gt_u32_e32 vcc_lo, s3, v14
	s_delay_alu instid0(VALU_DEP_4) | instskip(NEXT) | instid1(VALU_DEP_3)
	v_dual_cndmask_b32 v1, v16, v1 :: v_dual_add_nc_u32 v16, 4, v4
	v_cmp_gt_u32_e32 vcc_lo, s3, v3
	v_add_nc_u16 v3, v6, v10
	s_delay_alu instid0(VALU_DEP_3) | instskip(SKIP_3) | instid1(VALU_DEP_2)
	v_bfi_b32 v18, 0xffff, v7, v1
	v_bfi_b32 v1, 0xffff, v17, v1
	v_lshlrev_b32_e32 v14, 16, v12
	v_add_nc_u16 v17, v10, v5
	v_cndmask_b32_e32 v2, v14, v2, vcc_lo
	v_add_nc_u32_e32 v14, 2, v4
	v_cmp_gt_u32_e32 vcc_lo, s3, v16
	s_delay_alu instid0(VALU_DEP_4) | instskip(NEXT) | instid1(VALU_DEP_4)
	v_lshlrev_b32_e32 v17, 16, v17
	v_bfi_b32 v19, 0xffff, v6, v2
	v_bfi_b32 v2, 0xffff, v3, v2
	v_cndmask_b32_e32 v3, v18, v1, vcc_lo
	v_cmp_gt_u32_e32 vcc_lo, s3, v14
	s_delay_alu instid0(VALU_DEP_3)
	v_cndmask_b32_e32 v2, v19, v2, vcc_lo
	v_cmp_gt_u32_e32 vcc_lo, s3, v20
	v_cndmask_b32_e32 v1, v21, v17, vcc_lo
	v_cmp_gt_u32_e32 vcc_lo, s3, v4
	s_waitcnt lgkmcnt(0)
	v_cndmask_b32_e32 v14, 0, v15, vcc_lo
.LBB679_28:
	s_mov_b32 s3, -1
	s_cbranch_execnz .LBB679_37
.LBB679_29:
	s_delay_alu instid0(VALU_DEP_1)
	v_add_nc_u16 v9, v11, v13
	v_add_nc_u16 v19, v13, v7
	;; [unrolled: 1-line block ×4, first 2 shown]
	s_waitcnt vmcnt(0)
	v_add_nc_u16 v15, v6, v10
	v_add_nc_u16 v16, v10, v5
	v_cmp_ne_u32_e32 vcc_lo, 0, v0
	s_cmp_lg_u64 s[0:1], 1
	s_cbranch_scc0 .LBB679_33
; %bb.30:
	v_perm_b32 v3, v19, v18, 0x5040100
	v_perm_b32 v2, v17, v15, 0x5040100
	;; [unrolled: 1-line block ×3, first 2 shown]
	s_mov_b32 s0, 0
	ds_store_b16 v8, v11
	s_waitcnt lgkmcnt(0)
	s_barrier
	buffer_gl0_inv
                                        ; implicit-def: $vgpr14
	s_and_saveexec_b32 s1, vcc_lo
	s_cbranch_execz .LBB679_32
; %bb.31:
	v_add_nc_u32_e32 v4, -2, v8
	s_or_b32 s3, s3, exec_lo
	ds_load_u16 v14, v4
.LBB679_32:
	s_or_b32 exec_lo, exec_lo, s1
	s_delay_alu instid0(SALU_CYCLE_1)
	s_and_b32 vcc_lo, exec_lo, s0
	s_cbranch_vccnz .LBB679_34
	s_branch .LBB679_37
.LBB679_33:
                                        ; implicit-def: $vgpr14
                                        ; implicit-def: $vgpr1_vgpr2_vgpr3_vgpr4
	s_cbranch_execz .LBB679_37
.LBB679_34:
	v_mad_u32_u24 v1, v0, 7, 5
	v_lshlrev_b32_e32 v3, 16, v19
	v_lshlrev_b32_e32 v12, 16, v12
	s_waitcnt lgkmcnt(0)
	v_lshlrev_b32_e32 v14, 16, v17
	v_lshlrev_b32_e32 v2, 16, v13
	v_cmp_gt_u32_e32 vcc_lo, s10, v1
	v_mad_u32_u24 v4, v0, 7, 4
	v_mad_u32_u24 v13, v0, 7, 3
	ds_store_b16 v8, v11
	s_waitcnt lgkmcnt(0)
	v_cndmask_b32_e32 v1, v2, v3, vcc_lo
	v_mad_u32_u24 v3, v0, 7, 6
	v_mul_u32_u24_e32 v2, 7, v0
	s_barrier
	buffer_gl0_inv
	v_bfi_b32 v7, 0xffff, v7, v1
	v_cmp_gt_u32_e32 vcc_lo, s10, v3
	v_bfi_b32 v1, 0xffff, v18, v1
	v_cmp_gt_u32_e64 s0, s10, v2
	v_cndmask_b32_e32 v9, v11, v9, vcc_lo
	v_cmp_gt_u32_e32 vcc_lo, s10, v4
	v_mad_u32_u24 v4, v0, 7, 1
	v_mad_u32_u24 v11, v0, 7, 2
	v_cndmask_b32_e32 v3, v7, v1, vcc_lo
	v_cmp_gt_u32_e32 vcc_lo, s10, v13
	v_lshlrev_b32_e32 v7, 16, v10
	v_lshlrev_b32_e32 v10, 16, v16
	v_cmp_gt_u32_e64 s1, s10, v11
	v_cndmask_b32_e32 v1, v12, v14, vcc_lo
	v_cmp_gt_u32_e32 vcc_lo, s10, v4
                                        ; implicit-def: $vgpr14
	s_delay_alu instid0(VALU_DEP_2) | instskip(SKIP_3) | instid1(VALU_DEP_3)
	v_bfi_b32 v6, 0xffff, v6, v1
	v_bfi_b32 v1, 0xffff, v15, v1
	v_cndmask_b32_e32 v4, v7, v10, vcc_lo
	v_cmp_ne_u32_e32 vcc_lo, 0, v0
	v_cndmask_b32_e64 v2, v6, v1, s1
	s_delay_alu instid0(VALU_DEP_3) | instskip(SKIP_1) | instid1(SALU_CYCLE_1)
	v_bfi_b32 v1, 0xffff, v5, v4
	s_and_b32 s1, vcc_lo, s0
	s_and_saveexec_b32 s0, s1
	s_cbranch_execz .LBB679_36
; %bb.35:
	v_add_nc_u32_e32 v4, -2, v8
	s_or_b32 s3, s3, exec_lo
	ds_load_u16 v14, v4
.LBB679_36:
	s_or_b32 exec_lo, exec_lo, s0
.LBB679_37:
	s_and_saveexec_b32 s0, s3
	s_cbranch_execz .LBB679_39
; %bb.38:
	s_waitcnt lgkmcnt(0)
	v_add_nc_u16 v4, v14, v5
	s_delay_alu instid0(VALU_DEP_1)
	v_bfi_b32 v1, 0xffff, v4, v1
.LBB679_39:
	s_or_b32 exec_lo, exec_lo, s0
	v_mul_u32_u24_e32 v6, 14, v0
	v_mul_i32_i24_e32 v7, -12, v0
	s_add_u32 s0, s8, s6
	s_addc_u32 s1, s9, s7
	s_and_b32 vcc_lo, exec_lo, s16
	s_waitcnt vmcnt(0) lgkmcnt(0)
	s_barrier
	buffer_gl0_inv
	s_cbranch_vccz .LBB679_53
; %bb.40:
	v_mad_u32_u24 v4, v0, 14, v7
	ds_store_b96 v6, v[1:3]
	ds_store_b16 v6, v9 offset:12
	s_waitcnt lgkmcnt(0)
	s_barrier
	buffer_gl0_inv
	ds_load_u16 v15, v4 offset:128
	ds_load_u16 v14, v4 offset:256
	;; [unrolled: 1-line block ×6, first 2 shown]
	s_mov_b32 s3, 0
	s_add_i32 s11, s11, s10
	s_lshl_b64 s[4:5], s[2:3], 1
	s_delay_alu instid0(SALU_CYCLE_1) | instskip(SKIP_2) | instid1(VALU_DEP_1)
	s_add_u32 s3, s0, s4
	s_addc_u32 s4, s1, s5
	v_add_co_u32 v4, s3, s3, v8
	v_add_co_ci_u32_e64 v5, null, s4, 0, s3
	s_mov_b32 s3, exec_lo
	v_cmpx_gt_u32_e64 s11, v0
	s_cbranch_execz .LBB679_42
; %bb.41:
	v_add_nc_u32_e32 v16, v6, v7
	ds_load_u16 v16, v16
	s_waitcnt lgkmcnt(0)
	global_store_b16 v[4:5], v16, off
.LBB679_42:
	s_or_b32 exec_lo, exec_lo, s3
	v_or_b32_e32 v16, 64, v0
	s_mov_b32 s3, exec_lo
	s_delay_alu instid0(VALU_DEP_1)
	v_cmpx_gt_u32_e64 s11, v16
	s_cbranch_execz .LBB679_44
; %bb.43:
	s_waitcnt lgkmcnt(5)
	global_store_b16 v[4:5], v15, off offset:128
.LBB679_44:
	s_or_b32 exec_lo, exec_lo, s3
	s_waitcnt lgkmcnt(5)
	v_or_b32_e32 v15, 0x80, v0
	s_mov_b32 s3, exec_lo
	s_delay_alu instid0(VALU_DEP_1)
	v_cmpx_gt_u32_e64 s11, v15
	s_cbranch_execz .LBB679_46
; %bb.45:
	s_waitcnt lgkmcnt(4)
	global_store_b16 v[4:5], v14, off offset:256
.LBB679_46:
	s_or_b32 exec_lo, exec_lo, s3
	s_waitcnt lgkmcnt(4)
	;; [unrolled: 11-line block ×5, first 2 shown]
	v_or_b32_e32 v11, 0x180, v0
	s_delay_alu instid0(VALU_DEP_1)
	v_cmp_gt_u32_e64 s4, s11, v11
	s_branch .LBB679_55
.LBB679_53:
	s_mov_b32 s4, 0
                                        ; implicit-def: $vgpr10
                                        ; implicit-def: $vgpr4_vgpr5
	s_cbranch_execz .LBB679_55
; %bb.54:
	v_mad_u32_u24 v0, v0, 14, v7
	ds_store_b96 v6, v[1:3]
	ds_store_b16 v6, v9 offset:12
	s_waitcnt lgkmcnt(0)
	s_waitcnt_vscnt null, 0x0
	s_barrier
	buffer_gl0_inv
	ds_load_u16 v1, v0
	ds_load_u16 v2, v0 offset:128
	ds_load_u16 v3, v0 offset:256
	;; [unrolled: 1-line block ×6, first 2 shown]
	s_mov_b32 s3, 0
	s_delay_alu instid0(SALU_CYCLE_1) | instskip(NEXT) | instid1(SALU_CYCLE_1)
	s_lshl_b64 s[2:3], s[2:3], 1
	s_add_u32 s0, s0, s2
	s_addc_u32 s1, s1, s3
	v_add_co_u32 v4, s2, s0, v8
	s_delay_alu instid0(VALU_DEP_1)
	v_add_co_ci_u32_e64 v5, null, s1, 0, s2
	s_or_b32 s4, s4, exec_lo
	s_waitcnt lgkmcnt(6)
	global_store_b16 v8, v1, s[0:1]
	s_waitcnt lgkmcnt(5)
	global_store_b16 v8, v2, s[0:1] offset:128
	s_waitcnt lgkmcnt(4)
	global_store_b16 v8, v3, s[0:1] offset:256
	;; [unrolled: 2-line block ×5, first 2 shown]
.LBB679_55:
	s_delay_alu instid0(VALU_DEP_1)
	s_and_saveexec_b32 s0, s4
	s_cbranch_execnz .LBB679_57
; %bb.56:
	s_nop 0
	s_sendmsg sendmsg(MSG_DEALLOC_VGPRS)
	s_endpgm
.LBB679_57:
	s_waitcnt lgkmcnt(0)
	global_store_b16 v[4:5], v10, off offset:768
	s_nop 0
	s_sendmsg sendmsg(MSG_DEALLOC_VGPRS)
	s_endpgm
	.section	.rodata,"a",@progbits
	.p2align	6, 0x0
	.amdhsa_kernel _ZN7rocprim17ROCPRIM_400000_NS6detail17trampoline_kernelINS0_14default_configENS1_35adjacent_difference_config_selectorILb0EtEEZNS1_24adjacent_difference_implIS3_Lb0ELb0EPKtPtN6thrust23THRUST_200600_302600_NS4plusItEEEE10hipError_tPvRmT2_T3_mT4_P12ihipStream_tbEUlT_E_NS1_11comp_targetILNS1_3genE9ELNS1_11target_archE1100ELNS1_3gpuE3ELNS1_3repE0EEENS1_30default_config_static_selectorELNS0_4arch9wavefront6targetE0EEEvT1_
		.amdhsa_group_segment_fixed_size 896
		.amdhsa_private_segment_fixed_size 0
		.amdhsa_kernarg_size 56
		.amdhsa_user_sgpr_count 15
		.amdhsa_user_sgpr_dispatch_ptr 0
		.amdhsa_user_sgpr_queue_ptr 0
		.amdhsa_user_sgpr_kernarg_segment_ptr 1
		.amdhsa_user_sgpr_dispatch_id 0
		.amdhsa_user_sgpr_private_segment_size 0
		.amdhsa_wavefront_size32 1
		.amdhsa_uses_dynamic_stack 0
		.amdhsa_enable_private_segment 0
		.amdhsa_system_sgpr_workgroup_id_x 1
		.amdhsa_system_sgpr_workgroup_id_y 0
		.amdhsa_system_sgpr_workgroup_id_z 0
		.amdhsa_system_sgpr_workgroup_info 0
		.amdhsa_system_vgpr_workitem_id 0
		.amdhsa_next_free_vgpr 22
		.amdhsa_next_free_sgpr 21
		.amdhsa_reserve_vcc 1
		.amdhsa_float_round_mode_32 0
		.amdhsa_float_round_mode_16_64 0
		.amdhsa_float_denorm_mode_32 3
		.amdhsa_float_denorm_mode_16_64 3
		.amdhsa_dx10_clamp 1
		.amdhsa_ieee_mode 1
		.amdhsa_fp16_overflow 0
		.amdhsa_workgroup_processor_mode 1
		.amdhsa_memory_ordered 1
		.amdhsa_forward_progress 0
		.amdhsa_shared_vgpr_count 0
		.amdhsa_exception_fp_ieee_invalid_op 0
		.amdhsa_exception_fp_denorm_src 0
		.amdhsa_exception_fp_ieee_div_zero 0
		.amdhsa_exception_fp_ieee_overflow 0
		.amdhsa_exception_fp_ieee_underflow 0
		.amdhsa_exception_fp_ieee_inexact 0
		.amdhsa_exception_int_div_zero 0
	.end_amdhsa_kernel
	.section	.text._ZN7rocprim17ROCPRIM_400000_NS6detail17trampoline_kernelINS0_14default_configENS1_35adjacent_difference_config_selectorILb0EtEEZNS1_24adjacent_difference_implIS3_Lb0ELb0EPKtPtN6thrust23THRUST_200600_302600_NS4plusItEEEE10hipError_tPvRmT2_T3_mT4_P12ihipStream_tbEUlT_E_NS1_11comp_targetILNS1_3genE9ELNS1_11target_archE1100ELNS1_3gpuE3ELNS1_3repE0EEENS1_30default_config_static_selectorELNS0_4arch9wavefront6targetE0EEEvT1_,"axG",@progbits,_ZN7rocprim17ROCPRIM_400000_NS6detail17trampoline_kernelINS0_14default_configENS1_35adjacent_difference_config_selectorILb0EtEEZNS1_24adjacent_difference_implIS3_Lb0ELb0EPKtPtN6thrust23THRUST_200600_302600_NS4plusItEEEE10hipError_tPvRmT2_T3_mT4_P12ihipStream_tbEUlT_E_NS1_11comp_targetILNS1_3genE9ELNS1_11target_archE1100ELNS1_3gpuE3ELNS1_3repE0EEENS1_30default_config_static_selectorELNS0_4arch9wavefront6targetE0EEEvT1_,comdat
.Lfunc_end679:
	.size	_ZN7rocprim17ROCPRIM_400000_NS6detail17trampoline_kernelINS0_14default_configENS1_35adjacent_difference_config_selectorILb0EtEEZNS1_24adjacent_difference_implIS3_Lb0ELb0EPKtPtN6thrust23THRUST_200600_302600_NS4plusItEEEE10hipError_tPvRmT2_T3_mT4_P12ihipStream_tbEUlT_E_NS1_11comp_targetILNS1_3genE9ELNS1_11target_archE1100ELNS1_3gpuE3ELNS1_3repE0EEENS1_30default_config_static_selectorELNS0_4arch9wavefront6targetE0EEEvT1_, .Lfunc_end679-_ZN7rocprim17ROCPRIM_400000_NS6detail17trampoline_kernelINS0_14default_configENS1_35adjacent_difference_config_selectorILb0EtEEZNS1_24adjacent_difference_implIS3_Lb0ELb0EPKtPtN6thrust23THRUST_200600_302600_NS4plusItEEEE10hipError_tPvRmT2_T3_mT4_P12ihipStream_tbEUlT_E_NS1_11comp_targetILNS1_3genE9ELNS1_11target_archE1100ELNS1_3gpuE3ELNS1_3repE0EEENS1_30default_config_static_selectorELNS0_4arch9wavefront6targetE0EEEvT1_
                                        ; -- End function
	.section	.AMDGPU.csdata,"",@progbits
; Kernel info:
; codeLenInByte = 2820
; NumSgprs: 23
; NumVgprs: 22
; ScratchSize: 0
; MemoryBound: 0
; FloatMode: 240
; IeeeMode: 1
; LDSByteSize: 896 bytes/workgroup (compile time only)
; SGPRBlocks: 2
; VGPRBlocks: 2
; NumSGPRsForWavesPerEU: 23
; NumVGPRsForWavesPerEU: 22
; Occupancy: 16
; WaveLimiterHint : 1
; COMPUTE_PGM_RSRC2:SCRATCH_EN: 0
; COMPUTE_PGM_RSRC2:USER_SGPR: 15
; COMPUTE_PGM_RSRC2:TRAP_HANDLER: 0
; COMPUTE_PGM_RSRC2:TGID_X_EN: 1
; COMPUTE_PGM_RSRC2:TGID_Y_EN: 0
; COMPUTE_PGM_RSRC2:TGID_Z_EN: 0
; COMPUTE_PGM_RSRC2:TIDIG_COMP_CNT: 0
	.section	.text._ZN7rocprim17ROCPRIM_400000_NS6detail17trampoline_kernelINS0_14default_configENS1_35adjacent_difference_config_selectorILb0EtEEZNS1_24adjacent_difference_implIS3_Lb0ELb0EPKtPtN6thrust23THRUST_200600_302600_NS4plusItEEEE10hipError_tPvRmT2_T3_mT4_P12ihipStream_tbEUlT_E_NS1_11comp_targetILNS1_3genE8ELNS1_11target_archE1030ELNS1_3gpuE2ELNS1_3repE0EEENS1_30default_config_static_selectorELNS0_4arch9wavefront6targetE0EEEvT1_,"axG",@progbits,_ZN7rocprim17ROCPRIM_400000_NS6detail17trampoline_kernelINS0_14default_configENS1_35adjacent_difference_config_selectorILb0EtEEZNS1_24adjacent_difference_implIS3_Lb0ELb0EPKtPtN6thrust23THRUST_200600_302600_NS4plusItEEEE10hipError_tPvRmT2_T3_mT4_P12ihipStream_tbEUlT_E_NS1_11comp_targetILNS1_3genE8ELNS1_11target_archE1030ELNS1_3gpuE2ELNS1_3repE0EEENS1_30default_config_static_selectorELNS0_4arch9wavefront6targetE0EEEvT1_,comdat
	.protected	_ZN7rocprim17ROCPRIM_400000_NS6detail17trampoline_kernelINS0_14default_configENS1_35adjacent_difference_config_selectorILb0EtEEZNS1_24adjacent_difference_implIS3_Lb0ELb0EPKtPtN6thrust23THRUST_200600_302600_NS4plusItEEEE10hipError_tPvRmT2_T3_mT4_P12ihipStream_tbEUlT_E_NS1_11comp_targetILNS1_3genE8ELNS1_11target_archE1030ELNS1_3gpuE2ELNS1_3repE0EEENS1_30default_config_static_selectorELNS0_4arch9wavefront6targetE0EEEvT1_ ; -- Begin function _ZN7rocprim17ROCPRIM_400000_NS6detail17trampoline_kernelINS0_14default_configENS1_35adjacent_difference_config_selectorILb0EtEEZNS1_24adjacent_difference_implIS3_Lb0ELb0EPKtPtN6thrust23THRUST_200600_302600_NS4plusItEEEE10hipError_tPvRmT2_T3_mT4_P12ihipStream_tbEUlT_E_NS1_11comp_targetILNS1_3genE8ELNS1_11target_archE1030ELNS1_3gpuE2ELNS1_3repE0EEENS1_30default_config_static_selectorELNS0_4arch9wavefront6targetE0EEEvT1_
	.globl	_ZN7rocprim17ROCPRIM_400000_NS6detail17trampoline_kernelINS0_14default_configENS1_35adjacent_difference_config_selectorILb0EtEEZNS1_24adjacent_difference_implIS3_Lb0ELb0EPKtPtN6thrust23THRUST_200600_302600_NS4plusItEEEE10hipError_tPvRmT2_T3_mT4_P12ihipStream_tbEUlT_E_NS1_11comp_targetILNS1_3genE8ELNS1_11target_archE1030ELNS1_3gpuE2ELNS1_3repE0EEENS1_30default_config_static_selectorELNS0_4arch9wavefront6targetE0EEEvT1_
	.p2align	8
	.type	_ZN7rocprim17ROCPRIM_400000_NS6detail17trampoline_kernelINS0_14default_configENS1_35adjacent_difference_config_selectorILb0EtEEZNS1_24adjacent_difference_implIS3_Lb0ELb0EPKtPtN6thrust23THRUST_200600_302600_NS4plusItEEEE10hipError_tPvRmT2_T3_mT4_P12ihipStream_tbEUlT_E_NS1_11comp_targetILNS1_3genE8ELNS1_11target_archE1030ELNS1_3gpuE2ELNS1_3repE0EEENS1_30default_config_static_selectorELNS0_4arch9wavefront6targetE0EEEvT1_,@function
_ZN7rocprim17ROCPRIM_400000_NS6detail17trampoline_kernelINS0_14default_configENS1_35adjacent_difference_config_selectorILb0EtEEZNS1_24adjacent_difference_implIS3_Lb0ELb0EPKtPtN6thrust23THRUST_200600_302600_NS4plusItEEEE10hipError_tPvRmT2_T3_mT4_P12ihipStream_tbEUlT_E_NS1_11comp_targetILNS1_3genE8ELNS1_11target_archE1030ELNS1_3gpuE2ELNS1_3repE0EEENS1_30default_config_static_selectorELNS0_4arch9wavefront6targetE0EEEvT1_: ; @_ZN7rocprim17ROCPRIM_400000_NS6detail17trampoline_kernelINS0_14default_configENS1_35adjacent_difference_config_selectorILb0EtEEZNS1_24adjacent_difference_implIS3_Lb0ELb0EPKtPtN6thrust23THRUST_200600_302600_NS4plusItEEEE10hipError_tPvRmT2_T3_mT4_P12ihipStream_tbEUlT_E_NS1_11comp_targetILNS1_3genE8ELNS1_11target_archE1030ELNS1_3gpuE2ELNS1_3repE0EEENS1_30default_config_static_selectorELNS0_4arch9wavefront6targetE0EEEvT1_
; %bb.0:
	.section	.rodata,"a",@progbits
	.p2align	6, 0x0
	.amdhsa_kernel _ZN7rocprim17ROCPRIM_400000_NS6detail17trampoline_kernelINS0_14default_configENS1_35adjacent_difference_config_selectorILb0EtEEZNS1_24adjacent_difference_implIS3_Lb0ELb0EPKtPtN6thrust23THRUST_200600_302600_NS4plusItEEEE10hipError_tPvRmT2_T3_mT4_P12ihipStream_tbEUlT_E_NS1_11comp_targetILNS1_3genE8ELNS1_11target_archE1030ELNS1_3gpuE2ELNS1_3repE0EEENS1_30default_config_static_selectorELNS0_4arch9wavefront6targetE0EEEvT1_
		.amdhsa_group_segment_fixed_size 0
		.amdhsa_private_segment_fixed_size 0
		.amdhsa_kernarg_size 56
		.amdhsa_user_sgpr_count 15
		.amdhsa_user_sgpr_dispatch_ptr 0
		.amdhsa_user_sgpr_queue_ptr 0
		.amdhsa_user_sgpr_kernarg_segment_ptr 1
		.amdhsa_user_sgpr_dispatch_id 0
		.amdhsa_user_sgpr_private_segment_size 0
		.amdhsa_wavefront_size32 1
		.amdhsa_uses_dynamic_stack 0
		.amdhsa_enable_private_segment 0
		.amdhsa_system_sgpr_workgroup_id_x 1
		.amdhsa_system_sgpr_workgroup_id_y 0
		.amdhsa_system_sgpr_workgroup_id_z 0
		.amdhsa_system_sgpr_workgroup_info 0
		.amdhsa_system_vgpr_workitem_id 0
		.amdhsa_next_free_vgpr 1
		.amdhsa_next_free_sgpr 1
		.amdhsa_reserve_vcc 0
		.amdhsa_float_round_mode_32 0
		.amdhsa_float_round_mode_16_64 0
		.amdhsa_float_denorm_mode_32 3
		.amdhsa_float_denorm_mode_16_64 3
		.amdhsa_dx10_clamp 1
		.amdhsa_ieee_mode 1
		.amdhsa_fp16_overflow 0
		.amdhsa_workgroup_processor_mode 1
		.amdhsa_memory_ordered 1
		.amdhsa_forward_progress 0
		.amdhsa_shared_vgpr_count 0
		.amdhsa_exception_fp_ieee_invalid_op 0
		.amdhsa_exception_fp_denorm_src 0
		.amdhsa_exception_fp_ieee_div_zero 0
		.amdhsa_exception_fp_ieee_overflow 0
		.amdhsa_exception_fp_ieee_underflow 0
		.amdhsa_exception_fp_ieee_inexact 0
		.amdhsa_exception_int_div_zero 0
	.end_amdhsa_kernel
	.section	.text._ZN7rocprim17ROCPRIM_400000_NS6detail17trampoline_kernelINS0_14default_configENS1_35adjacent_difference_config_selectorILb0EtEEZNS1_24adjacent_difference_implIS3_Lb0ELb0EPKtPtN6thrust23THRUST_200600_302600_NS4plusItEEEE10hipError_tPvRmT2_T3_mT4_P12ihipStream_tbEUlT_E_NS1_11comp_targetILNS1_3genE8ELNS1_11target_archE1030ELNS1_3gpuE2ELNS1_3repE0EEENS1_30default_config_static_selectorELNS0_4arch9wavefront6targetE0EEEvT1_,"axG",@progbits,_ZN7rocprim17ROCPRIM_400000_NS6detail17trampoline_kernelINS0_14default_configENS1_35adjacent_difference_config_selectorILb0EtEEZNS1_24adjacent_difference_implIS3_Lb0ELb0EPKtPtN6thrust23THRUST_200600_302600_NS4plusItEEEE10hipError_tPvRmT2_T3_mT4_P12ihipStream_tbEUlT_E_NS1_11comp_targetILNS1_3genE8ELNS1_11target_archE1030ELNS1_3gpuE2ELNS1_3repE0EEENS1_30default_config_static_selectorELNS0_4arch9wavefront6targetE0EEEvT1_,comdat
.Lfunc_end680:
	.size	_ZN7rocprim17ROCPRIM_400000_NS6detail17trampoline_kernelINS0_14default_configENS1_35adjacent_difference_config_selectorILb0EtEEZNS1_24adjacent_difference_implIS3_Lb0ELb0EPKtPtN6thrust23THRUST_200600_302600_NS4plusItEEEE10hipError_tPvRmT2_T3_mT4_P12ihipStream_tbEUlT_E_NS1_11comp_targetILNS1_3genE8ELNS1_11target_archE1030ELNS1_3gpuE2ELNS1_3repE0EEENS1_30default_config_static_selectorELNS0_4arch9wavefront6targetE0EEEvT1_, .Lfunc_end680-_ZN7rocprim17ROCPRIM_400000_NS6detail17trampoline_kernelINS0_14default_configENS1_35adjacent_difference_config_selectorILb0EtEEZNS1_24adjacent_difference_implIS3_Lb0ELb0EPKtPtN6thrust23THRUST_200600_302600_NS4plusItEEEE10hipError_tPvRmT2_T3_mT4_P12ihipStream_tbEUlT_E_NS1_11comp_targetILNS1_3genE8ELNS1_11target_archE1030ELNS1_3gpuE2ELNS1_3repE0EEENS1_30default_config_static_selectorELNS0_4arch9wavefront6targetE0EEEvT1_
                                        ; -- End function
	.section	.AMDGPU.csdata,"",@progbits
; Kernel info:
; codeLenInByte = 0
; NumSgprs: 0
; NumVgprs: 0
; ScratchSize: 0
; MemoryBound: 0
; FloatMode: 240
; IeeeMode: 1
; LDSByteSize: 0 bytes/workgroup (compile time only)
; SGPRBlocks: 0
; VGPRBlocks: 0
; NumSGPRsForWavesPerEU: 1
; NumVGPRsForWavesPerEU: 1
; Occupancy: 16
; WaveLimiterHint : 0
; COMPUTE_PGM_RSRC2:SCRATCH_EN: 0
; COMPUTE_PGM_RSRC2:USER_SGPR: 15
; COMPUTE_PGM_RSRC2:TRAP_HANDLER: 0
; COMPUTE_PGM_RSRC2:TGID_X_EN: 1
; COMPUTE_PGM_RSRC2:TGID_Y_EN: 0
; COMPUTE_PGM_RSRC2:TGID_Z_EN: 0
; COMPUTE_PGM_RSRC2:TIDIG_COMP_CNT: 0
	.section	.text._ZN7rocprim17ROCPRIM_400000_NS6detail17trampoline_kernelINS0_14default_configENS1_25transform_config_selectorItLb0EEEZNS1_14transform_implILb0ES3_S5_NS0_18transform_iteratorINS0_17counting_iteratorImlEEZNS1_24adjacent_difference_implIS3_Lb1ELb0EPKtPtN6thrust23THRUST_200600_302600_NS4plusItEEEE10hipError_tPvRmT2_T3_mT4_P12ihipStream_tbEUlmE_tEESD_NS0_8identityIvEEEESI_SL_SM_mSN_SP_bEUlT_E_NS1_11comp_targetILNS1_3genE0ELNS1_11target_archE4294967295ELNS1_3gpuE0ELNS1_3repE0EEENS1_30default_config_static_selectorELNS0_4arch9wavefront6targetE0EEEvT1_,"axG",@progbits,_ZN7rocprim17ROCPRIM_400000_NS6detail17trampoline_kernelINS0_14default_configENS1_25transform_config_selectorItLb0EEEZNS1_14transform_implILb0ES3_S5_NS0_18transform_iteratorINS0_17counting_iteratorImlEEZNS1_24adjacent_difference_implIS3_Lb1ELb0EPKtPtN6thrust23THRUST_200600_302600_NS4plusItEEEE10hipError_tPvRmT2_T3_mT4_P12ihipStream_tbEUlmE_tEESD_NS0_8identityIvEEEESI_SL_SM_mSN_SP_bEUlT_E_NS1_11comp_targetILNS1_3genE0ELNS1_11target_archE4294967295ELNS1_3gpuE0ELNS1_3repE0EEENS1_30default_config_static_selectorELNS0_4arch9wavefront6targetE0EEEvT1_,comdat
	.protected	_ZN7rocprim17ROCPRIM_400000_NS6detail17trampoline_kernelINS0_14default_configENS1_25transform_config_selectorItLb0EEEZNS1_14transform_implILb0ES3_S5_NS0_18transform_iteratorINS0_17counting_iteratorImlEEZNS1_24adjacent_difference_implIS3_Lb1ELb0EPKtPtN6thrust23THRUST_200600_302600_NS4plusItEEEE10hipError_tPvRmT2_T3_mT4_P12ihipStream_tbEUlmE_tEESD_NS0_8identityIvEEEESI_SL_SM_mSN_SP_bEUlT_E_NS1_11comp_targetILNS1_3genE0ELNS1_11target_archE4294967295ELNS1_3gpuE0ELNS1_3repE0EEENS1_30default_config_static_selectorELNS0_4arch9wavefront6targetE0EEEvT1_ ; -- Begin function _ZN7rocprim17ROCPRIM_400000_NS6detail17trampoline_kernelINS0_14default_configENS1_25transform_config_selectorItLb0EEEZNS1_14transform_implILb0ES3_S5_NS0_18transform_iteratorINS0_17counting_iteratorImlEEZNS1_24adjacent_difference_implIS3_Lb1ELb0EPKtPtN6thrust23THRUST_200600_302600_NS4plusItEEEE10hipError_tPvRmT2_T3_mT4_P12ihipStream_tbEUlmE_tEESD_NS0_8identityIvEEEESI_SL_SM_mSN_SP_bEUlT_E_NS1_11comp_targetILNS1_3genE0ELNS1_11target_archE4294967295ELNS1_3gpuE0ELNS1_3repE0EEENS1_30default_config_static_selectorELNS0_4arch9wavefront6targetE0EEEvT1_
	.globl	_ZN7rocprim17ROCPRIM_400000_NS6detail17trampoline_kernelINS0_14default_configENS1_25transform_config_selectorItLb0EEEZNS1_14transform_implILb0ES3_S5_NS0_18transform_iteratorINS0_17counting_iteratorImlEEZNS1_24adjacent_difference_implIS3_Lb1ELb0EPKtPtN6thrust23THRUST_200600_302600_NS4plusItEEEE10hipError_tPvRmT2_T3_mT4_P12ihipStream_tbEUlmE_tEESD_NS0_8identityIvEEEESI_SL_SM_mSN_SP_bEUlT_E_NS1_11comp_targetILNS1_3genE0ELNS1_11target_archE4294967295ELNS1_3gpuE0ELNS1_3repE0EEENS1_30default_config_static_selectorELNS0_4arch9wavefront6targetE0EEEvT1_
	.p2align	8
	.type	_ZN7rocprim17ROCPRIM_400000_NS6detail17trampoline_kernelINS0_14default_configENS1_25transform_config_selectorItLb0EEEZNS1_14transform_implILb0ES3_S5_NS0_18transform_iteratorINS0_17counting_iteratorImlEEZNS1_24adjacent_difference_implIS3_Lb1ELb0EPKtPtN6thrust23THRUST_200600_302600_NS4plusItEEEE10hipError_tPvRmT2_T3_mT4_P12ihipStream_tbEUlmE_tEESD_NS0_8identityIvEEEESI_SL_SM_mSN_SP_bEUlT_E_NS1_11comp_targetILNS1_3genE0ELNS1_11target_archE4294967295ELNS1_3gpuE0ELNS1_3repE0EEENS1_30default_config_static_selectorELNS0_4arch9wavefront6targetE0EEEvT1_,@function
_ZN7rocprim17ROCPRIM_400000_NS6detail17trampoline_kernelINS0_14default_configENS1_25transform_config_selectorItLb0EEEZNS1_14transform_implILb0ES3_S5_NS0_18transform_iteratorINS0_17counting_iteratorImlEEZNS1_24adjacent_difference_implIS3_Lb1ELb0EPKtPtN6thrust23THRUST_200600_302600_NS4plusItEEEE10hipError_tPvRmT2_T3_mT4_P12ihipStream_tbEUlmE_tEESD_NS0_8identityIvEEEESI_SL_SM_mSN_SP_bEUlT_E_NS1_11comp_targetILNS1_3genE0ELNS1_11target_archE4294967295ELNS1_3gpuE0ELNS1_3repE0EEENS1_30default_config_static_selectorELNS0_4arch9wavefront6targetE0EEEvT1_: ; @_ZN7rocprim17ROCPRIM_400000_NS6detail17trampoline_kernelINS0_14default_configENS1_25transform_config_selectorItLb0EEEZNS1_14transform_implILb0ES3_S5_NS0_18transform_iteratorINS0_17counting_iteratorImlEEZNS1_24adjacent_difference_implIS3_Lb1ELb0EPKtPtN6thrust23THRUST_200600_302600_NS4plusItEEEE10hipError_tPvRmT2_T3_mT4_P12ihipStream_tbEUlmE_tEESD_NS0_8identityIvEEEESI_SL_SM_mSN_SP_bEUlT_E_NS1_11comp_targetILNS1_3genE0ELNS1_11target_archE4294967295ELNS1_3gpuE0ELNS1_3repE0EEENS1_30default_config_static_selectorELNS0_4arch9wavefront6targetE0EEEvT1_
; %bb.0:
	.section	.rodata,"a",@progbits
	.p2align	6, 0x0
	.amdhsa_kernel _ZN7rocprim17ROCPRIM_400000_NS6detail17trampoline_kernelINS0_14default_configENS1_25transform_config_selectorItLb0EEEZNS1_14transform_implILb0ES3_S5_NS0_18transform_iteratorINS0_17counting_iteratorImlEEZNS1_24adjacent_difference_implIS3_Lb1ELb0EPKtPtN6thrust23THRUST_200600_302600_NS4plusItEEEE10hipError_tPvRmT2_T3_mT4_P12ihipStream_tbEUlmE_tEESD_NS0_8identityIvEEEESI_SL_SM_mSN_SP_bEUlT_E_NS1_11comp_targetILNS1_3genE0ELNS1_11target_archE4294967295ELNS1_3gpuE0ELNS1_3repE0EEENS1_30default_config_static_selectorELNS0_4arch9wavefront6targetE0EEEvT1_
		.amdhsa_group_segment_fixed_size 0
		.amdhsa_private_segment_fixed_size 0
		.amdhsa_kernarg_size 56
		.amdhsa_user_sgpr_count 15
		.amdhsa_user_sgpr_dispatch_ptr 0
		.amdhsa_user_sgpr_queue_ptr 0
		.amdhsa_user_sgpr_kernarg_segment_ptr 1
		.amdhsa_user_sgpr_dispatch_id 0
		.amdhsa_user_sgpr_private_segment_size 0
		.amdhsa_wavefront_size32 1
		.amdhsa_uses_dynamic_stack 0
		.amdhsa_enable_private_segment 0
		.amdhsa_system_sgpr_workgroup_id_x 1
		.amdhsa_system_sgpr_workgroup_id_y 0
		.amdhsa_system_sgpr_workgroup_id_z 0
		.amdhsa_system_sgpr_workgroup_info 0
		.amdhsa_system_vgpr_workitem_id 0
		.amdhsa_next_free_vgpr 1
		.amdhsa_next_free_sgpr 1
		.amdhsa_reserve_vcc 0
		.amdhsa_float_round_mode_32 0
		.amdhsa_float_round_mode_16_64 0
		.amdhsa_float_denorm_mode_32 3
		.amdhsa_float_denorm_mode_16_64 3
		.amdhsa_dx10_clamp 1
		.amdhsa_ieee_mode 1
		.amdhsa_fp16_overflow 0
		.amdhsa_workgroup_processor_mode 1
		.amdhsa_memory_ordered 1
		.amdhsa_forward_progress 0
		.amdhsa_shared_vgpr_count 0
		.amdhsa_exception_fp_ieee_invalid_op 0
		.amdhsa_exception_fp_denorm_src 0
		.amdhsa_exception_fp_ieee_div_zero 0
		.amdhsa_exception_fp_ieee_overflow 0
		.amdhsa_exception_fp_ieee_underflow 0
		.amdhsa_exception_fp_ieee_inexact 0
		.amdhsa_exception_int_div_zero 0
	.end_amdhsa_kernel
	.section	.text._ZN7rocprim17ROCPRIM_400000_NS6detail17trampoline_kernelINS0_14default_configENS1_25transform_config_selectorItLb0EEEZNS1_14transform_implILb0ES3_S5_NS0_18transform_iteratorINS0_17counting_iteratorImlEEZNS1_24adjacent_difference_implIS3_Lb1ELb0EPKtPtN6thrust23THRUST_200600_302600_NS4plusItEEEE10hipError_tPvRmT2_T3_mT4_P12ihipStream_tbEUlmE_tEESD_NS0_8identityIvEEEESI_SL_SM_mSN_SP_bEUlT_E_NS1_11comp_targetILNS1_3genE0ELNS1_11target_archE4294967295ELNS1_3gpuE0ELNS1_3repE0EEENS1_30default_config_static_selectorELNS0_4arch9wavefront6targetE0EEEvT1_,"axG",@progbits,_ZN7rocprim17ROCPRIM_400000_NS6detail17trampoline_kernelINS0_14default_configENS1_25transform_config_selectorItLb0EEEZNS1_14transform_implILb0ES3_S5_NS0_18transform_iteratorINS0_17counting_iteratorImlEEZNS1_24adjacent_difference_implIS3_Lb1ELb0EPKtPtN6thrust23THRUST_200600_302600_NS4plusItEEEE10hipError_tPvRmT2_T3_mT4_P12ihipStream_tbEUlmE_tEESD_NS0_8identityIvEEEESI_SL_SM_mSN_SP_bEUlT_E_NS1_11comp_targetILNS1_3genE0ELNS1_11target_archE4294967295ELNS1_3gpuE0ELNS1_3repE0EEENS1_30default_config_static_selectorELNS0_4arch9wavefront6targetE0EEEvT1_,comdat
.Lfunc_end681:
	.size	_ZN7rocprim17ROCPRIM_400000_NS6detail17trampoline_kernelINS0_14default_configENS1_25transform_config_selectorItLb0EEEZNS1_14transform_implILb0ES3_S5_NS0_18transform_iteratorINS0_17counting_iteratorImlEEZNS1_24adjacent_difference_implIS3_Lb1ELb0EPKtPtN6thrust23THRUST_200600_302600_NS4plusItEEEE10hipError_tPvRmT2_T3_mT4_P12ihipStream_tbEUlmE_tEESD_NS0_8identityIvEEEESI_SL_SM_mSN_SP_bEUlT_E_NS1_11comp_targetILNS1_3genE0ELNS1_11target_archE4294967295ELNS1_3gpuE0ELNS1_3repE0EEENS1_30default_config_static_selectorELNS0_4arch9wavefront6targetE0EEEvT1_, .Lfunc_end681-_ZN7rocprim17ROCPRIM_400000_NS6detail17trampoline_kernelINS0_14default_configENS1_25transform_config_selectorItLb0EEEZNS1_14transform_implILb0ES3_S5_NS0_18transform_iteratorINS0_17counting_iteratorImlEEZNS1_24adjacent_difference_implIS3_Lb1ELb0EPKtPtN6thrust23THRUST_200600_302600_NS4plusItEEEE10hipError_tPvRmT2_T3_mT4_P12ihipStream_tbEUlmE_tEESD_NS0_8identityIvEEEESI_SL_SM_mSN_SP_bEUlT_E_NS1_11comp_targetILNS1_3genE0ELNS1_11target_archE4294967295ELNS1_3gpuE0ELNS1_3repE0EEENS1_30default_config_static_selectorELNS0_4arch9wavefront6targetE0EEEvT1_
                                        ; -- End function
	.section	.AMDGPU.csdata,"",@progbits
; Kernel info:
; codeLenInByte = 0
; NumSgprs: 0
; NumVgprs: 0
; ScratchSize: 0
; MemoryBound: 0
; FloatMode: 240
; IeeeMode: 1
; LDSByteSize: 0 bytes/workgroup (compile time only)
; SGPRBlocks: 0
; VGPRBlocks: 0
; NumSGPRsForWavesPerEU: 1
; NumVGPRsForWavesPerEU: 1
; Occupancy: 16
; WaveLimiterHint : 0
; COMPUTE_PGM_RSRC2:SCRATCH_EN: 0
; COMPUTE_PGM_RSRC2:USER_SGPR: 15
; COMPUTE_PGM_RSRC2:TRAP_HANDLER: 0
; COMPUTE_PGM_RSRC2:TGID_X_EN: 1
; COMPUTE_PGM_RSRC2:TGID_Y_EN: 0
; COMPUTE_PGM_RSRC2:TGID_Z_EN: 0
; COMPUTE_PGM_RSRC2:TIDIG_COMP_CNT: 0
	.section	.text._ZN7rocprim17ROCPRIM_400000_NS6detail17trampoline_kernelINS0_14default_configENS1_25transform_config_selectorItLb0EEEZNS1_14transform_implILb0ES3_S5_NS0_18transform_iteratorINS0_17counting_iteratorImlEEZNS1_24adjacent_difference_implIS3_Lb1ELb0EPKtPtN6thrust23THRUST_200600_302600_NS4plusItEEEE10hipError_tPvRmT2_T3_mT4_P12ihipStream_tbEUlmE_tEESD_NS0_8identityIvEEEESI_SL_SM_mSN_SP_bEUlT_E_NS1_11comp_targetILNS1_3genE5ELNS1_11target_archE942ELNS1_3gpuE9ELNS1_3repE0EEENS1_30default_config_static_selectorELNS0_4arch9wavefront6targetE0EEEvT1_,"axG",@progbits,_ZN7rocprim17ROCPRIM_400000_NS6detail17trampoline_kernelINS0_14default_configENS1_25transform_config_selectorItLb0EEEZNS1_14transform_implILb0ES3_S5_NS0_18transform_iteratorINS0_17counting_iteratorImlEEZNS1_24adjacent_difference_implIS3_Lb1ELb0EPKtPtN6thrust23THRUST_200600_302600_NS4plusItEEEE10hipError_tPvRmT2_T3_mT4_P12ihipStream_tbEUlmE_tEESD_NS0_8identityIvEEEESI_SL_SM_mSN_SP_bEUlT_E_NS1_11comp_targetILNS1_3genE5ELNS1_11target_archE942ELNS1_3gpuE9ELNS1_3repE0EEENS1_30default_config_static_selectorELNS0_4arch9wavefront6targetE0EEEvT1_,comdat
	.protected	_ZN7rocprim17ROCPRIM_400000_NS6detail17trampoline_kernelINS0_14default_configENS1_25transform_config_selectorItLb0EEEZNS1_14transform_implILb0ES3_S5_NS0_18transform_iteratorINS0_17counting_iteratorImlEEZNS1_24adjacent_difference_implIS3_Lb1ELb0EPKtPtN6thrust23THRUST_200600_302600_NS4plusItEEEE10hipError_tPvRmT2_T3_mT4_P12ihipStream_tbEUlmE_tEESD_NS0_8identityIvEEEESI_SL_SM_mSN_SP_bEUlT_E_NS1_11comp_targetILNS1_3genE5ELNS1_11target_archE942ELNS1_3gpuE9ELNS1_3repE0EEENS1_30default_config_static_selectorELNS0_4arch9wavefront6targetE0EEEvT1_ ; -- Begin function _ZN7rocprim17ROCPRIM_400000_NS6detail17trampoline_kernelINS0_14default_configENS1_25transform_config_selectorItLb0EEEZNS1_14transform_implILb0ES3_S5_NS0_18transform_iteratorINS0_17counting_iteratorImlEEZNS1_24adjacent_difference_implIS3_Lb1ELb0EPKtPtN6thrust23THRUST_200600_302600_NS4plusItEEEE10hipError_tPvRmT2_T3_mT4_P12ihipStream_tbEUlmE_tEESD_NS0_8identityIvEEEESI_SL_SM_mSN_SP_bEUlT_E_NS1_11comp_targetILNS1_3genE5ELNS1_11target_archE942ELNS1_3gpuE9ELNS1_3repE0EEENS1_30default_config_static_selectorELNS0_4arch9wavefront6targetE0EEEvT1_
	.globl	_ZN7rocprim17ROCPRIM_400000_NS6detail17trampoline_kernelINS0_14default_configENS1_25transform_config_selectorItLb0EEEZNS1_14transform_implILb0ES3_S5_NS0_18transform_iteratorINS0_17counting_iteratorImlEEZNS1_24adjacent_difference_implIS3_Lb1ELb0EPKtPtN6thrust23THRUST_200600_302600_NS4plusItEEEE10hipError_tPvRmT2_T3_mT4_P12ihipStream_tbEUlmE_tEESD_NS0_8identityIvEEEESI_SL_SM_mSN_SP_bEUlT_E_NS1_11comp_targetILNS1_3genE5ELNS1_11target_archE942ELNS1_3gpuE9ELNS1_3repE0EEENS1_30default_config_static_selectorELNS0_4arch9wavefront6targetE0EEEvT1_
	.p2align	8
	.type	_ZN7rocprim17ROCPRIM_400000_NS6detail17trampoline_kernelINS0_14default_configENS1_25transform_config_selectorItLb0EEEZNS1_14transform_implILb0ES3_S5_NS0_18transform_iteratorINS0_17counting_iteratorImlEEZNS1_24adjacent_difference_implIS3_Lb1ELb0EPKtPtN6thrust23THRUST_200600_302600_NS4plusItEEEE10hipError_tPvRmT2_T3_mT4_P12ihipStream_tbEUlmE_tEESD_NS0_8identityIvEEEESI_SL_SM_mSN_SP_bEUlT_E_NS1_11comp_targetILNS1_3genE5ELNS1_11target_archE942ELNS1_3gpuE9ELNS1_3repE0EEENS1_30default_config_static_selectorELNS0_4arch9wavefront6targetE0EEEvT1_,@function
_ZN7rocprim17ROCPRIM_400000_NS6detail17trampoline_kernelINS0_14default_configENS1_25transform_config_selectorItLb0EEEZNS1_14transform_implILb0ES3_S5_NS0_18transform_iteratorINS0_17counting_iteratorImlEEZNS1_24adjacent_difference_implIS3_Lb1ELb0EPKtPtN6thrust23THRUST_200600_302600_NS4plusItEEEE10hipError_tPvRmT2_T3_mT4_P12ihipStream_tbEUlmE_tEESD_NS0_8identityIvEEEESI_SL_SM_mSN_SP_bEUlT_E_NS1_11comp_targetILNS1_3genE5ELNS1_11target_archE942ELNS1_3gpuE9ELNS1_3repE0EEENS1_30default_config_static_selectorELNS0_4arch9wavefront6targetE0EEEvT1_: ; @_ZN7rocprim17ROCPRIM_400000_NS6detail17trampoline_kernelINS0_14default_configENS1_25transform_config_selectorItLb0EEEZNS1_14transform_implILb0ES3_S5_NS0_18transform_iteratorINS0_17counting_iteratorImlEEZNS1_24adjacent_difference_implIS3_Lb1ELb0EPKtPtN6thrust23THRUST_200600_302600_NS4plusItEEEE10hipError_tPvRmT2_T3_mT4_P12ihipStream_tbEUlmE_tEESD_NS0_8identityIvEEEESI_SL_SM_mSN_SP_bEUlT_E_NS1_11comp_targetILNS1_3genE5ELNS1_11target_archE942ELNS1_3gpuE9ELNS1_3repE0EEENS1_30default_config_static_selectorELNS0_4arch9wavefront6targetE0EEEvT1_
; %bb.0:
	.section	.rodata,"a",@progbits
	.p2align	6, 0x0
	.amdhsa_kernel _ZN7rocprim17ROCPRIM_400000_NS6detail17trampoline_kernelINS0_14default_configENS1_25transform_config_selectorItLb0EEEZNS1_14transform_implILb0ES3_S5_NS0_18transform_iteratorINS0_17counting_iteratorImlEEZNS1_24adjacent_difference_implIS3_Lb1ELb0EPKtPtN6thrust23THRUST_200600_302600_NS4plusItEEEE10hipError_tPvRmT2_T3_mT4_P12ihipStream_tbEUlmE_tEESD_NS0_8identityIvEEEESI_SL_SM_mSN_SP_bEUlT_E_NS1_11comp_targetILNS1_3genE5ELNS1_11target_archE942ELNS1_3gpuE9ELNS1_3repE0EEENS1_30default_config_static_selectorELNS0_4arch9wavefront6targetE0EEEvT1_
		.amdhsa_group_segment_fixed_size 0
		.amdhsa_private_segment_fixed_size 0
		.amdhsa_kernarg_size 56
		.amdhsa_user_sgpr_count 15
		.amdhsa_user_sgpr_dispatch_ptr 0
		.amdhsa_user_sgpr_queue_ptr 0
		.amdhsa_user_sgpr_kernarg_segment_ptr 1
		.amdhsa_user_sgpr_dispatch_id 0
		.amdhsa_user_sgpr_private_segment_size 0
		.amdhsa_wavefront_size32 1
		.amdhsa_uses_dynamic_stack 0
		.amdhsa_enable_private_segment 0
		.amdhsa_system_sgpr_workgroup_id_x 1
		.amdhsa_system_sgpr_workgroup_id_y 0
		.amdhsa_system_sgpr_workgroup_id_z 0
		.amdhsa_system_sgpr_workgroup_info 0
		.amdhsa_system_vgpr_workitem_id 0
		.amdhsa_next_free_vgpr 1
		.amdhsa_next_free_sgpr 1
		.amdhsa_reserve_vcc 0
		.amdhsa_float_round_mode_32 0
		.amdhsa_float_round_mode_16_64 0
		.amdhsa_float_denorm_mode_32 3
		.amdhsa_float_denorm_mode_16_64 3
		.amdhsa_dx10_clamp 1
		.amdhsa_ieee_mode 1
		.amdhsa_fp16_overflow 0
		.amdhsa_workgroup_processor_mode 1
		.amdhsa_memory_ordered 1
		.amdhsa_forward_progress 0
		.amdhsa_shared_vgpr_count 0
		.amdhsa_exception_fp_ieee_invalid_op 0
		.amdhsa_exception_fp_denorm_src 0
		.amdhsa_exception_fp_ieee_div_zero 0
		.amdhsa_exception_fp_ieee_overflow 0
		.amdhsa_exception_fp_ieee_underflow 0
		.amdhsa_exception_fp_ieee_inexact 0
		.amdhsa_exception_int_div_zero 0
	.end_amdhsa_kernel
	.section	.text._ZN7rocprim17ROCPRIM_400000_NS6detail17trampoline_kernelINS0_14default_configENS1_25transform_config_selectorItLb0EEEZNS1_14transform_implILb0ES3_S5_NS0_18transform_iteratorINS0_17counting_iteratorImlEEZNS1_24adjacent_difference_implIS3_Lb1ELb0EPKtPtN6thrust23THRUST_200600_302600_NS4plusItEEEE10hipError_tPvRmT2_T3_mT4_P12ihipStream_tbEUlmE_tEESD_NS0_8identityIvEEEESI_SL_SM_mSN_SP_bEUlT_E_NS1_11comp_targetILNS1_3genE5ELNS1_11target_archE942ELNS1_3gpuE9ELNS1_3repE0EEENS1_30default_config_static_selectorELNS0_4arch9wavefront6targetE0EEEvT1_,"axG",@progbits,_ZN7rocprim17ROCPRIM_400000_NS6detail17trampoline_kernelINS0_14default_configENS1_25transform_config_selectorItLb0EEEZNS1_14transform_implILb0ES3_S5_NS0_18transform_iteratorINS0_17counting_iteratorImlEEZNS1_24adjacent_difference_implIS3_Lb1ELb0EPKtPtN6thrust23THRUST_200600_302600_NS4plusItEEEE10hipError_tPvRmT2_T3_mT4_P12ihipStream_tbEUlmE_tEESD_NS0_8identityIvEEEESI_SL_SM_mSN_SP_bEUlT_E_NS1_11comp_targetILNS1_3genE5ELNS1_11target_archE942ELNS1_3gpuE9ELNS1_3repE0EEENS1_30default_config_static_selectorELNS0_4arch9wavefront6targetE0EEEvT1_,comdat
.Lfunc_end682:
	.size	_ZN7rocprim17ROCPRIM_400000_NS6detail17trampoline_kernelINS0_14default_configENS1_25transform_config_selectorItLb0EEEZNS1_14transform_implILb0ES3_S5_NS0_18transform_iteratorINS0_17counting_iteratorImlEEZNS1_24adjacent_difference_implIS3_Lb1ELb0EPKtPtN6thrust23THRUST_200600_302600_NS4plusItEEEE10hipError_tPvRmT2_T3_mT4_P12ihipStream_tbEUlmE_tEESD_NS0_8identityIvEEEESI_SL_SM_mSN_SP_bEUlT_E_NS1_11comp_targetILNS1_3genE5ELNS1_11target_archE942ELNS1_3gpuE9ELNS1_3repE0EEENS1_30default_config_static_selectorELNS0_4arch9wavefront6targetE0EEEvT1_, .Lfunc_end682-_ZN7rocprim17ROCPRIM_400000_NS6detail17trampoline_kernelINS0_14default_configENS1_25transform_config_selectorItLb0EEEZNS1_14transform_implILb0ES3_S5_NS0_18transform_iteratorINS0_17counting_iteratorImlEEZNS1_24adjacent_difference_implIS3_Lb1ELb0EPKtPtN6thrust23THRUST_200600_302600_NS4plusItEEEE10hipError_tPvRmT2_T3_mT4_P12ihipStream_tbEUlmE_tEESD_NS0_8identityIvEEEESI_SL_SM_mSN_SP_bEUlT_E_NS1_11comp_targetILNS1_3genE5ELNS1_11target_archE942ELNS1_3gpuE9ELNS1_3repE0EEENS1_30default_config_static_selectorELNS0_4arch9wavefront6targetE0EEEvT1_
                                        ; -- End function
	.section	.AMDGPU.csdata,"",@progbits
; Kernel info:
; codeLenInByte = 0
; NumSgprs: 0
; NumVgprs: 0
; ScratchSize: 0
; MemoryBound: 0
; FloatMode: 240
; IeeeMode: 1
; LDSByteSize: 0 bytes/workgroup (compile time only)
; SGPRBlocks: 0
; VGPRBlocks: 0
; NumSGPRsForWavesPerEU: 1
; NumVGPRsForWavesPerEU: 1
; Occupancy: 16
; WaveLimiterHint : 0
; COMPUTE_PGM_RSRC2:SCRATCH_EN: 0
; COMPUTE_PGM_RSRC2:USER_SGPR: 15
; COMPUTE_PGM_RSRC2:TRAP_HANDLER: 0
; COMPUTE_PGM_RSRC2:TGID_X_EN: 1
; COMPUTE_PGM_RSRC2:TGID_Y_EN: 0
; COMPUTE_PGM_RSRC2:TGID_Z_EN: 0
; COMPUTE_PGM_RSRC2:TIDIG_COMP_CNT: 0
	.section	.text._ZN7rocprim17ROCPRIM_400000_NS6detail17trampoline_kernelINS0_14default_configENS1_25transform_config_selectorItLb0EEEZNS1_14transform_implILb0ES3_S5_NS0_18transform_iteratorINS0_17counting_iteratorImlEEZNS1_24adjacent_difference_implIS3_Lb1ELb0EPKtPtN6thrust23THRUST_200600_302600_NS4plusItEEEE10hipError_tPvRmT2_T3_mT4_P12ihipStream_tbEUlmE_tEESD_NS0_8identityIvEEEESI_SL_SM_mSN_SP_bEUlT_E_NS1_11comp_targetILNS1_3genE4ELNS1_11target_archE910ELNS1_3gpuE8ELNS1_3repE0EEENS1_30default_config_static_selectorELNS0_4arch9wavefront6targetE0EEEvT1_,"axG",@progbits,_ZN7rocprim17ROCPRIM_400000_NS6detail17trampoline_kernelINS0_14default_configENS1_25transform_config_selectorItLb0EEEZNS1_14transform_implILb0ES3_S5_NS0_18transform_iteratorINS0_17counting_iteratorImlEEZNS1_24adjacent_difference_implIS3_Lb1ELb0EPKtPtN6thrust23THRUST_200600_302600_NS4plusItEEEE10hipError_tPvRmT2_T3_mT4_P12ihipStream_tbEUlmE_tEESD_NS0_8identityIvEEEESI_SL_SM_mSN_SP_bEUlT_E_NS1_11comp_targetILNS1_3genE4ELNS1_11target_archE910ELNS1_3gpuE8ELNS1_3repE0EEENS1_30default_config_static_selectorELNS0_4arch9wavefront6targetE0EEEvT1_,comdat
	.protected	_ZN7rocprim17ROCPRIM_400000_NS6detail17trampoline_kernelINS0_14default_configENS1_25transform_config_selectorItLb0EEEZNS1_14transform_implILb0ES3_S5_NS0_18transform_iteratorINS0_17counting_iteratorImlEEZNS1_24adjacent_difference_implIS3_Lb1ELb0EPKtPtN6thrust23THRUST_200600_302600_NS4plusItEEEE10hipError_tPvRmT2_T3_mT4_P12ihipStream_tbEUlmE_tEESD_NS0_8identityIvEEEESI_SL_SM_mSN_SP_bEUlT_E_NS1_11comp_targetILNS1_3genE4ELNS1_11target_archE910ELNS1_3gpuE8ELNS1_3repE0EEENS1_30default_config_static_selectorELNS0_4arch9wavefront6targetE0EEEvT1_ ; -- Begin function _ZN7rocprim17ROCPRIM_400000_NS6detail17trampoline_kernelINS0_14default_configENS1_25transform_config_selectorItLb0EEEZNS1_14transform_implILb0ES3_S5_NS0_18transform_iteratorINS0_17counting_iteratorImlEEZNS1_24adjacent_difference_implIS3_Lb1ELb0EPKtPtN6thrust23THRUST_200600_302600_NS4plusItEEEE10hipError_tPvRmT2_T3_mT4_P12ihipStream_tbEUlmE_tEESD_NS0_8identityIvEEEESI_SL_SM_mSN_SP_bEUlT_E_NS1_11comp_targetILNS1_3genE4ELNS1_11target_archE910ELNS1_3gpuE8ELNS1_3repE0EEENS1_30default_config_static_selectorELNS0_4arch9wavefront6targetE0EEEvT1_
	.globl	_ZN7rocprim17ROCPRIM_400000_NS6detail17trampoline_kernelINS0_14default_configENS1_25transform_config_selectorItLb0EEEZNS1_14transform_implILb0ES3_S5_NS0_18transform_iteratorINS0_17counting_iteratorImlEEZNS1_24adjacent_difference_implIS3_Lb1ELb0EPKtPtN6thrust23THRUST_200600_302600_NS4plusItEEEE10hipError_tPvRmT2_T3_mT4_P12ihipStream_tbEUlmE_tEESD_NS0_8identityIvEEEESI_SL_SM_mSN_SP_bEUlT_E_NS1_11comp_targetILNS1_3genE4ELNS1_11target_archE910ELNS1_3gpuE8ELNS1_3repE0EEENS1_30default_config_static_selectorELNS0_4arch9wavefront6targetE0EEEvT1_
	.p2align	8
	.type	_ZN7rocprim17ROCPRIM_400000_NS6detail17trampoline_kernelINS0_14default_configENS1_25transform_config_selectorItLb0EEEZNS1_14transform_implILb0ES3_S5_NS0_18transform_iteratorINS0_17counting_iteratorImlEEZNS1_24adjacent_difference_implIS3_Lb1ELb0EPKtPtN6thrust23THRUST_200600_302600_NS4plusItEEEE10hipError_tPvRmT2_T3_mT4_P12ihipStream_tbEUlmE_tEESD_NS0_8identityIvEEEESI_SL_SM_mSN_SP_bEUlT_E_NS1_11comp_targetILNS1_3genE4ELNS1_11target_archE910ELNS1_3gpuE8ELNS1_3repE0EEENS1_30default_config_static_selectorELNS0_4arch9wavefront6targetE0EEEvT1_,@function
_ZN7rocprim17ROCPRIM_400000_NS6detail17trampoline_kernelINS0_14default_configENS1_25transform_config_selectorItLb0EEEZNS1_14transform_implILb0ES3_S5_NS0_18transform_iteratorINS0_17counting_iteratorImlEEZNS1_24adjacent_difference_implIS3_Lb1ELb0EPKtPtN6thrust23THRUST_200600_302600_NS4plusItEEEE10hipError_tPvRmT2_T3_mT4_P12ihipStream_tbEUlmE_tEESD_NS0_8identityIvEEEESI_SL_SM_mSN_SP_bEUlT_E_NS1_11comp_targetILNS1_3genE4ELNS1_11target_archE910ELNS1_3gpuE8ELNS1_3repE0EEENS1_30default_config_static_selectorELNS0_4arch9wavefront6targetE0EEEvT1_: ; @_ZN7rocprim17ROCPRIM_400000_NS6detail17trampoline_kernelINS0_14default_configENS1_25transform_config_selectorItLb0EEEZNS1_14transform_implILb0ES3_S5_NS0_18transform_iteratorINS0_17counting_iteratorImlEEZNS1_24adjacent_difference_implIS3_Lb1ELb0EPKtPtN6thrust23THRUST_200600_302600_NS4plusItEEEE10hipError_tPvRmT2_T3_mT4_P12ihipStream_tbEUlmE_tEESD_NS0_8identityIvEEEESI_SL_SM_mSN_SP_bEUlT_E_NS1_11comp_targetILNS1_3genE4ELNS1_11target_archE910ELNS1_3gpuE8ELNS1_3repE0EEENS1_30default_config_static_selectorELNS0_4arch9wavefront6targetE0EEEvT1_
; %bb.0:
	.section	.rodata,"a",@progbits
	.p2align	6, 0x0
	.amdhsa_kernel _ZN7rocprim17ROCPRIM_400000_NS6detail17trampoline_kernelINS0_14default_configENS1_25transform_config_selectorItLb0EEEZNS1_14transform_implILb0ES3_S5_NS0_18transform_iteratorINS0_17counting_iteratorImlEEZNS1_24adjacent_difference_implIS3_Lb1ELb0EPKtPtN6thrust23THRUST_200600_302600_NS4plusItEEEE10hipError_tPvRmT2_T3_mT4_P12ihipStream_tbEUlmE_tEESD_NS0_8identityIvEEEESI_SL_SM_mSN_SP_bEUlT_E_NS1_11comp_targetILNS1_3genE4ELNS1_11target_archE910ELNS1_3gpuE8ELNS1_3repE0EEENS1_30default_config_static_selectorELNS0_4arch9wavefront6targetE0EEEvT1_
		.amdhsa_group_segment_fixed_size 0
		.amdhsa_private_segment_fixed_size 0
		.amdhsa_kernarg_size 56
		.amdhsa_user_sgpr_count 15
		.amdhsa_user_sgpr_dispatch_ptr 0
		.amdhsa_user_sgpr_queue_ptr 0
		.amdhsa_user_sgpr_kernarg_segment_ptr 1
		.amdhsa_user_sgpr_dispatch_id 0
		.amdhsa_user_sgpr_private_segment_size 0
		.amdhsa_wavefront_size32 1
		.amdhsa_uses_dynamic_stack 0
		.amdhsa_enable_private_segment 0
		.amdhsa_system_sgpr_workgroup_id_x 1
		.amdhsa_system_sgpr_workgroup_id_y 0
		.amdhsa_system_sgpr_workgroup_id_z 0
		.amdhsa_system_sgpr_workgroup_info 0
		.amdhsa_system_vgpr_workitem_id 0
		.amdhsa_next_free_vgpr 1
		.amdhsa_next_free_sgpr 1
		.amdhsa_reserve_vcc 0
		.amdhsa_float_round_mode_32 0
		.amdhsa_float_round_mode_16_64 0
		.amdhsa_float_denorm_mode_32 3
		.amdhsa_float_denorm_mode_16_64 3
		.amdhsa_dx10_clamp 1
		.amdhsa_ieee_mode 1
		.amdhsa_fp16_overflow 0
		.amdhsa_workgroup_processor_mode 1
		.amdhsa_memory_ordered 1
		.amdhsa_forward_progress 0
		.amdhsa_shared_vgpr_count 0
		.amdhsa_exception_fp_ieee_invalid_op 0
		.amdhsa_exception_fp_denorm_src 0
		.amdhsa_exception_fp_ieee_div_zero 0
		.amdhsa_exception_fp_ieee_overflow 0
		.amdhsa_exception_fp_ieee_underflow 0
		.amdhsa_exception_fp_ieee_inexact 0
		.amdhsa_exception_int_div_zero 0
	.end_amdhsa_kernel
	.section	.text._ZN7rocprim17ROCPRIM_400000_NS6detail17trampoline_kernelINS0_14default_configENS1_25transform_config_selectorItLb0EEEZNS1_14transform_implILb0ES3_S5_NS0_18transform_iteratorINS0_17counting_iteratorImlEEZNS1_24adjacent_difference_implIS3_Lb1ELb0EPKtPtN6thrust23THRUST_200600_302600_NS4plusItEEEE10hipError_tPvRmT2_T3_mT4_P12ihipStream_tbEUlmE_tEESD_NS0_8identityIvEEEESI_SL_SM_mSN_SP_bEUlT_E_NS1_11comp_targetILNS1_3genE4ELNS1_11target_archE910ELNS1_3gpuE8ELNS1_3repE0EEENS1_30default_config_static_selectorELNS0_4arch9wavefront6targetE0EEEvT1_,"axG",@progbits,_ZN7rocprim17ROCPRIM_400000_NS6detail17trampoline_kernelINS0_14default_configENS1_25transform_config_selectorItLb0EEEZNS1_14transform_implILb0ES3_S5_NS0_18transform_iteratorINS0_17counting_iteratorImlEEZNS1_24adjacent_difference_implIS3_Lb1ELb0EPKtPtN6thrust23THRUST_200600_302600_NS4plusItEEEE10hipError_tPvRmT2_T3_mT4_P12ihipStream_tbEUlmE_tEESD_NS0_8identityIvEEEESI_SL_SM_mSN_SP_bEUlT_E_NS1_11comp_targetILNS1_3genE4ELNS1_11target_archE910ELNS1_3gpuE8ELNS1_3repE0EEENS1_30default_config_static_selectorELNS0_4arch9wavefront6targetE0EEEvT1_,comdat
.Lfunc_end683:
	.size	_ZN7rocprim17ROCPRIM_400000_NS6detail17trampoline_kernelINS0_14default_configENS1_25transform_config_selectorItLb0EEEZNS1_14transform_implILb0ES3_S5_NS0_18transform_iteratorINS0_17counting_iteratorImlEEZNS1_24adjacent_difference_implIS3_Lb1ELb0EPKtPtN6thrust23THRUST_200600_302600_NS4plusItEEEE10hipError_tPvRmT2_T3_mT4_P12ihipStream_tbEUlmE_tEESD_NS0_8identityIvEEEESI_SL_SM_mSN_SP_bEUlT_E_NS1_11comp_targetILNS1_3genE4ELNS1_11target_archE910ELNS1_3gpuE8ELNS1_3repE0EEENS1_30default_config_static_selectorELNS0_4arch9wavefront6targetE0EEEvT1_, .Lfunc_end683-_ZN7rocprim17ROCPRIM_400000_NS6detail17trampoline_kernelINS0_14default_configENS1_25transform_config_selectorItLb0EEEZNS1_14transform_implILb0ES3_S5_NS0_18transform_iteratorINS0_17counting_iteratorImlEEZNS1_24adjacent_difference_implIS3_Lb1ELb0EPKtPtN6thrust23THRUST_200600_302600_NS4plusItEEEE10hipError_tPvRmT2_T3_mT4_P12ihipStream_tbEUlmE_tEESD_NS0_8identityIvEEEESI_SL_SM_mSN_SP_bEUlT_E_NS1_11comp_targetILNS1_3genE4ELNS1_11target_archE910ELNS1_3gpuE8ELNS1_3repE0EEENS1_30default_config_static_selectorELNS0_4arch9wavefront6targetE0EEEvT1_
                                        ; -- End function
	.section	.AMDGPU.csdata,"",@progbits
; Kernel info:
; codeLenInByte = 0
; NumSgprs: 0
; NumVgprs: 0
; ScratchSize: 0
; MemoryBound: 0
; FloatMode: 240
; IeeeMode: 1
; LDSByteSize: 0 bytes/workgroup (compile time only)
; SGPRBlocks: 0
; VGPRBlocks: 0
; NumSGPRsForWavesPerEU: 1
; NumVGPRsForWavesPerEU: 1
; Occupancy: 16
; WaveLimiterHint : 0
; COMPUTE_PGM_RSRC2:SCRATCH_EN: 0
; COMPUTE_PGM_RSRC2:USER_SGPR: 15
; COMPUTE_PGM_RSRC2:TRAP_HANDLER: 0
; COMPUTE_PGM_RSRC2:TGID_X_EN: 1
; COMPUTE_PGM_RSRC2:TGID_Y_EN: 0
; COMPUTE_PGM_RSRC2:TGID_Z_EN: 0
; COMPUTE_PGM_RSRC2:TIDIG_COMP_CNT: 0
	.section	.text._ZN7rocprim17ROCPRIM_400000_NS6detail17trampoline_kernelINS0_14default_configENS1_25transform_config_selectorItLb0EEEZNS1_14transform_implILb0ES3_S5_NS0_18transform_iteratorINS0_17counting_iteratorImlEEZNS1_24adjacent_difference_implIS3_Lb1ELb0EPKtPtN6thrust23THRUST_200600_302600_NS4plusItEEEE10hipError_tPvRmT2_T3_mT4_P12ihipStream_tbEUlmE_tEESD_NS0_8identityIvEEEESI_SL_SM_mSN_SP_bEUlT_E_NS1_11comp_targetILNS1_3genE3ELNS1_11target_archE908ELNS1_3gpuE7ELNS1_3repE0EEENS1_30default_config_static_selectorELNS0_4arch9wavefront6targetE0EEEvT1_,"axG",@progbits,_ZN7rocprim17ROCPRIM_400000_NS6detail17trampoline_kernelINS0_14default_configENS1_25transform_config_selectorItLb0EEEZNS1_14transform_implILb0ES3_S5_NS0_18transform_iteratorINS0_17counting_iteratorImlEEZNS1_24adjacent_difference_implIS3_Lb1ELb0EPKtPtN6thrust23THRUST_200600_302600_NS4plusItEEEE10hipError_tPvRmT2_T3_mT4_P12ihipStream_tbEUlmE_tEESD_NS0_8identityIvEEEESI_SL_SM_mSN_SP_bEUlT_E_NS1_11comp_targetILNS1_3genE3ELNS1_11target_archE908ELNS1_3gpuE7ELNS1_3repE0EEENS1_30default_config_static_selectorELNS0_4arch9wavefront6targetE0EEEvT1_,comdat
	.protected	_ZN7rocprim17ROCPRIM_400000_NS6detail17trampoline_kernelINS0_14default_configENS1_25transform_config_selectorItLb0EEEZNS1_14transform_implILb0ES3_S5_NS0_18transform_iteratorINS0_17counting_iteratorImlEEZNS1_24adjacent_difference_implIS3_Lb1ELb0EPKtPtN6thrust23THRUST_200600_302600_NS4plusItEEEE10hipError_tPvRmT2_T3_mT4_P12ihipStream_tbEUlmE_tEESD_NS0_8identityIvEEEESI_SL_SM_mSN_SP_bEUlT_E_NS1_11comp_targetILNS1_3genE3ELNS1_11target_archE908ELNS1_3gpuE7ELNS1_3repE0EEENS1_30default_config_static_selectorELNS0_4arch9wavefront6targetE0EEEvT1_ ; -- Begin function _ZN7rocprim17ROCPRIM_400000_NS6detail17trampoline_kernelINS0_14default_configENS1_25transform_config_selectorItLb0EEEZNS1_14transform_implILb0ES3_S5_NS0_18transform_iteratorINS0_17counting_iteratorImlEEZNS1_24adjacent_difference_implIS3_Lb1ELb0EPKtPtN6thrust23THRUST_200600_302600_NS4plusItEEEE10hipError_tPvRmT2_T3_mT4_P12ihipStream_tbEUlmE_tEESD_NS0_8identityIvEEEESI_SL_SM_mSN_SP_bEUlT_E_NS1_11comp_targetILNS1_3genE3ELNS1_11target_archE908ELNS1_3gpuE7ELNS1_3repE0EEENS1_30default_config_static_selectorELNS0_4arch9wavefront6targetE0EEEvT1_
	.globl	_ZN7rocprim17ROCPRIM_400000_NS6detail17trampoline_kernelINS0_14default_configENS1_25transform_config_selectorItLb0EEEZNS1_14transform_implILb0ES3_S5_NS0_18transform_iteratorINS0_17counting_iteratorImlEEZNS1_24adjacent_difference_implIS3_Lb1ELb0EPKtPtN6thrust23THRUST_200600_302600_NS4plusItEEEE10hipError_tPvRmT2_T3_mT4_P12ihipStream_tbEUlmE_tEESD_NS0_8identityIvEEEESI_SL_SM_mSN_SP_bEUlT_E_NS1_11comp_targetILNS1_3genE3ELNS1_11target_archE908ELNS1_3gpuE7ELNS1_3repE0EEENS1_30default_config_static_selectorELNS0_4arch9wavefront6targetE0EEEvT1_
	.p2align	8
	.type	_ZN7rocprim17ROCPRIM_400000_NS6detail17trampoline_kernelINS0_14default_configENS1_25transform_config_selectorItLb0EEEZNS1_14transform_implILb0ES3_S5_NS0_18transform_iteratorINS0_17counting_iteratorImlEEZNS1_24adjacent_difference_implIS3_Lb1ELb0EPKtPtN6thrust23THRUST_200600_302600_NS4plusItEEEE10hipError_tPvRmT2_T3_mT4_P12ihipStream_tbEUlmE_tEESD_NS0_8identityIvEEEESI_SL_SM_mSN_SP_bEUlT_E_NS1_11comp_targetILNS1_3genE3ELNS1_11target_archE908ELNS1_3gpuE7ELNS1_3repE0EEENS1_30default_config_static_selectorELNS0_4arch9wavefront6targetE0EEEvT1_,@function
_ZN7rocprim17ROCPRIM_400000_NS6detail17trampoline_kernelINS0_14default_configENS1_25transform_config_selectorItLb0EEEZNS1_14transform_implILb0ES3_S5_NS0_18transform_iteratorINS0_17counting_iteratorImlEEZNS1_24adjacent_difference_implIS3_Lb1ELb0EPKtPtN6thrust23THRUST_200600_302600_NS4plusItEEEE10hipError_tPvRmT2_T3_mT4_P12ihipStream_tbEUlmE_tEESD_NS0_8identityIvEEEESI_SL_SM_mSN_SP_bEUlT_E_NS1_11comp_targetILNS1_3genE3ELNS1_11target_archE908ELNS1_3gpuE7ELNS1_3repE0EEENS1_30default_config_static_selectorELNS0_4arch9wavefront6targetE0EEEvT1_: ; @_ZN7rocprim17ROCPRIM_400000_NS6detail17trampoline_kernelINS0_14default_configENS1_25transform_config_selectorItLb0EEEZNS1_14transform_implILb0ES3_S5_NS0_18transform_iteratorINS0_17counting_iteratorImlEEZNS1_24adjacent_difference_implIS3_Lb1ELb0EPKtPtN6thrust23THRUST_200600_302600_NS4plusItEEEE10hipError_tPvRmT2_T3_mT4_P12ihipStream_tbEUlmE_tEESD_NS0_8identityIvEEEESI_SL_SM_mSN_SP_bEUlT_E_NS1_11comp_targetILNS1_3genE3ELNS1_11target_archE908ELNS1_3gpuE7ELNS1_3repE0EEENS1_30default_config_static_selectorELNS0_4arch9wavefront6targetE0EEEvT1_
; %bb.0:
	.section	.rodata,"a",@progbits
	.p2align	6, 0x0
	.amdhsa_kernel _ZN7rocprim17ROCPRIM_400000_NS6detail17trampoline_kernelINS0_14default_configENS1_25transform_config_selectorItLb0EEEZNS1_14transform_implILb0ES3_S5_NS0_18transform_iteratorINS0_17counting_iteratorImlEEZNS1_24adjacent_difference_implIS3_Lb1ELb0EPKtPtN6thrust23THRUST_200600_302600_NS4plusItEEEE10hipError_tPvRmT2_T3_mT4_P12ihipStream_tbEUlmE_tEESD_NS0_8identityIvEEEESI_SL_SM_mSN_SP_bEUlT_E_NS1_11comp_targetILNS1_3genE3ELNS1_11target_archE908ELNS1_3gpuE7ELNS1_3repE0EEENS1_30default_config_static_selectorELNS0_4arch9wavefront6targetE0EEEvT1_
		.amdhsa_group_segment_fixed_size 0
		.amdhsa_private_segment_fixed_size 0
		.amdhsa_kernarg_size 56
		.amdhsa_user_sgpr_count 15
		.amdhsa_user_sgpr_dispatch_ptr 0
		.amdhsa_user_sgpr_queue_ptr 0
		.amdhsa_user_sgpr_kernarg_segment_ptr 1
		.amdhsa_user_sgpr_dispatch_id 0
		.amdhsa_user_sgpr_private_segment_size 0
		.amdhsa_wavefront_size32 1
		.amdhsa_uses_dynamic_stack 0
		.amdhsa_enable_private_segment 0
		.amdhsa_system_sgpr_workgroup_id_x 1
		.amdhsa_system_sgpr_workgroup_id_y 0
		.amdhsa_system_sgpr_workgroup_id_z 0
		.amdhsa_system_sgpr_workgroup_info 0
		.amdhsa_system_vgpr_workitem_id 0
		.amdhsa_next_free_vgpr 1
		.amdhsa_next_free_sgpr 1
		.amdhsa_reserve_vcc 0
		.amdhsa_float_round_mode_32 0
		.amdhsa_float_round_mode_16_64 0
		.amdhsa_float_denorm_mode_32 3
		.amdhsa_float_denorm_mode_16_64 3
		.amdhsa_dx10_clamp 1
		.amdhsa_ieee_mode 1
		.amdhsa_fp16_overflow 0
		.amdhsa_workgroup_processor_mode 1
		.amdhsa_memory_ordered 1
		.amdhsa_forward_progress 0
		.amdhsa_shared_vgpr_count 0
		.amdhsa_exception_fp_ieee_invalid_op 0
		.amdhsa_exception_fp_denorm_src 0
		.amdhsa_exception_fp_ieee_div_zero 0
		.amdhsa_exception_fp_ieee_overflow 0
		.amdhsa_exception_fp_ieee_underflow 0
		.amdhsa_exception_fp_ieee_inexact 0
		.amdhsa_exception_int_div_zero 0
	.end_amdhsa_kernel
	.section	.text._ZN7rocprim17ROCPRIM_400000_NS6detail17trampoline_kernelINS0_14default_configENS1_25transform_config_selectorItLb0EEEZNS1_14transform_implILb0ES3_S5_NS0_18transform_iteratorINS0_17counting_iteratorImlEEZNS1_24adjacent_difference_implIS3_Lb1ELb0EPKtPtN6thrust23THRUST_200600_302600_NS4plusItEEEE10hipError_tPvRmT2_T3_mT4_P12ihipStream_tbEUlmE_tEESD_NS0_8identityIvEEEESI_SL_SM_mSN_SP_bEUlT_E_NS1_11comp_targetILNS1_3genE3ELNS1_11target_archE908ELNS1_3gpuE7ELNS1_3repE0EEENS1_30default_config_static_selectorELNS0_4arch9wavefront6targetE0EEEvT1_,"axG",@progbits,_ZN7rocprim17ROCPRIM_400000_NS6detail17trampoline_kernelINS0_14default_configENS1_25transform_config_selectorItLb0EEEZNS1_14transform_implILb0ES3_S5_NS0_18transform_iteratorINS0_17counting_iteratorImlEEZNS1_24adjacent_difference_implIS3_Lb1ELb0EPKtPtN6thrust23THRUST_200600_302600_NS4plusItEEEE10hipError_tPvRmT2_T3_mT4_P12ihipStream_tbEUlmE_tEESD_NS0_8identityIvEEEESI_SL_SM_mSN_SP_bEUlT_E_NS1_11comp_targetILNS1_3genE3ELNS1_11target_archE908ELNS1_3gpuE7ELNS1_3repE0EEENS1_30default_config_static_selectorELNS0_4arch9wavefront6targetE0EEEvT1_,comdat
.Lfunc_end684:
	.size	_ZN7rocprim17ROCPRIM_400000_NS6detail17trampoline_kernelINS0_14default_configENS1_25transform_config_selectorItLb0EEEZNS1_14transform_implILb0ES3_S5_NS0_18transform_iteratorINS0_17counting_iteratorImlEEZNS1_24adjacent_difference_implIS3_Lb1ELb0EPKtPtN6thrust23THRUST_200600_302600_NS4plusItEEEE10hipError_tPvRmT2_T3_mT4_P12ihipStream_tbEUlmE_tEESD_NS0_8identityIvEEEESI_SL_SM_mSN_SP_bEUlT_E_NS1_11comp_targetILNS1_3genE3ELNS1_11target_archE908ELNS1_3gpuE7ELNS1_3repE0EEENS1_30default_config_static_selectorELNS0_4arch9wavefront6targetE0EEEvT1_, .Lfunc_end684-_ZN7rocprim17ROCPRIM_400000_NS6detail17trampoline_kernelINS0_14default_configENS1_25transform_config_selectorItLb0EEEZNS1_14transform_implILb0ES3_S5_NS0_18transform_iteratorINS0_17counting_iteratorImlEEZNS1_24adjacent_difference_implIS3_Lb1ELb0EPKtPtN6thrust23THRUST_200600_302600_NS4plusItEEEE10hipError_tPvRmT2_T3_mT4_P12ihipStream_tbEUlmE_tEESD_NS0_8identityIvEEEESI_SL_SM_mSN_SP_bEUlT_E_NS1_11comp_targetILNS1_3genE3ELNS1_11target_archE908ELNS1_3gpuE7ELNS1_3repE0EEENS1_30default_config_static_selectorELNS0_4arch9wavefront6targetE0EEEvT1_
                                        ; -- End function
	.section	.AMDGPU.csdata,"",@progbits
; Kernel info:
; codeLenInByte = 0
; NumSgprs: 0
; NumVgprs: 0
; ScratchSize: 0
; MemoryBound: 0
; FloatMode: 240
; IeeeMode: 1
; LDSByteSize: 0 bytes/workgroup (compile time only)
; SGPRBlocks: 0
; VGPRBlocks: 0
; NumSGPRsForWavesPerEU: 1
; NumVGPRsForWavesPerEU: 1
; Occupancy: 16
; WaveLimiterHint : 0
; COMPUTE_PGM_RSRC2:SCRATCH_EN: 0
; COMPUTE_PGM_RSRC2:USER_SGPR: 15
; COMPUTE_PGM_RSRC2:TRAP_HANDLER: 0
; COMPUTE_PGM_RSRC2:TGID_X_EN: 1
; COMPUTE_PGM_RSRC2:TGID_Y_EN: 0
; COMPUTE_PGM_RSRC2:TGID_Z_EN: 0
; COMPUTE_PGM_RSRC2:TIDIG_COMP_CNT: 0
	.section	.text._ZN7rocprim17ROCPRIM_400000_NS6detail17trampoline_kernelINS0_14default_configENS1_25transform_config_selectorItLb0EEEZNS1_14transform_implILb0ES3_S5_NS0_18transform_iteratorINS0_17counting_iteratorImlEEZNS1_24adjacent_difference_implIS3_Lb1ELb0EPKtPtN6thrust23THRUST_200600_302600_NS4plusItEEEE10hipError_tPvRmT2_T3_mT4_P12ihipStream_tbEUlmE_tEESD_NS0_8identityIvEEEESI_SL_SM_mSN_SP_bEUlT_E_NS1_11comp_targetILNS1_3genE2ELNS1_11target_archE906ELNS1_3gpuE6ELNS1_3repE0EEENS1_30default_config_static_selectorELNS0_4arch9wavefront6targetE0EEEvT1_,"axG",@progbits,_ZN7rocprim17ROCPRIM_400000_NS6detail17trampoline_kernelINS0_14default_configENS1_25transform_config_selectorItLb0EEEZNS1_14transform_implILb0ES3_S5_NS0_18transform_iteratorINS0_17counting_iteratorImlEEZNS1_24adjacent_difference_implIS3_Lb1ELb0EPKtPtN6thrust23THRUST_200600_302600_NS4plusItEEEE10hipError_tPvRmT2_T3_mT4_P12ihipStream_tbEUlmE_tEESD_NS0_8identityIvEEEESI_SL_SM_mSN_SP_bEUlT_E_NS1_11comp_targetILNS1_3genE2ELNS1_11target_archE906ELNS1_3gpuE6ELNS1_3repE0EEENS1_30default_config_static_selectorELNS0_4arch9wavefront6targetE0EEEvT1_,comdat
	.protected	_ZN7rocprim17ROCPRIM_400000_NS6detail17trampoline_kernelINS0_14default_configENS1_25transform_config_selectorItLb0EEEZNS1_14transform_implILb0ES3_S5_NS0_18transform_iteratorINS0_17counting_iteratorImlEEZNS1_24adjacent_difference_implIS3_Lb1ELb0EPKtPtN6thrust23THRUST_200600_302600_NS4plusItEEEE10hipError_tPvRmT2_T3_mT4_P12ihipStream_tbEUlmE_tEESD_NS0_8identityIvEEEESI_SL_SM_mSN_SP_bEUlT_E_NS1_11comp_targetILNS1_3genE2ELNS1_11target_archE906ELNS1_3gpuE6ELNS1_3repE0EEENS1_30default_config_static_selectorELNS0_4arch9wavefront6targetE0EEEvT1_ ; -- Begin function _ZN7rocprim17ROCPRIM_400000_NS6detail17trampoline_kernelINS0_14default_configENS1_25transform_config_selectorItLb0EEEZNS1_14transform_implILb0ES3_S5_NS0_18transform_iteratorINS0_17counting_iteratorImlEEZNS1_24adjacent_difference_implIS3_Lb1ELb0EPKtPtN6thrust23THRUST_200600_302600_NS4plusItEEEE10hipError_tPvRmT2_T3_mT4_P12ihipStream_tbEUlmE_tEESD_NS0_8identityIvEEEESI_SL_SM_mSN_SP_bEUlT_E_NS1_11comp_targetILNS1_3genE2ELNS1_11target_archE906ELNS1_3gpuE6ELNS1_3repE0EEENS1_30default_config_static_selectorELNS0_4arch9wavefront6targetE0EEEvT1_
	.globl	_ZN7rocprim17ROCPRIM_400000_NS6detail17trampoline_kernelINS0_14default_configENS1_25transform_config_selectorItLb0EEEZNS1_14transform_implILb0ES3_S5_NS0_18transform_iteratorINS0_17counting_iteratorImlEEZNS1_24adjacent_difference_implIS3_Lb1ELb0EPKtPtN6thrust23THRUST_200600_302600_NS4plusItEEEE10hipError_tPvRmT2_T3_mT4_P12ihipStream_tbEUlmE_tEESD_NS0_8identityIvEEEESI_SL_SM_mSN_SP_bEUlT_E_NS1_11comp_targetILNS1_3genE2ELNS1_11target_archE906ELNS1_3gpuE6ELNS1_3repE0EEENS1_30default_config_static_selectorELNS0_4arch9wavefront6targetE0EEEvT1_
	.p2align	8
	.type	_ZN7rocprim17ROCPRIM_400000_NS6detail17trampoline_kernelINS0_14default_configENS1_25transform_config_selectorItLb0EEEZNS1_14transform_implILb0ES3_S5_NS0_18transform_iteratorINS0_17counting_iteratorImlEEZNS1_24adjacent_difference_implIS3_Lb1ELb0EPKtPtN6thrust23THRUST_200600_302600_NS4plusItEEEE10hipError_tPvRmT2_T3_mT4_P12ihipStream_tbEUlmE_tEESD_NS0_8identityIvEEEESI_SL_SM_mSN_SP_bEUlT_E_NS1_11comp_targetILNS1_3genE2ELNS1_11target_archE906ELNS1_3gpuE6ELNS1_3repE0EEENS1_30default_config_static_selectorELNS0_4arch9wavefront6targetE0EEEvT1_,@function
_ZN7rocprim17ROCPRIM_400000_NS6detail17trampoline_kernelINS0_14default_configENS1_25transform_config_selectorItLb0EEEZNS1_14transform_implILb0ES3_S5_NS0_18transform_iteratorINS0_17counting_iteratorImlEEZNS1_24adjacent_difference_implIS3_Lb1ELb0EPKtPtN6thrust23THRUST_200600_302600_NS4plusItEEEE10hipError_tPvRmT2_T3_mT4_P12ihipStream_tbEUlmE_tEESD_NS0_8identityIvEEEESI_SL_SM_mSN_SP_bEUlT_E_NS1_11comp_targetILNS1_3genE2ELNS1_11target_archE906ELNS1_3gpuE6ELNS1_3repE0EEENS1_30default_config_static_selectorELNS0_4arch9wavefront6targetE0EEEvT1_: ; @_ZN7rocprim17ROCPRIM_400000_NS6detail17trampoline_kernelINS0_14default_configENS1_25transform_config_selectorItLb0EEEZNS1_14transform_implILb0ES3_S5_NS0_18transform_iteratorINS0_17counting_iteratorImlEEZNS1_24adjacent_difference_implIS3_Lb1ELb0EPKtPtN6thrust23THRUST_200600_302600_NS4plusItEEEE10hipError_tPvRmT2_T3_mT4_P12ihipStream_tbEUlmE_tEESD_NS0_8identityIvEEEESI_SL_SM_mSN_SP_bEUlT_E_NS1_11comp_targetILNS1_3genE2ELNS1_11target_archE906ELNS1_3gpuE6ELNS1_3repE0EEENS1_30default_config_static_selectorELNS0_4arch9wavefront6targetE0EEEvT1_
; %bb.0:
	.section	.rodata,"a",@progbits
	.p2align	6, 0x0
	.amdhsa_kernel _ZN7rocprim17ROCPRIM_400000_NS6detail17trampoline_kernelINS0_14default_configENS1_25transform_config_selectorItLb0EEEZNS1_14transform_implILb0ES3_S5_NS0_18transform_iteratorINS0_17counting_iteratorImlEEZNS1_24adjacent_difference_implIS3_Lb1ELb0EPKtPtN6thrust23THRUST_200600_302600_NS4plusItEEEE10hipError_tPvRmT2_T3_mT4_P12ihipStream_tbEUlmE_tEESD_NS0_8identityIvEEEESI_SL_SM_mSN_SP_bEUlT_E_NS1_11comp_targetILNS1_3genE2ELNS1_11target_archE906ELNS1_3gpuE6ELNS1_3repE0EEENS1_30default_config_static_selectorELNS0_4arch9wavefront6targetE0EEEvT1_
		.amdhsa_group_segment_fixed_size 0
		.amdhsa_private_segment_fixed_size 0
		.amdhsa_kernarg_size 56
		.amdhsa_user_sgpr_count 15
		.amdhsa_user_sgpr_dispatch_ptr 0
		.amdhsa_user_sgpr_queue_ptr 0
		.amdhsa_user_sgpr_kernarg_segment_ptr 1
		.amdhsa_user_sgpr_dispatch_id 0
		.amdhsa_user_sgpr_private_segment_size 0
		.amdhsa_wavefront_size32 1
		.amdhsa_uses_dynamic_stack 0
		.amdhsa_enable_private_segment 0
		.amdhsa_system_sgpr_workgroup_id_x 1
		.amdhsa_system_sgpr_workgroup_id_y 0
		.amdhsa_system_sgpr_workgroup_id_z 0
		.amdhsa_system_sgpr_workgroup_info 0
		.amdhsa_system_vgpr_workitem_id 0
		.amdhsa_next_free_vgpr 1
		.amdhsa_next_free_sgpr 1
		.amdhsa_reserve_vcc 0
		.amdhsa_float_round_mode_32 0
		.amdhsa_float_round_mode_16_64 0
		.amdhsa_float_denorm_mode_32 3
		.amdhsa_float_denorm_mode_16_64 3
		.amdhsa_dx10_clamp 1
		.amdhsa_ieee_mode 1
		.amdhsa_fp16_overflow 0
		.amdhsa_workgroup_processor_mode 1
		.amdhsa_memory_ordered 1
		.amdhsa_forward_progress 0
		.amdhsa_shared_vgpr_count 0
		.amdhsa_exception_fp_ieee_invalid_op 0
		.amdhsa_exception_fp_denorm_src 0
		.amdhsa_exception_fp_ieee_div_zero 0
		.amdhsa_exception_fp_ieee_overflow 0
		.amdhsa_exception_fp_ieee_underflow 0
		.amdhsa_exception_fp_ieee_inexact 0
		.amdhsa_exception_int_div_zero 0
	.end_amdhsa_kernel
	.section	.text._ZN7rocprim17ROCPRIM_400000_NS6detail17trampoline_kernelINS0_14default_configENS1_25transform_config_selectorItLb0EEEZNS1_14transform_implILb0ES3_S5_NS0_18transform_iteratorINS0_17counting_iteratorImlEEZNS1_24adjacent_difference_implIS3_Lb1ELb0EPKtPtN6thrust23THRUST_200600_302600_NS4plusItEEEE10hipError_tPvRmT2_T3_mT4_P12ihipStream_tbEUlmE_tEESD_NS0_8identityIvEEEESI_SL_SM_mSN_SP_bEUlT_E_NS1_11comp_targetILNS1_3genE2ELNS1_11target_archE906ELNS1_3gpuE6ELNS1_3repE0EEENS1_30default_config_static_selectorELNS0_4arch9wavefront6targetE0EEEvT1_,"axG",@progbits,_ZN7rocprim17ROCPRIM_400000_NS6detail17trampoline_kernelINS0_14default_configENS1_25transform_config_selectorItLb0EEEZNS1_14transform_implILb0ES3_S5_NS0_18transform_iteratorINS0_17counting_iteratorImlEEZNS1_24adjacent_difference_implIS3_Lb1ELb0EPKtPtN6thrust23THRUST_200600_302600_NS4plusItEEEE10hipError_tPvRmT2_T3_mT4_P12ihipStream_tbEUlmE_tEESD_NS0_8identityIvEEEESI_SL_SM_mSN_SP_bEUlT_E_NS1_11comp_targetILNS1_3genE2ELNS1_11target_archE906ELNS1_3gpuE6ELNS1_3repE0EEENS1_30default_config_static_selectorELNS0_4arch9wavefront6targetE0EEEvT1_,comdat
.Lfunc_end685:
	.size	_ZN7rocprim17ROCPRIM_400000_NS6detail17trampoline_kernelINS0_14default_configENS1_25transform_config_selectorItLb0EEEZNS1_14transform_implILb0ES3_S5_NS0_18transform_iteratorINS0_17counting_iteratorImlEEZNS1_24adjacent_difference_implIS3_Lb1ELb0EPKtPtN6thrust23THRUST_200600_302600_NS4plusItEEEE10hipError_tPvRmT2_T3_mT4_P12ihipStream_tbEUlmE_tEESD_NS0_8identityIvEEEESI_SL_SM_mSN_SP_bEUlT_E_NS1_11comp_targetILNS1_3genE2ELNS1_11target_archE906ELNS1_3gpuE6ELNS1_3repE0EEENS1_30default_config_static_selectorELNS0_4arch9wavefront6targetE0EEEvT1_, .Lfunc_end685-_ZN7rocprim17ROCPRIM_400000_NS6detail17trampoline_kernelINS0_14default_configENS1_25transform_config_selectorItLb0EEEZNS1_14transform_implILb0ES3_S5_NS0_18transform_iteratorINS0_17counting_iteratorImlEEZNS1_24adjacent_difference_implIS3_Lb1ELb0EPKtPtN6thrust23THRUST_200600_302600_NS4plusItEEEE10hipError_tPvRmT2_T3_mT4_P12ihipStream_tbEUlmE_tEESD_NS0_8identityIvEEEESI_SL_SM_mSN_SP_bEUlT_E_NS1_11comp_targetILNS1_3genE2ELNS1_11target_archE906ELNS1_3gpuE6ELNS1_3repE0EEENS1_30default_config_static_selectorELNS0_4arch9wavefront6targetE0EEEvT1_
                                        ; -- End function
	.section	.AMDGPU.csdata,"",@progbits
; Kernel info:
; codeLenInByte = 0
; NumSgprs: 0
; NumVgprs: 0
; ScratchSize: 0
; MemoryBound: 0
; FloatMode: 240
; IeeeMode: 1
; LDSByteSize: 0 bytes/workgroup (compile time only)
; SGPRBlocks: 0
; VGPRBlocks: 0
; NumSGPRsForWavesPerEU: 1
; NumVGPRsForWavesPerEU: 1
; Occupancy: 16
; WaveLimiterHint : 0
; COMPUTE_PGM_RSRC2:SCRATCH_EN: 0
; COMPUTE_PGM_RSRC2:USER_SGPR: 15
; COMPUTE_PGM_RSRC2:TRAP_HANDLER: 0
; COMPUTE_PGM_RSRC2:TGID_X_EN: 1
; COMPUTE_PGM_RSRC2:TGID_Y_EN: 0
; COMPUTE_PGM_RSRC2:TGID_Z_EN: 0
; COMPUTE_PGM_RSRC2:TIDIG_COMP_CNT: 0
	.section	.text._ZN7rocprim17ROCPRIM_400000_NS6detail17trampoline_kernelINS0_14default_configENS1_25transform_config_selectorItLb0EEEZNS1_14transform_implILb0ES3_S5_NS0_18transform_iteratorINS0_17counting_iteratorImlEEZNS1_24adjacent_difference_implIS3_Lb1ELb0EPKtPtN6thrust23THRUST_200600_302600_NS4plusItEEEE10hipError_tPvRmT2_T3_mT4_P12ihipStream_tbEUlmE_tEESD_NS0_8identityIvEEEESI_SL_SM_mSN_SP_bEUlT_E_NS1_11comp_targetILNS1_3genE10ELNS1_11target_archE1201ELNS1_3gpuE5ELNS1_3repE0EEENS1_30default_config_static_selectorELNS0_4arch9wavefront6targetE0EEEvT1_,"axG",@progbits,_ZN7rocprim17ROCPRIM_400000_NS6detail17trampoline_kernelINS0_14default_configENS1_25transform_config_selectorItLb0EEEZNS1_14transform_implILb0ES3_S5_NS0_18transform_iteratorINS0_17counting_iteratorImlEEZNS1_24adjacent_difference_implIS3_Lb1ELb0EPKtPtN6thrust23THRUST_200600_302600_NS4plusItEEEE10hipError_tPvRmT2_T3_mT4_P12ihipStream_tbEUlmE_tEESD_NS0_8identityIvEEEESI_SL_SM_mSN_SP_bEUlT_E_NS1_11comp_targetILNS1_3genE10ELNS1_11target_archE1201ELNS1_3gpuE5ELNS1_3repE0EEENS1_30default_config_static_selectorELNS0_4arch9wavefront6targetE0EEEvT1_,comdat
	.protected	_ZN7rocprim17ROCPRIM_400000_NS6detail17trampoline_kernelINS0_14default_configENS1_25transform_config_selectorItLb0EEEZNS1_14transform_implILb0ES3_S5_NS0_18transform_iteratorINS0_17counting_iteratorImlEEZNS1_24adjacent_difference_implIS3_Lb1ELb0EPKtPtN6thrust23THRUST_200600_302600_NS4plusItEEEE10hipError_tPvRmT2_T3_mT4_P12ihipStream_tbEUlmE_tEESD_NS0_8identityIvEEEESI_SL_SM_mSN_SP_bEUlT_E_NS1_11comp_targetILNS1_3genE10ELNS1_11target_archE1201ELNS1_3gpuE5ELNS1_3repE0EEENS1_30default_config_static_selectorELNS0_4arch9wavefront6targetE0EEEvT1_ ; -- Begin function _ZN7rocprim17ROCPRIM_400000_NS6detail17trampoline_kernelINS0_14default_configENS1_25transform_config_selectorItLb0EEEZNS1_14transform_implILb0ES3_S5_NS0_18transform_iteratorINS0_17counting_iteratorImlEEZNS1_24adjacent_difference_implIS3_Lb1ELb0EPKtPtN6thrust23THRUST_200600_302600_NS4plusItEEEE10hipError_tPvRmT2_T3_mT4_P12ihipStream_tbEUlmE_tEESD_NS0_8identityIvEEEESI_SL_SM_mSN_SP_bEUlT_E_NS1_11comp_targetILNS1_3genE10ELNS1_11target_archE1201ELNS1_3gpuE5ELNS1_3repE0EEENS1_30default_config_static_selectorELNS0_4arch9wavefront6targetE0EEEvT1_
	.globl	_ZN7rocprim17ROCPRIM_400000_NS6detail17trampoline_kernelINS0_14default_configENS1_25transform_config_selectorItLb0EEEZNS1_14transform_implILb0ES3_S5_NS0_18transform_iteratorINS0_17counting_iteratorImlEEZNS1_24adjacent_difference_implIS3_Lb1ELb0EPKtPtN6thrust23THRUST_200600_302600_NS4plusItEEEE10hipError_tPvRmT2_T3_mT4_P12ihipStream_tbEUlmE_tEESD_NS0_8identityIvEEEESI_SL_SM_mSN_SP_bEUlT_E_NS1_11comp_targetILNS1_3genE10ELNS1_11target_archE1201ELNS1_3gpuE5ELNS1_3repE0EEENS1_30default_config_static_selectorELNS0_4arch9wavefront6targetE0EEEvT1_
	.p2align	8
	.type	_ZN7rocprim17ROCPRIM_400000_NS6detail17trampoline_kernelINS0_14default_configENS1_25transform_config_selectorItLb0EEEZNS1_14transform_implILb0ES3_S5_NS0_18transform_iteratorINS0_17counting_iteratorImlEEZNS1_24adjacent_difference_implIS3_Lb1ELb0EPKtPtN6thrust23THRUST_200600_302600_NS4plusItEEEE10hipError_tPvRmT2_T3_mT4_P12ihipStream_tbEUlmE_tEESD_NS0_8identityIvEEEESI_SL_SM_mSN_SP_bEUlT_E_NS1_11comp_targetILNS1_3genE10ELNS1_11target_archE1201ELNS1_3gpuE5ELNS1_3repE0EEENS1_30default_config_static_selectorELNS0_4arch9wavefront6targetE0EEEvT1_,@function
_ZN7rocprim17ROCPRIM_400000_NS6detail17trampoline_kernelINS0_14default_configENS1_25transform_config_selectorItLb0EEEZNS1_14transform_implILb0ES3_S5_NS0_18transform_iteratorINS0_17counting_iteratorImlEEZNS1_24adjacent_difference_implIS3_Lb1ELb0EPKtPtN6thrust23THRUST_200600_302600_NS4plusItEEEE10hipError_tPvRmT2_T3_mT4_P12ihipStream_tbEUlmE_tEESD_NS0_8identityIvEEEESI_SL_SM_mSN_SP_bEUlT_E_NS1_11comp_targetILNS1_3genE10ELNS1_11target_archE1201ELNS1_3gpuE5ELNS1_3repE0EEENS1_30default_config_static_selectorELNS0_4arch9wavefront6targetE0EEEvT1_: ; @_ZN7rocprim17ROCPRIM_400000_NS6detail17trampoline_kernelINS0_14default_configENS1_25transform_config_selectorItLb0EEEZNS1_14transform_implILb0ES3_S5_NS0_18transform_iteratorINS0_17counting_iteratorImlEEZNS1_24adjacent_difference_implIS3_Lb1ELb0EPKtPtN6thrust23THRUST_200600_302600_NS4plusItEEEE10hipError_tPvRmT2_T3_mT4_P12ihipStream_tbEUlmE_tEESD_NS0_8identityIvEEEESI_SL_SM_mSN_SP_bEUlT_E_NS1_11comp_targetILNS1_3genE10ELNS1_11target_archE1201ELNS1_3gpuE5ELNS1_3repE0EEENS1_30default_config_static_selectorELNS0_4arch9wavefront6targetE0EEEvT1_
; %bb.0:
	.section	.rodata,"a",@progbits
	.p2align	6, 0x0
	.amdhsa_kernel _ZN7rocprim17ROCPRIM_400000_NS6detail17trampoline_kernelINS0_14default_configENS1_25transform_config_selectorItLb0EEEZNS1_14transform_implILb0ES3_S5_NS0_18transform_iteratorINS0_17counting_iteratorImlEEZNS1_24adjacent_difference_implIS3_Lb1ELb0EPKtPtN6thrust23THRUST_200600_302600_NS4plusItEEEE10hipError_tPvRmT2_T3_mT4_P12ihipStream_tbEUlmE_tEESD_NS0_8identityIvEEEESI_SL_SM_mSN_SP_bEUlT_E_NS1_11comp_targetILNS1_3genE10ELNS1_11target_archE1201ELNS1_3gpuE5ELNS1_3repE0EEENS1_30default_config_static_selectorELNS0_4arch9wavefront6targetE0EEEvT1_
		.amdhsa_group_segment_fixed_size 0
		.amdhsa_private_segment_fixed_size 0
		.amdhsa_kernarg_size 56
		.amdhsa_user_sgpr_count 15
		.amdhsa_user_sgpr_dispatch_ptr 0
		.amdhsa_user_sgpr_queue_ptr 0
		.amdhsa_user_sgpr_kernarg_segment_ptr 1
		.amdhsa_user_sgpr_dispatch_id 0
		.amdhsa_user_sgpr_private_segment_size 0
		.amdhsa_wavefront_size32 1
		.amdhsa_uses_dynamic_stack 0
		.amdhsa_enable_private_segment 0
		.amdhsa_system_sgpr_workgroup_id_x 1
		.amdhsa_system_sgpr_workgroup_id_y 0
		.amdhsa_system_sgpr_workgroup_id_z 0
		.amdhsa_system_sgpr_workgroup_info 0
		.amdhsa_system_vgpr_workitem_id 0
		.amdhsa_next_free_vgpr 1
		.amdhsa_next_free_sgpr 1
		.amdhsa_reserve_vcc 0
		.amdhsa_float_round_mode_32 0
		.amdhsa_float_round_mode_16_64 0
		.amdhsa_float_denorm_mode_32 3
		.amdhsa_float_denorm_mode_16_64 3
		.amdhsa_dx10_clamp 1
		.amdhsa_ieee_mode 1
		.amdhsa_fp16_overflow 0
		.amdhsa_workgroup_processor_mode 1
		.amdhsa_memory_ordered 1
		.amdhsa_forward_progress 0
		.amdhsa_shared_vgpr_count 0
		.amdhsa_exception_fp_ieee_invalid_op 0
		.amdhsa_exception_fp_denorm_src 0
		.amdhsa_exception_fp_ieee_div_zero 0
		.amdhsa_exception_fp_ieee_overflow 0
		.amdhsa_exception_fp_ieee_underflow 0
		.amdhsa_exception_fp_ieee_inexact 0
		.amdhsa_exception_int_div_zero 0
	.end_amdhsa_kernel
	.section	.text._ZN7rocprim17ROCPRIM_400000_NS6detail17trampoline_kernelINS0_14default_configENS1_25transform_config_selectorItLb0EEEZNS1_14transform_implILb0ES3_S5_NS0_18transform_iteratorINS0_17counting_iteratorImlEEZNS1_24adjacent_difference_implIS3_Lb1ELb0EPKtPtN6thrust23THRUST_200600_302600_NS4plusItEEEE10hipError_tPvRmT2_T3_mT4_P12ihipStream_tbEUlmE_tEESD_NS0_8identityIvEEEESI_SL_SM_mSN_SP_bEUlT_E_NS1_11comp_targetILNS1_3genE10ELNS1_11target_archE1201ELNS1_3gpuE5ELNS1_3repE0EEENS1_30default_config_static_selectorELNS0_4arch9wavefront6targetE0EEEvT1_,"axG",@progbits,_ZN7rocprim17ROCPRIM_400000_NS6detail17trampoline_kernelINS0_14default_configENS1_25transform_config_selectorItLb0EEEZNS1_14transform_implILb0ES3_S5_NS0_18transform_iteratorINS0_17counting_iteratorImlEEZNS1_24adjacent_difference_implIS3_Lb1ELb0EPKtPtN6thrust23THRUST_200600_302600_NS4plusItEEEE10hipError_tPvRmT2_T3_mT4_P12ihipStream_tbEUlmE_tEESD_NS0_8identityIvEEEESI_SL_SM_mSN_SP_bEUlT_E_NS1_11comp_targetILNS1_3genE10ELNS1_11target_archE1201ELNS1_3gpuE5ELNS1_3repE0EEENS1_30default_config_static_selectorELNS0_4arch9wavefront6targetE0EEEvT1_,comdat
.Lfunc_end686:
	.size	_ZN7rocprim17ROCPRIM_400000_NS6detail17trampoline_kernelINS0_14default_configENS1_25transform_config_selectorItLb0EEEZNS1_14transform_implILb0ES3_S5_NS0_18transform_iteratorINS0_17counting_iteratorImlEEZNS1_24adjacent_difference_implIS3_Lb1ELb0EPKtPtN6thrust23THRUST_200600_302600_NS4plusItEEEE10hipError_tPvRmT2_T3_mT4_P12ihipStream_tbEUlmE_tEESD_NS0_8identityIvEEEESI_SL_SM_mSN_SP_bEUlT_E_NS1_11comp_targetILNS1_3genE10ELNS1_11target_archE1201ELNS1_3gpuE5ELNS1_3repE0EEENS1_30default_config_static_selectorELNS0_4arch9wavefront6targetE0EEEvT1_, .Lfunc_end686-_ZN7rocprim17ROCPRIM_400000_NS6detail17trampoline_kernelINS0_14default_configENS1_25transform_config_selectorItLb0EEEZNS1_14transform_implILb0ES3_S5_NS0_18transform_iteratorINS0_17counting_iteratorImlEEZNS1_24adjacent_difference_implIS3_Lb1ELb0EPKtPtN6thrust23THRUST_200600_302600_NS4plusItEEEE10hipError_tPvRmT2_T3_mT4_P12ihipStream_tbEUlmE_tEESD_NS0_8identityIvEEEESI_SL_SM_mSN_SP_bEUlT_E_NS1_11comp_targetILNS1_3genE10ELNS1_11target_archE1201ELNS1_3gpuE5ELNS1_3repE0EEENS1_30default_config_static_selectorELNS0_4arch9wavefront6targetE0EEEvT1_
                                        ; -- End function
	.section	.AMDGPU.csdata,"",@progbits
; Kernel info:
; codeLenInByte = 0
; NumSgprs: 0
; NumVgprs: 0
; ScratchSize: 0
; MemoryBound: 0
; FloatMode: 240
; IeeeMode: 1
; LDSByteSize: 0 bytes/workgroup (compile time only)
; SGPRBlocks: 0
; VGPRBlocks: 0
; NumSGPRsForWavesPerEU: 1
; NumVGPRsForWavesPerEU: 1
; Occupancy: 16
; WaveLimiterHint : 0
; COMPUTE_PGM_RSRC2:SCRATCH_EN: 0
; COMPUTE_PGM_RSRC2:USER_SGPR: 15
; COMPUTE_PGM_RSRC2:TRAP_HANDLER: 0
; COMPUTE_PGM_RSRC2:TGID_X_EN: 1
; COMPUTE_PGM_RSRC2:TGID_Y_EN: 0
; COMPUTE_PGM_RSRC2:TGID_Z_EN: 0
; COMPUTE_PGM_RSRC2:TIDIG_COMP_CNT: 0
	.section	.text._ZN7rocprim17ROCPRIM_400000_NS6detail17trampoline_kernelINS0_14default_configENS1_25transform_config_selectorItLb0EEEZNS1_14transform_implILb0ES3_S5_NS0_18transform_iteratorINS0_17counting_iteratorImlEEZNS1_24adjacent_difference_implIS3_Lb1ELb0EPKtPtN6thrust23THRUST_200600_302600_NS4plusItEEEE10hipError_tPvRmT2_T3_mT4_P12ihipStream_tbEUlmE_tEESD_NS0_8identityIvEEEESI_SL_SM_mSN_SP_bEUlT_E_NS1_11comp_targetILNS1_3genE10ELNS1_11target_archE1200ELNS1_3gpuE4ELNS1_3repE0EEENS1_30default_config_static_selectorELNS0_4arch9wavefront6targetE0EEEvT1_,"axG",@progbits,_ZN7rocprim17ROCPRIM_400000_NS6detail17trampoline_kernelINS0_14default_configENS1_25transform_config_selectorItLb0EEEZNS1_14transform_implILb0ES3_S5_NS0_18transform_iteratorINS0_17counting_iteratorImlEEZNS1_24adjacent_difference_implIS3_Lb1ELb0EPKtPtN6thrust23THRUST_200600_302600_NS4plusItEEEE10hipError_tPvRmT2_T3_mT4_P12ihipStream_tbEUlmE_tEESD_NS0_8identityIvEEEESI_SL_SM_mSN_SP_bEUlT_E_NS1_11comp_targetILNS1_3genE10ELNS1_11target_archE1200ELNS1_3gpuE4ELNS1_3repE0EEENS1_30default_config_static_selectorELNS0_4arch9wavefront6targetE0EEEvT1_,comdat
	.protected	_ZN7rocprim17ROCPRIM_400000_NS6detail17trampoline_kernelINS0_14default_configENS1_25transform_config_selectorItLb0EEEZNS1_14transform_implILb0ES3_S5_NS0_18transform_iteratorINS0_17counting_iteratorImlEEZNS1_24adjacent_difference_implIS3_Lb1ELb0EPKtPtN6thrust23THRUST_200600_302600_NS4plusItEEEE10hipError_tPvRmT2_T3_mT4_P12ihipStream_tbEUlmE_tEESD_NS0_8identityIvEEEESI_SL_SM_mSN_SP_bEUlT_E_NS1_11comp_targetILNS1_3genE10ELNS1_11target_archE1200ELNS1_3gpuE4ELNS1_3repE0EEENS1_30default_config_static_selectorELNS0_4arch9wavefront6targetE0EEEvT1_ ; -- Begin function _ZN7rocprim17ROCPRIM_400000_NS6detail17trampoline_kernelINS0_14default_configENS1_25transform_config_selectorItLb0EEEZNS1_14transform_implILb0ES3_S5_NS0_18transform_iteratorINS0_17counting_iteratorImlEEZNS1_24adjacent_difference_implIS3_Lb1ELb0EPKtPtN6thrust23THRUST_200600_302600_NS4plusItEEEE10hipError_tPvRmT2_T3_mT4_P12ihipStream_tbEUlmE_tEESD_NS0_8identityIvEEEESI_SL_SM_mSN_SP_bEUlT_E_NS1_11comp_targetILNS1_3genE10ELNS1_11target_archE1200ELNS1_3gpuE4ELNS1_3repE0EEENS1_30default_config_static_selectorELNS0_4arch9wavefront6targetE0EEEvT1_
	.globl	_ZN7rocprim17ROCPRIM_400000_NS6detail17trampoline_kernelINS0_14default_configENS1_25transform_config_selectorItLb0EEEZNS1_14transform_implILb0ES3_S5_NS0_18transform_iteratorINS0_17counting_iteratorImlEEZNS1_24adjacent_difference_implIS3_Lb1ELb0EPKtPtN6thrust23THRUST_200600_302600_NS4plusItEEEE10hipError_tPvRmT2_T3_mT4_P12ihipStream_tbEUlmE_tEESD_NS0_8identityIvEEEESI_SL_SM_mSN_SP_bEUlT_E_NS1_11comp_targetILNS1_3genE10ELNS1_11target_archE1200ELNS1_3gpuE4ELNS1_3repE0EEENS1_30default_config_static_selectorELNS0_4arch9wavefront6targetE0EEEvT1_
	.p2align	8
	.type	_ZN7rocprim17ROCPRIM_400000_NS6detail17trampoline_kernelINS0_14default_configENS1_25transform_config_selectorItLb0EEEZNS1_14transform_implILb0ES3_S5_NS0_18transform_iteratorINS0_17counting_iteratorImlEEZNS1_24adjacent_difference_implIS3_Lb1ELb0EPKtPtN6thrust23THRUST_200600_302600_NS4plusItEEEE10hipError_tPvRmT2_T3_mT4_P12ihipStream_tbEUlmE_tEESD_NS0_8identityIvEEEESI_SL_SM_mSN_SP_bEUlT_E_NS1_11comp_targetILNS1_3genE10ELNS1_11target_archE1200ELNS1_3gpuE4ELNS1_3repE0EEENS1_30default_config_static_selectorELNS0_4arch9wavefront6targetE0EEEvT1_,@function
_ZN7rocprim17ROCPRIM_400000_NS6detail17trampoline_kernelINS0_14default_configENS1_25transform_config_selectorItLb0EEEZNS1_14transform_implILb0ES3_S5_NS0_18transform_iteratorINS0_17counting_iteratorImlEEZNS1_24adjacent_difference_implIS3_Lb1ELb0EPKtPtN6thrust23THRUST_200600_302600_NS4plusItEEEE10hipError_tPvRmT2_T3_mT4_P12ihipStream_tbEUlmE_tEESD_NS0_8identityIvEEEESI_SL_SM_mSN_SP_bEUlT_E_NS1_11comp_targetILNS1_3genE10ELNS1_11target_archE1200ELNS1_3gpuE4ELNS1_3repE0EEENS1_30default_config_static_selectorELNS0_4arch9wavefront6targetE0EEEvT1_: ; @_ZN7rocprim17ROCPRIM_400000_NS6detail17trampoline_kernelINS0_14default_configENS1_25transform_config_selectorItLb0EEEZNS1_14transform_implILb0ES3_S5_NS0_18transform_iteratorINS0_17counting_iteratorImlEEZNS1_24adjacent_difference_implIS3_Lb1ELb0EPKtPtN6thrust23THRUST_200600_302600_NS4plusItEEEE10hipError_tPvRmT2_T3_mT4_P12ihipStream_tbEUlmE_tEESD_NS0_8identityIvEEEESI_SL_SM_mSN_SP_bEUlT_E_NS1_11comp_targetILNS1_3genE10ELNS1_11target_archE1200ELNS1_3gpuE4ELNS1_3repE0EEENS1_30default_config_static_selectorELNS0_4arch9wavefront6targetE0EEEvT1_
; %bb.0:
	.section	.rodata,"a",@progbits
	.p2align	6, 0x0
	.amdhsa_kernel _ZN7rocprim17ROCPRIM_400000_NS6detail17trampoline_kernelINS0_14default_configENS1_25transform_config_selectorItLb0EEEZNS1_14transform_implILb0ES3_S5_NS0_18transform_iteratorINS0_17counting_iteratorImlEEZNS1_24adjacent_difference_implIS3_Lb1ELb0EPKtPtN6thrust23THRUST_200600_302600_NS4plusItEEEE10hipError_tPvRmT2_T3_mT4_P12ihipStream_tbEUlmE_tEESD_NS0_8identityIvEEEESI_SL_SM_mSN_SP_bEUlT_E_NS1_11comp_targetILNS1_3genE10ELNS1_11target_archE1200ELNS1_3gpuE4ELNS1_3repE0EEENS1_30default_config_static_selectorELNS0_4arch9wavefront6targetE0EEEvT1_
		.amdhsa_group_segment_fixed_size 0
		.amdhsa_private_segment_fixed_size 0
		.amdhsa_kernarg_size 56
		.amdhsa_user_sgpr_count 15
		.amdhsa_user_sgpr_dispatch_ptr 0
		.amdhsa_user_sgpr_queue_ptr 0
		.amdhsa_user_sgpr_kernarg_segment_ptr 1
		.amdhsa_user_sgpr_dispatch_id 0
		.amdhsa_user_sgpr_private_segment_size 0
		.amdhsa_wavefront_size32 1
		.amdhsa_uses_dynamic_stack 0
		.amdhsa_enable_private_segment 0
		.amdhsa_system_sgpr_workgroup_id_x 1
		.amdhsa_system_sgpr_workgroup_id_y 0
		.amdhsa_system_sgpr_workgroup_id_z 0
		.amdhsa_system_sgpr_workgroup_info 0
		.amdhsa_system_vgpr_workitem_id 0
		.amdhsa_next_free_vgpr 1
		.amdhsa_next_free_sgpr 1
		.amdhsa_reserve_vcc 0
		.amdhsa_float_round_mode_32 0
		.amdhsa_float_round_mode_16_64 0
		.amdhsa_float_denorm_mode_32 3
		.amdhsa_float_denorm_mode_16_64 3
		.amdhsa_dx10_clamp 1
		.amdhsa_ieee_mode 1
		.amdhsa_fp16_overflow 0
		.amdhsa_workgroup_processor_mode 1
		.amdhsa_memory_ordered 1
		.amdhsa_forward_progress 0
		.amdhsa_shared_vgpr_count 0
		.amdhsa_exception_fp_ieee_invalid_op 0
		.amdhsa_exception_fp_denorm_src 0
		.amdhsa_exception_fp_ieee_div_zero 0
		.amdhsa_exception_fp_ieee_overflow 0
		.amdhsa_exception_fp_ieee_underflow 0
		.amdhsa_exception_fp_ieee_inexact 0
		.amdhsa_exception_int_div_zero 0
	.end_amdhsa_kernel
	.section	.text._ZN7rocprim17ROCPRIM_400000_NS6detail17trampoline_kernelINS0_14default_configENS1_25transform_config_selectorItLb0EEEZNS1_14transform_implILb0ES3_S5_NS0_18transform_iteratorINS0_17counting_iteratorImlEEZNS1_24adjacent_difference_implIS3_Lb1ELb0EPKtPtN6thrust23THRUST_200600_302600_NS4plusItEEEE10hipError_tPvRmT2_T3_mT4_P12ihipStream_tbEUlmE_tEESD_NS0_8identityIvEEEESI_SL_SM_mSN_SP_bEUlT_E_NS1_11comp_targetILNS1_3genE10ELNS1_11target_archE1200ELNS1_3gpuE4ELNS1_3repE0EEENS1_30default_config_static_selectorELNS0_4arch9wavefront6targetE0EEEvT1_,"axG",@progbits,_ZN7rocprim17ROCPRIM_400000_NS6detail17trampoline_kernelINS0_14default_configENS1_25transform_config_selectorItLb0EEEZNS1_14transform_implILb0ES3_S5_NS0_18transform_iteratorINS0_17counting_iteratorImlEEZNS1_24adjacent_difference_implIS3_Lb1ELb0EPKtPtN6thrust23THRUST_200600_302600_NS4plusItEEEE10hipError_tPvRmT2_T3_mT4_P12ihipStream_tbEUlmE_tEESD_NS0_8identityIvEEEESI_SL_SM_mSN_SP_bEUlT_E_NS1_11comp_targetILNS1_3genE10ELNS1_11target_archE1200ELNS1_3gpuE4ELNS1_3repE0EEENS1_30default_config_static_selectorELNS0_4arch9wavefront6targetE0EEEvT1_,comdat
.Lfunc_end687:
	.size	_ZN7rocprim17ROCPRIM_400000_NS6detail17trampoline_kernelINS0_14default_configENS1_25transform_config_selectorItLb0EEEZNS1_14transform_implILb0ES3_S5_NS0_18transform_iteratorINS0_17counting_iteratorImlEEZNS1_24adjacent_difference_implIS3_Lb1ELb0EPKtPtN6thrust23THRUST_200600_302600_NS4plusItEEEE10hipError_tPvRmT2_T3_mT4_P12ihipStream_tbEUlmE_tEESD_NS0_8identityIvEEEESI_SL_SM_mSN_SP_bEUlT_E_NS1_11comp_targetILNS1_3genE10ELNS1_11target_archE1200ELNS1_3gpuE4ELNS1_3repE0EEENS1_30default_config_static_selectorELNS0_4arch9wavefront6targetE0EEEvT1_, .Lfunc_end687-_ZN7rocprim17ROCPRIM_400000_NS6detail17trampoline_kernelINS0_14default_configENS1_25transform_config_selectorItLb0EEEZNS1_14transform_implILb0ES3_S5_NS0_18transform_iteratorINS0_17counting_iteratorImlEEZNS1_24adjacent_difference_implIS3_Lb1ELb0EPKtPtN6thrust23THRUST_200600_302600_NS4plusItEEEE10hipError_tPvRmT2_T3_mT4_P12ihipStream_tbEUlmE_tEESD_NS0_8identityIvEEEESI_SL_SM_mSN_SP_bEUlT_E_NS1_11comp_targetILNS1_3genE10ELNS1_11target_archE1200ELNS1_3gpuE4ELNS1_3repE0EEENS1_30default_config_static_selectorELNS0_4arch9wavefront6targetE0EEEvT1_
                                        ; -- End function
	.section	.AMDGPU.csdata,"",@progbits
; Kernel info:
; codeLenInByte = 0
; NumSgprs: 0
; NumVgprs: 0
; ScratchSize: 0
; MemoryBound: 0
; FloatMode: 240
; IeeeMode: 1
; LDSByteSize: 0 bytes/workgroup (compile time only)
; SGPRBlocks: 0
; VGPRBlocks: 0
; NumSGPRsForWavesPerEU: 1
; NumVGPRsForWavesPerEU: 1
; Occupancy: 16
; WaveLimiterHint : 0
; COMPUTE_PGM_RSRC2:SCRATCH_EN: 0
; COMPUTE_PGM_RSRC2:USER_SGPR: 15
; COMPUTE_PGM_RSRC2:TRAP_HANDLER: 0
; COMPUTE_PGM_RSRC2:TGID_X_EN: 1
; COMPUTE_PGM_RSRC2:TGID_Y_EN: 0
; COMPUTE_PGM_RSRC2:TGID_Z_EN: 0
; COMPUTE_PGM_RSRC2:TIDIG_COMP_CNT: 0
	.section	.text._ZN7rocprim17ROCPRIM_400000_NS6detail17trampoline_kernelINS0_14default_configENS1_25transform_config_selectorItLb0EEEZNS1_14transform_implILb0ES3_S5_NS0_18transform_iteratorINS0_17counting_iteratorImlEEZNS1_24adjacent_difference_implIS3_Lb1ELb0EPKtPtN6thrust23THRUST_200600_302600_NS4plusItEEEE10hipError_tPvRmT2_T3_mT4_P12ihipStream_tbEUlmE_tEESD_NS0_8identityIvEEEESI_SL_SM_mSN_SP_bEUlT_E_NS1_11comp_targetILNS1_3genE9ELNS1_11target_archE1100ELNS1_3gpuE3ELNS1_3repE0EEENS1_30default_config_static_selectorELNS0_4arch9wavefront6targetE0EEEvT1_,"axG",@progbits,_ZN7rocprim17ROCPRIM_400000_NS6detail17trampoline_kernelINS0_14default_configENS1_25transform_config_selectorItLb0EEEZNS1_14transform_implILb0ES3_S5_NS0_18transform_iteratorINS0_17counting_iteratorImlEEZNS1_24adjacent_difference_implIS3_Lb1ELb0EPKtPtN6thrust23THRUST_200600_302600_NS4plusItEEEE10hipError_tPvRmT2_T3_mT4_P12ihipStream_tbEUlmE_tEESD_NS0_8identityIvEEEESI_SL_SM_mSN_SP_bEUlT_E_NS1_11comp_targetILNS1_3genE9ELNS1_11target_archE1100ELNS1_3gpuE3ELNS1_3repE0EEENS1_30default_config_static_selectorELNS0_4arch9wavefront6targetE0EEEvT1_,comdat
	.protected	_ZN7rocprim17ROCPRIM_400000_NS6detail17trampoline_kernelINS0_14default_configENS1_25transform_config_selectorItLb0EEEZNS1_14transform_implILb0ES3_S5_NS0_18transform_iteratorINS0_17counting_iteratorImlEEZNS1_24adjacent_difference_implIS3_Lb1ELb0EPKtPtN6thrust23THRUST_200600_302600_NS4plusItEEEE10hipError_tPvRmT2_T3_mT4_P12ihipStream_tbEUlmE_tEESD_NS0_8identityIvEEEESI_SL_SM_mSN_SP_bEUlT_E_NS1_11comp_targetILNS1_3genE9ELNS1_11target_archE1100ELNS1_3gpuE3ELNS1_3repE0EEENS1_30default_config_static_selectorELNS0_4arch9wavefront6targetE0EEEvT1_ ; -- Begin function _ZN7rocprim17ROCPRIM_400000_NS6detail17trampoline_kernelINS0_14default_configENS1_25transform_config_selectorItLb0EEEZNS1_14transform_implILb0ES3_S5_NS0_18transform_iteratorINS0_17counting_iteratorImlEEZNS1_24adjacent_difference_implIS3_Lb1ELb0EPKtPtN6thrust23THRUST_200600_302600_NS4plusItEEEE10hipError_tPvRmT2_T3_mT4_P12ihipStream_tbEUlmE_tEESD_NS0_8identityIvEEEESI_SL_SM_mSN_SP_bEUlT_E_NS1_11comp_targetILNS1_3genE9ELNS1_11target_archE1100ELNS1_3gpuE3ELNS1_3repE0EEENS1_30default_config_static_selectorELNS0_4arch9wavefront6targetE0EEEvT1_
	.globl	_ZN7rocprim17ROCPRIM_400000_NS6detail17trampoline_kernelINS0_14default_configENS1_25transform_config_selectorItLb0EEEZNS1_14transform_implILb0ES3_S5_NS0_18transform_iteratorINS0_17counting_iteratorImlEEZNS1_24adjacent_difference_implIS3_Lb1ELb0EPKtPtN6thrust23THRUST_200600_302600_NS4plusItEEEE10hipError_tPvRmT2_T3_mT4_P12ihipStream_tbEUlmE_tEESD_NS0_8identityIvEEEESI_SL_SM_mSN_SP_bEUlT_E_NS1_11comp_targetILNS1_3genE9ELNS1_11target_archE1100ELNS1_3gpuE3ELNS1_3repE0EEENS1_30default_config_static_selectorELNS0_4arch9wavefront6targetE0EEEvT1_
	.p2align	8
	.type	_ZN7rocprim17ROCPRIM_400000_NS6detail17trampoline_kernelINS0_14default_configENS1_25transform_config_selectorItLb0EEEZNS1_14transform_implILb0ES3_S5_NS0_18transform_iteratorINS0_17counting_iteratorImlEEZNS1_24adjacent_difference_implIS3_Lb1ELb0EPKtPtN6thrust23THRUST_200600_302600_NS4plusItEEEE10hipError_tPvRmT2_T3_mT4_P12ihipStream_tbEUlmE_tEESD_NS0_8identityIvEEEESI_SL_SM_mSN_SP_bEUlT_E_NS1_11comp_targetILNS1_3genE9ELNS1_11target_archE1100ELNS1_3gpuE3ELNS1_3repE0EEENS1_30default_config_static_selectorELNS0_4arch9wavefront6targetE0EEEvT1_,@function
_ZN7rocprim17ROCPRIM_400000_NS6detail17trampoline_kernelINS0_14default_configENS1_25transform_config_selectorItLb0EEEZNS1_14transform_implILb0ES3_S5_NS0_18transform_iteratorINS0_17counting_iteratorImlEEZNS1_24adjacent_difference_implIS3_Lb1ELb0EPKtPtN6thrust23THRUST_200600_302600_NS4plusItEEEE10hipError_tPvRmT2_T3_mT4_P12ihipStream_tbEUlmE_tEESD_NS0_8identityIvEEEESI_SL_SM_mSN_SP_bEUlT_E_NS1_11comp_targetILNS1_3genE9ELNS1_11target_archE1100ELNS1_3gpuE3ELNS1_3repE0EEENS1_30default_config_static_selectorELNS0_4arch9wavefront6targetE0EEEvT1_: ; @_ZN7rocprim17ROCPRIM_400000_NS6detail17trampoline_kernelINS0_14default_configENS1_25transform_config_selectorItLb0EEEZNS1_14transform_implILb0ES3_S5_NS0_18transform_iteratorINS0_17counting_iteratorImlEEZNS1_24adjacent_difference_implIS3_Lb1ELb0EPKtPtN6thrust23THRUST_200600_302600_NS4plusItEEEE10hipError_tPvRmT2_T3_mT4_P12ihipStream_tbEUlmE_tEESD_NS0_8identityIvEEEESI_SL_SM_mSN_SP_bEUlT_E_NS1_11comp_targetILNS1_3genE9ELNS1_11target_archE1100ELNS1_3gpuE3ELNS1_3repE0EEENS1_30default_config_static_selectorELNS0_4arch9wavefront6targetE0EEEvT1_
; %bb.0:
	s_clause 0x4
	s_load_b128 s[8:11], s[0:1], 0x18
	s_load_b64 s[16:17], s[0:1], 0x28
	s_load_b32 s13, s[0:1], 0x38
	s_load_b128 s[4:7], s[0:1], 0x0
	s_load_b32 s12, s[0:1], 0x10
	v_lshlrev_b32_e32 v3, 1, v0
	s_mov_b32 s3, 0
	s_waitcnt lgkmcnt(0)
	s_lshl_b64 s[0:1], s[8:9], 1
	s_delay_alu instid0(SALU_CYCLE_1)
	s_add_u32 s11, s16, s0
	s_addc_u32 s14, s17, s1
	s_lshl_b32 s2, s15, 11
	s_add_i32 s13, s13, -1
	s_add_u32 s0, s4, s2
	s_addc_u32 s4, s5, 0
	s_add_u32 s1, s0, s8
	s_addc_u32 s5, s4, s9
	s_cmp_lg_u32 s15, s13
	s_mov_b32 s13, -1
	s_cbranch_scc0 .LBB688_2
; %bb.1:
	v_add_co_u32 v4, s0, s1, v0
	s_delay_alu instid0(VALU_DEP_1) | instskip(SKIP_1) | instid1(VALU_DEP_2)
	v_add_co_ci_u32_e64 v6, null, s5, 0, s0
	s_mov_b32 s13, 0
	v_mad_u64_u32 v[1:2], null, v4, s12, 0
	s_lshl_b64 s[8:9], s[12:13], 11
	s_mov_b32 s4, -1
	s_delay_alu instid0(VALU_DEP_1) | instskip(NEXT) | instid1(VALU_DEP_1)
	v_mad_u64_u32 v[4:5], null, v6, s12, v[2:3]
	v_mov_b32_e32 v2, v4
	s_delay_alu instid0(VALU_DEP_1) | instskip(NEXT) | instid1(VALU_DEP_1)
	v_lshlrev_b64 v[1:2], 1, v[1:2]
	v_add_co_u32 v1, vcc_lo, s6, v1
	s_delay_alu instid0(VALU_DEP_2) | instskip(NEXT) | instid1(VALU_DEP_2)
	v_add_co_ci_u32_e32 v2, vcc_lo, s7, v2, vcc_lo
	v_add_co_u32 v4, vcc_lo, v1, s8
	s_delay_alu instid0(VALU_DEP_2)
	v_add_co_ci_u32_e32 v5, vcc_lo, s9, v2, vcc_lo
	s_lshl_b64 s[8:9], s[2:3], 1
	s_clause 0x1
	global_load_u16 v6, v[1:2], off
	global_load_u16 v4, v[4:5], off
	s_add_u32 s8, s11, s8
	s_addc_u32 s9, s14, s9
	v_add_co_u32 v1, s0, s8, v3
	s_delay_alu instid0(VALU_DEP_1)
	v_add_co_ci_u32_e64 v2, null, s9, 0, s0
	s_waitcnt vmcnt(1)
	global_store_b16 v3, v6, s[8:9]
	s_cbranch_execz .LBB688_3
	s_branch .LBB688_12
.LBB688_2:
	s_mov_b32 s4, s3
                                        ; implicit-def: $vgpr4
                                        ; implicit-def: $vgpr1_vgpr2
	s_and_not1_b32 vcc_lo, exec_lo, s13
	s_cbranch_vccnz .LBB688_12
.LBB688_3:
	s_sub_i32 s8, s10, s2
                                        ; implicit-def: $vgpr5
	s_delay_alu instid0(SALU_CYCLE_1)
	v_cmp_gt_u32_e32 vcc_lo, s8, v0
	s_and_saveexec_b32 s9, vcc_lo
	s_cbranch_execz .LBB688_5
; %bb.4:
	s_waitcnt vmcnt(0)
	v_add_co_u32 v4, s0, s1, v0
	s_delay_alu instid0(VALU_DEP_1) | instskip(NEXT) | instid1(VALU_DEP_2)
	v_add_co_ci_u32_e64 v6, null, s5, 0, s0
	v_mad_u64_u32 v[1:2], null, v4, s12, 0
	s_delay_alu instid0(VALU_DEP_1) | instskip(NEXT) | instid1(VALU_DEP_1)
	v_mad_u64_u32 v[4:5], null, v6, s12, v[2:3]
	v_mov_b32_e32 v2, v4
	s_delay_alu instid0(VALU_DEP_1) | instskip(NEXT) | instid1(VALU_DEP_1)
	v_lshlrev_b64 v[1:2], 1, v[1:2]
	v_add_co_u32 v1, s0, s6, v1
	s_delay_alu instid0(VALU_DEP_1)
	v_add_co_ci_u32_e64 v2, s0, s7, v2, s0
	global_load_d16_b16 v5, v[1:2], off
.LBB688_5:
	s_or_b32 exec_lo, exec_lo, s9
	v_or_b32_e32 v0, 0x400, v0
	s_delay_alu instid0(VALU_DEP_1) | instskip(NEXT) | instid1(VALU_DEP_1)
	v_cmp_gt_u32_e64 s0, s8, v0
	s_and_saveexec_b32 s8, s0
	s_cbranch_execz .LBB688_7
; %bb.6:
	v_add_co_u32 v2, s1, s1, v0
	s_waitcnt vmcnt(0)
	v_add_co_ci_u32_e64 v4, null, s5, 0, s1
	s_delay_alu instid0(VALU_DEP_2) | instskip(NEXT) | instid1(VALU_DEP_1)
	v_mad_u64_u32 v[0:1], null, v2, s12, 0
	v_mad_u64_u32 v[6:7], null, v4, s12, v[1:2]
	s_delay_alu instid0(VALU_DEP_1) | instskip(NEXT) | instid1(VALU_DEP_1)
	v_mov_b32_e32 v1, v6
	v_lshlrev_b64 v[0:1], 1, v[0:1]
	s_delay_alu instid0(VALU_DEP_1) | instskip(NEXT) | instid1(VALU_DEP_1)
	v_add_co_u32 v0, s1, s6, v0
	v_add_co_ci_u32_e64 v1, s1, s7, v1, s1
	global_load_d16_hi_b16 v5, v[0:1], off
.LBB688_7:
	s_or_b32 exec_lo, exec_lo, s8
	s_lshl_b64 s[2:3], s[2:3], 1
	s_delay_alu instid0(SALU_CYCLE_1) | instskip(SKIP_2) | instid1(VALU_DEP_1)
	s_add_u32 s1, s11, s2
	s_addc_u32 s2, s14, s3
	v_add_co_u32 v1, s1, s1, v3
	v_add_co_ci_u32_e64 v2, null, s2, 0, s1
	s_and_saveexec_b32 s1, vcc_lo
	s_cbranch_execz .LBB688_9
; %bb.8:
	s_waitcnt vmcnt(0)
	global_store_b16 v[1:2], v5, off
.LBB688_9:
	s_or_b32 exec_lo, exec_lo, s1
                                        ; implicit-def: $vgpr4
	s_and_saveexec_b32 s1, s0
	s_cbranch_execz .LBB688_11
; %bb.10:
	s_waitcnt vmcnt(0)
	v_lshrrev_b32_e32 v4, 16, v5
	s_or_b32 s4, s4, exec_lo
.LBB688_11:
	s_or_b32 exec_lo, exec_lo, s1
.LBB688_12:
	s_and_saveexec_b32 s0, s4
	s_cbranch_execnz .LBB688_14
; %bb.13:
	s_nop 0
	s_sendmsg sendmsg(MSG_DEALLOC_VGPRS)
	s_endpgm
.LBB688_14:
	s_waitcnt vmcnt(0)
	global_store_b16 v[1:2], v4, off offset:2048
	s_nop 0
	s_sendmsg sendmsg(MSG_DEALLOC_VGPRS)
	s_endpgm
	.section	.rodata,"a",@progbits
	.p2align	6, 0x0
	.amdhsa_kernel _ZN7rocprim17ROCPRIM_400000_NS6detail17trampoline_kernelINS0_14default_configENS1_25transform_config_selectorItLb0EEEZNS1_14transform_implILb0ES3_S5_NS0_18transform_iteratorINS0_17counting_iteratorImlEEZNS1_24adjacent_difference_implIS3_Lb1ELb0EPKtPtN6thrust23THRUST_200600_302600_NS4plusItEEEE10hipError_tPvRmT2_T3_mT4_P12ihipStream_tbEUlmE_tEESD_NS0_8identityIvEEEESI_SL_SM_mSN_SP_bEUlT_E_NS1_11comp_targetILNS1_3genE9ELNS1_11target_archE1100ELNS1_3gpuE3ELNS1_3repE0EEENS1_30default_config_static_selectorELNS0_4arch9wavefront6targetE0EEEvT1_
		.amdhsa_group_segment_fixed_size 0
		.amdhsa_private_segment_fixed_size 0
		.amdhsa_kernarg_size 312
		.amdhsa_user_sgpr_count 15
		.amdhsa_user_sgpr_dispatch_ptr 0
		.amdhsa_user_sgpr_queue_ptr 0
		.amdhsa_user_sgpr_kernarg_segment_ptr 1
		.amdhsa_user_sgpr_dispatch_id 0
		.amdhsa_user_sgpr_private_segment_size 0
		.amdhsa_wavefront_size32 1
		.amdhsa_uses_dynamic_stack 0
		.amdhsa_enable_private_segment 0
		.amdhsa_system_sgpr_workgroup_id_x 1
		.amdhsa_system_sgpr_workgroup_id_y 0
		.amdhsa_system_sgpr_workgroup_id_z 0
		.amdhsa_system_sgpr_workgroup_info 0
		.amdhsa_system_vgpr_workitem_id 0
		.amdhsa_next_free_vgpr 8
		.amdhsa_next_free_sgpr 18
		.amdhsa_reserve_vcc 1
		.amdhsa_float_round_mode_32 0
		.amdhsa_float_round_mode_16_64 0
		.amdhsa_float_denorm_mode_32 3
		.amdhsa_float_denorm_mode_16_64 3
		.amdhsa_dx10_clamp 1
		.amdhsa_ieee_mode 1
		.amdhsa_fp16_overflow 0
		.amdhsa_workgroup_processor_mode 1
		.amdhsa_memory_ordered 1
		.amdhsa_forward_progress 0
		.amdhsa_shared_vgpr_count 0
		.amdhsa_exception_fp_ieee_invalid_op 0
		.amdhsa_exception_fp_denorm_src 0
		.amdhsa_exception_fp_ieee_div_zero 0
		.amdhsa_exception_fp_ieee_overflow 0
		.amdhsa_exception_fp_ieee_underflow 0
		.amdhsa_exception_fp_ieee_inexact 0
		.amdhsa_exception_int_div_zero 0
	.end_amdhsa_kernel
	.section	.text._ZN7rocprim17ROCPRIM_400000_NS6detail17trampoline_kernelINS0_14default_configENS1_25transform_config_selectorItLb0EEEZNS1_14transform_implILb0ES3_S5_NS0_18transform_iteratorINS0_17counting_iteratorImlEEZNS1_24adjacent_difference_implIS3_Lb1ELb0EPKtPtN6thrust23THRUST_200600_302600_NS4plusItEEEE10hipError_tPvRmT2_T3_mT4_P12ihipStream_tbEUlmE_tEESD_NS0_8identityIvEEEESI_SL_SM_mSN_SP_bEUlT_E_NS1_11comp_targetILNS1_3genE9ELNS1_11target_archE1100ELNS1_3gpuE3ELNS1_3repE0EEENS1_30default_config_static_selectorELNS0_4arch9wavefront6targetE0EEEvT1_,"axG",@progbits,_ZN7rocprim17ROCPRIM_400000_NS6detail17trampoline_kernelINS0_14default_configENS1_25transform_config_selectorItLb0EEEZNS1_14transform_implILb0ES3_S5_NS0_18transform_iteratorINS0_17counting_iteratorImlEEZNS1_24adjacent_difference_implIS3_Lb1ELb0EPKtPtN6thrust23THRUST_200600_302600_NS4plusItEEEE10hipError_tPvRmT2_T3_mT4_P12ihipStream_tbEUlmE_tEESD_NS0_8identityIvEEEESI_SL_SM_mSN_SP_bEUlT_E_NS1_11comp_targetILNS1_3genE9ELNS1_11target_archE1100ELNS1_3gpuE3ELNS1_3repE0EEENS1_30default_config_static_selectorELNS0_4arch9wavefront6targetE0EEEvT1_,comdat
.Lfunc_end688:
	.size	_ZN7rocprim17ROCPRIM_400000_NS6detail17trampoline_kernelINS0_14default_configENS1_25transform_config_selectorItLb0EEEZNS1_14transform_implILb0ES3_S5_NS0_18transform_iteratorINS0_17counting_iteratorImlEEZNS1_24adjacent_difference_implIS3_Lb1ELb0EPKtPtN6thrust23THRUST_200600_302600_NS4plusItEEEE10hipError_tPvRmT2_T3_mT4_P12ihipStream_tbEUlmE_tEESD_NS0_8identityIvEEEESI_SL_SM_mSN_SP_bEUlT_E_NS1_11comp_targetILNS1_3genE9ELNS1_11target_archE1100ELNS1_3gpuE3ELNS1_3repE0EEENS1_30default_config_static_selectorELNS0_4arch9wavefront6targetE0EEEvT1_, .Lfunc_end688-_ZN7rocprim17ROCPRIM_400000_NS6detail17trampoline_kernelINS0_14default_configENS1_25transform_config_selectorItLb0EEEZNS1_14transform_implILb0ES3_S5_NS0_18transform_iteratorINS0_17counting_iteratorImlEEZNS1_24adjacent_difference_implIS3_Lb1ELb0EPKtPtN6thrust23THRUST_200600_302600_NS4plusItEEEE10hipError_tPvRmT2_T3_mT4_P12ihipStream_tbEUlmE_tEESD_NS0_8identityIvEEEESI_SL_SM_mSN_SP_bEUlT_E_NS1_11comp_targetILNS1_3genE9ELNS1_11target_archE1100ELNS1_3gpuE3ELNS1_3repE0EEENS1_30default_config_static_selectorELNS0_4arch9wavefront6targetE0EEEvT1_
                                        ; -- End function
	.section	.AMDGPU.csdata,"",@progbits
; Kernel info:
; codeLenInByte = 644
; NumSgprs: 20
; NumVgprs: 8
; ScratchSize: 0
; MemoryBound: 0
; FloatMode: 240
; IeeeMode: 1
; LDSByteSize: 0 bytes/workgroup (compile time only)
; SGPRBlocks: 2
; VGPRBlocks: 0
; NumSGPRsForWavesPerEU: 20
; NumVGPRsForWavesPerEU: 8
; Occupancy: 16
; WaveLimiterHint : 0
; COMPUTE_PGM_RSRC2:SCRATCH_EN: 0
; COMPUTE_PGM_RSRC2:USER_SGPR: 15
; COMPUTE_PGM_RSRC2:TRAP_HANDLER: 0
; COMPUTE_PGM_RSRC2:TGID_X_EN: 1
; COMPUTE_PGM_RSRC2:TGID_Y_EN: 0
; COMPUTE_PGM_RSRC2:TGID_Z_EN: 0
; COMPUTE_PGM_RSRC2:TIDIG_COMP_CNT: 0
	.section	.text._ZN7rocprim17ROCPRIM_400000_NS6detail17trampoline_kernelINS0_14default_configENS1_25transform_config_selectorItLb0EEEZNS1_14transform_implILb0ES3_S5_NS0_18transform_iteratorINS0_17counting_iteratorImlEEZNS1_24adjacent_difference_implIS3_Lb1ELb0EPKtPtN6thrust23THRUST_200600_302600_NS4plusItEEEE10hipError_tPvRmT2_T3_mT4_P12ihipStream_tbEUlmE_tEESD_NS0_8identityIvEEEESI_SL_SM_mSN_SP_bEUlT_E_NS1_11comp_targetILNS1_3genE8ELNS1_11target_archE1030ELNS1_3gpuE2ELNS1_3repE0EEENS1_30default_config_static_selectorELNS0_4arch9wavefront6targetE0EEEvT1_,"axG",@progbits,_ZN7rocprim17ROCPRIM_400000_NS6detail17trampoline_kernelINS0_14default_configENS1_25transform_config_selectorItLb0EEEZNS1_14transform_implILb0ES3_S5_NS0_18transform_iteratorINS0_17counting_iteratorImlEEZNS1_24adjacent_difference_implIS3_Lb1ELb0EPKtPtN6thrust23THRUST_200600_302600_NS4plusItEEEE10hipError_tPvRmT2_T3_mT4_P12ihipStream_tbEUlmE_tEESD_NS0_8identityIvEEEESI_SL_SM_mSN_SP_bEUlT_E_NS1_11comp_targetILNS1_3genE8ELNS1_11target_archE1030ELNS1_3gpuE2ELNS1_3repE0EEENS1_30default_config_static_selectorELNS0_4arch9wavefront6targetE0EEEvT1_,comdat
	.protected	_ZN7rocprim17ROCPRIM_400000_NS6detail17trampoline_kernelINS0_14default_configENS1_25transform_config_selectorItLb0EEEZNS1_14transform_implILb0ES3_S5_NS0_18transform_iteratorINS0_17counting_iteratorImlEEZNS1_24adjacent_difference_implIS3_Lb1ELb0EPKtPtN6thrust23THRUST_200600_302600_NS4plusItEEEE10hipError_tPvRmT2_T3_mT4_P12ihipStream_tbEUlmE_tEESD_NS0_8identityIvEEEESI_SL_SM_mSN_SP_bEUlT_E_NS1_11comp_targetILNS1_3genE8ELNS1_11target_archE1030ELNS1_3gpuE2ELNS1_3repE0EEENS1_30default_config_static_selectorELNS0_4arch9wavefront6targetE0EEEvT1_ ; -- Begin function _ZN7rocprim17ROCPRIM_400000_NS6detail17trampoline_kernelINS0_14default_configENS1_25transform_config_selectorItLb0EEEZNS1_14transform_implILb0ES3_S5_NS0_18transform_iteratorINS0_17counting_iteratorImlEEZNS1_24adjacent_difference_implIS3_Lb1ELb0EPKtPtN6thrust23THRUST_200600_302600_NS4plusItEEEE10hipError_tPvRmT2_T3_mT4_P12ihipStream_tbEUlmE_tEESD_NS0_8identityIvEEEESI_SL_SM_mSN_SP_bEUlT_E_NS1_11comp_targetILNS1_3genE8ELNS1_11target_archE1030ELNS1_3gpuE2ELNS1_3repE0EEENS1_30default_config_static_selectorELNS0_4arch9wavefront6targetE0EEEvT1_
	.globl	_ZN7rocprim17ROCPRIM_400000_NS6detail17trampoline_kernelINS0_14default_configENS1_25transform_config_selectorItLb0EEEZNS1_14transform_implILb0ES3_S5_NS0_18transform_iteratorINS0_17counting_iteratorImlEEZNS1_24adjacent_difference_implIS3_Lb1ELb0EPKtPtN6thrust23THRUST_200600_302600_NS4plusItEEEE10hipError_tPvRmT2_T3_mT4_P12ihipStream_tbEUlmE_tEESD_NS0_8identityIvEEEESI_SL_SM_mSN_SP_bEUlT_E_NS1_11comp_targetILNS1_3genE8ELNS1_11target_archE1030ELNS1_3gpuE2ELNS1_3repE0EEENS1_30default_config_static_selectorELNS0_4arch9wavefront6targetE0EEEvT1_
	.p2align	8
	.type	_ZN7rocprim17ROCPRIM_400000_NS6detail17trampoline_kernelINS0_14default_configENS1_25transform_config_selectorItLb0EEEZNS1_14transform_implILb0ES3_S5_NS0_18transform_iteratorINS0_17counting_iteratorImlEEZNS1_24adjacent_difference_implIS3_Lb1ELb0EPKtPtN6thrust23THRUST_200600_302600_NS4plusItEEEE10hipError_tPvRmT2_T3_mT4_P12ihipStream_tbEUlmE_tEESD_NS0_8identityIvEEEESI_SL_SM_mSN_SP_bEUlT_E_NS1_11comp_targetILNS1_3genE8ELNS1_11target_archE1030ELNS1_3gpuE2ELNS1_3repE0EEENS1_30default_config_static_selectorELNS0_4arch9wavefront6targetE0EEEvT1_,@function
_ZN7rocprim17ROCPRIM_400000_NS6detail17trampoline_kernelINS0_14default_configENS1_25transform_config_selectorItLb0EEEZNS1_14transform_implILb0ES3_S5_NS0_18transform_iteratorINS0_17counting_iteratorImlEEZNS1_24adjacent_difference_implIS3_Lb1ELb0EPKtPtN6thrust23THRUST_200600_302600_NS4plusItEEEE10hipError_tPvRmT2_T3_mT4_P12ihipStream_tbEUlmE_tEESD_NS0_8identityIvEEEESI_SL_SM_mSN_SP_bEUlT_E_NS1_11comp_targetILNS1_3genE8ELNS1_11target_archE1030ELNS1_3gpuE2ELNS1_3repE0EEENS1_30default_config_static_selectorELNS0_4arch9wavefront6targetE0EEEvT1_: ; @_ZN7rocprim17ROCPRIM_400000_NS6detail17trampoline_kernelINS0_14default_configENS1_25transform_config_selectorItLb0EEEZNS1_14transform_implILb0ES3_S5_NS0_18transform_iteratorINS0_17counting_iteratorImlEEZNS1_24adjacent_difference_implIS3_Lb1ELb0EPKtPtN6thrust23THRUST_200600_302600_NS4plusItEEEE10hipError_tPvRmT2_T3_mT4_P12ihipStream_tbEUlmE_tEESD_NS0_8identityIvEEEESI_SL_SM_mSN_SP_bEUlT_E_NS1_11comp_targetILNS1_3genE8ELNS1_11target_archE1030ELNS1_3gpuE2ELNS1_3repE0EEENS1_30default_config_static_selectorELNS0_4arch9wavefront6targetE0EEEvT1_
; %bb.0:
	.section	.rodata,"a",@progbits
	.p2align	6, 0x0
	.amdhsa_kernel _ZN7rocprim17ROCPRIM_400000_NS6detail17trampoline_kernelINS0_14default_configENS1_25transform_config_selectorItLb0EEEZNS1_14transform_implILb0ES3_S5_NS0_18transform_iteratorINS0_17counting_iteratorImlEEZNS1_24adjacent_difference_implIS3_Lb1ELb0EPKtPtN6thrust23THRUST_200600_302600_NS4plusItEEEE10hipError_tPvRmT2_T3_mT4_P12ihipStream_tbEUlmE_tEESD_NS0_8identityIvEEEESI_SL_SM_mSN_SP_bEUlT_E_NS1_11comp_targetILNS1_3genE8ELNS1_11target_archE1030ELNS1_3gpuE2ELNS1_3repE0EEENS1_30default_config_static_selectorELNS0_4arch9wavefront6targetE0EEEvT1_
		.amdhsa_group_segment_fixed_size 0
		.amdhsa_private_segment_fixed_size 0
		.amdhsa_kernarg_size 56
		.amdhsa_user_sgpr_count 15
		.amdhsa_user_sgpr_dispatch_ptr 0
		.amdhsa_user_sgpr_queue_ptr 0
		.amdhsa_user_sgpr_kernarg_segment_ptr 1
		.amdhsa_user_sgpr_dispatch_id 0
		.amdhsa_user_sgpr_private_segment_size 0
		.amdhsa_wavefront_size32 1
		.amdhsa_uses_dynamic_stack 0
		.amdhsa_enable_private_segment 0
		.amdhsa_system_sgpr_workgroup_id_x 1
		.amdhsa_system_sgpr_workgroup_id_y 0
		.amdhsa_system_sgpr_workgroup_id_z 0
		.amdhsa_system_sgpr_workgroup_info 0
		.amdhsa_system_vgpr_workitem_id 0
		.amdhsa_next_free_vgpr 1
		.amdhsa_next_free_sgpr 1
		.amdhsa_reserve_vcc 0
		.amdhsa_float_round_mode_32 0
		.amdhsa_float_round_mode_16_64 0
		.amdhsa_float_denorm_mode_32 3
		.amdhsa_float_denorm_mode_16_64 3
		.amdhsa_dx10_clamp 1
		.amdhsa_ieee_mode 1
		.amdhsa_fp16_overflow 0
		.amdhsa_workgroup_processor_mode 1
		.amdhsa_memory_ordered 1
		.amdhsa_forward_progress 0
		.amdhsa_shared_vgpr_count 0
		.amdhsa_exception_fp_ieee_invalid_op 0
		.amdhsa_exception_fp_denorm_src 0
		.amdhsa_exception_fp_ieee_div_zero 0
		.amdhsa_exception_fp_ieee_overflow 0
		.amdhsa_exception_fp_ieee_underflow 0
		.amdhsa_exception_fp_ieee_inexact 0
		.amdhsa_exception_int_div_zero 0
	.end_amdhsa_kernel
	.section	.text._ZN7rocprim17ROCPRIM_400000_NS6detail17trampoline_kernelINS0_14default_configENS1_25transform_config_selectorItLb0EEEZNS1_14transform_implILb0ES3_S5_NS0_18transform_iteratorINS0_17counting_iteratorImlEEZNS1_24adjacent_difference_implIS3_Lb1ELb0EPKtPtN6thrust23THRUST_200600_302600_NS4plusItEEEE10hipError_tPvRmT2_T3_mT4_P12ihipStream_tbEUlmE_tEESD_NS0_8identityIvEEEESI_SL_SM_mSN_SP_bEUlT_E_NS1_11comp_targetILNS1_3genE8ELNS1_11target_archE1030ELNS1_3gpuE2ELNS1_3repE0EEENS1_30default_config_static_selectorELNS0_4arch9wavefront6targetE0EEEvT1_,"axG",@progbits,_ZN7rocprim17ROCPRIM_400000_NS6detail17trampoline_kernelINS0_14default_configENS1_25transform_config_selectorItLb0EEEZNS1_14transform_implILb0ES3_S5_NS0_18transform_iteratorINS0_17counting_iteratorImlEEZNS1_24adjacent_difference_implIS3_Lb1ELb0EPKtPtN6thrust23THRUST_200600_302600_NS4plusItEEEE10hipError_tPvRmT2_T3_mT4_P12ihipStream_tbEUlmE_tEESD_NS0_8identityIvEEEESI_SL_SM_mSN_SP_bEUlT_E_NS1_11comp_targetILNS1_3genE8ELNS1_11target_archE1030ELNS1_3gpuE2ELNS1_3repE0EEENS1_30default_config_static_selectorELNS0_4arch9wavefront6targetE0EEEvT1_,comdat
.Lfunc_end689:
	.size	_ZN7rocprim17ROCPRIM_400000_NS6detail17trampoline_kernelINS0_14default_configENS1_25transform_config_selectorItLb0EEEZNS1_14transform_implILb0ES3_S5_NS0_18transform_iteratorINS0_17counting_iteratorImlEEZNS1_24adjacent_difference_implIS3_Lb1ELb0EPKtPtN6thrust23THRUST_200600_302600_NS4plusItEEEE10hipError_tPvRmT2_T3_mT4_P12ihipStream_tbEUlmE_tEESD_NS0_8identityIvEEEESI_SL_SM_mSN_SP_bEUlT_E_NS1_11comp_targetILNS1_3genE8ELNS1_11target_archE1030ELNS1_3gpuE2ELNS1_3repE0EEENS1_30default_config_static_selectorELNS0_4arch9wavefront6targetE0EEEvT1_, .Lfunc_end689-_ZN7rocprim17ROCPRIM_400000_NS6detail17trampoline_kernelINS0_14default_configENS1_25transform_config_selectorItLb0EEEZNS1_14transform_implILb0ES3_S5_NS0_18transform_iteratorINS0_17counting_iteratorImlEEZNS1_24adjacent_difference_implIS3_Lb1ELb0EPKtPtN6thrust23THRUST_200600_302600_NS4plusItEEEE10hipError_tPvRmT2_T3_mT4_P12ihipStream_tbEUlmE_tEESD_NS0_8identityIvEEEESI_SL_SM_mSN_SP_bEUlT_E_NS1_11comp_targetILNS1_3genE8ELNS1_11target_archE1030ELNS1_3gpuE2ELNS1_3repE0EEENS1_30default_config_static_selectorELNS0_4arch9wavefront6targetE0EEEvT1_
                                        ; -- End function
	.section	.AMDGPU.csdata,"",@progbits
; Kernel info:
; codeLenInByte = 0
; NumSgprs: 0
; NumVgprs: 0
; ScratchSize: 0
; MemoryBound: 0
; FloatMode: 240
; IeeeMode: 1
; LDSByteSize: 0 bytes/workgroup (compile time only)
; SGPRBlocks: 0
; VGPRBlocks: 0
; NumSGPRsForWavesPerEU: 1
; NumVGPRsForWavesPerEU: 1
; Occupancy: 16
; WaveLimiterHint : 0
; COMPUTE_PGM_RSRC2:SCRATCH_EN: 0
; COMPUTE_PGM_RSRC2:USER_SGPR: 15
; COMPUTE_PGM_RSRC2:TRAP_HANDLER: 0
; COMPUTE_PGM_RSRC2:TGID_X_EN: 1
; COMPUTE_PGM_RSRC2:TGID_Y_EN: 0
; COMPUTE_PGM_RSRC2:TGID_Z_EN: 0
; COMPUTE_PGM_RSRC2:TIDIG_COMP_CNT: 0
	.section	.text._ZN7rocprim17ROCPRIM_400000_NS6detail17trampoline_kernelINS0_14default_configENS1_35adjacent_difference_config_selectorILb1EtEEZNS1_24adjacent_difference_implIS3_Lb1ELb0EPKtPtN6thrust23THRUST_200600_302600_NS4plusItEEEE10hipError_tPvRmT2_T3_mT4_P12ihipStream_tbEUlT_E_NS1_11comp_targetILNS1_3genE0ELNS1_11target_archE4294967295ELNS1_3gpuE0ELNS1_3repE0EEENS1_30default_config_static_selectorELNS0_4arch9wavefront6targetE0EEEvT1_,"axG",@progbits,_ZN7rocprim17ROCPRIM_400000_NS6detail17trampoline_kernelINS0_14default_configENS1_35adjacent_difference_config_selectorILb1EtEEZNS1_24adjacent_difference_implIS3_Lb1ELb0EPKtPtN6thrust23THRUST_200600_302600_NS4plusItEEEE10hipError_tPvRmT2_T3_mT4_P12ihipStream_tbEUlT_E_NS1_11comp_targetILNS1_3genE0ELNS1_11target_archE4294967295ELNS1_3gpuE0ELNS1_3repE0EEENS1_30default_config_static_selectorELNS0_4arch9wavefront6targetE0EEEvT1_,comdat
	.protected	_ZN7rocprim17ROCPRIM_400000_NS6detail17trampoline_kernelINS0_14default_configENS1_35adjacent_difference_config_selectorILb1EtEEZNS1_24adjacent_difference_implIS3_Lb1ELb0EPKtPtN6thrust23THRUST_200600_302600_NS4plusItEEEE10hipError_tPvRmT2_T3_mT4_P12ihipStream_tbEUlT_E_NS1_11comp_targetILNS1_3genE0ELNS1_11target_archE4294967295ELNS1_3gpuE0ELNS1_3repE0EEENS1_30default_config_static_selectorELNS0_4arch9wavefront6targetE0EEEvT1_ ; -- Begin function _ZN7rocprim17ROCPRIM_400000_NS6detail17trampoline_kernelINS0_14default_configENS1_35adjacent_difference_config_selectorILb1EtEEZNS1_24adjacent_difference_implIS3_Lb1ELb0EPKtPtN6thrust23THRUST_200600_302600_NS4plusItEEEE10hipError_tPvRmT2_T3_mT4_P12ihipStream_tbEUlT_E_NS1_11comp_targetILNS1_3genE0ELNS1_11target_archE4294967295ELNS1_3gpuE0ELNS1_3repE0EEENS1_30default_config_static_selectorELNS0_4arch9wavefront6targetE0EEEvT1_
	.globl	_ZN7rocprim17ROCPRIM_400000_NS6detail17trampoline_kernelINS0_14default_configENS1_35adjacent_difference_config_selectorILb1EtEEZNS1_24adjacent_difference_implIS3_Lb1ELb0EPKtPtN6thrust23THRUST_200600_302600_NS4plusItEEEE10hipError_tPvRmT2_T3_mT4_P12ihipStream_tbEUlT_E_NS1_11comp_targetILNS1_3genE0ELNS1_11target_archE4294967295ELNS1_3gpuE0ELNS1_3repE0EEENS1_30default_config_static_selectorELNS0_4arch9wavefront6targetE0EEEvT1_
	.p2align	8
	.type	_ZN7rocprim17ROCPRIM_400000_NS6detail17trampoline_kernelINS0_14default_configENS1_35adjacent_difference_config_selectorILb1EtEEZNS1_24adjacent_difference_implIS3_Lb1ELb0EPKtPtN6thrust23THRUST_200600_302600_NS4plusItEEEE10hipError_tPvRmT2_T3_mT4_P12ihipStream_tbEUlT_E_NS1_11comp_targetILNS1_3genE0ELNS1_11target_archE4294967295ELNS1_3gpuE0ELNS1_3repE0EEENS1_30default_config_static_selectorELNS0_4arch9wavefront6targetE0EEEvT1_,@function
_ZN7rocprim17ROCPRIM_400000_NS6detail17trampoline_kernelINS0_14default_configENS1_35adjacent_difference_config_selectorILb1EtEEZNS1_24adjacent_difference_implIS3_Lb1ELb0EPKtPtN6thrust23THRUST_200600_302600_NS4plusItEEEE10hipError_tPvRmT2_T3_mT4_P12ihipStream_tbEUlT_E_NS1_11comp_targetILNS1_3genE0ELNS1_11target_archE4294967295ELNS1_3gpuE0ELNS1_3repE0EEENS1_30default_config_static_selectorELNS0_4arch9wavefront6targetE0EEEvT1_: ; @_ZN7rocprim17ROCPRIM_400000_NS6detail17trampoline_kernelINS0_14default_configENS1_35adjacent_difference_config_selectorILb1EtEEZNS1_24adjacent_difference_implIS3_Lb1ELb0EPKtPtN6thrust23THRUST_200600_302600_NS4plusItEEEE10hipError_tPvRmT2_T3_mT4_P12ihipStream_tbEUlT_E_NS1_11comp_targetILNS1_3genE0ELNS1_11target_archE4294967295ELNS1_3gpuE0ELNS1_3repE0EEENS1_30default_config_static_selectorELNS0_4arch9wavefront6targetE0EEEvT1_
; %bb.0:
	.section	.rodata,"a",@progbits
	.p2align	6, 0x0
	.amdhsa_kernel _ZN7rocprim17ROCPRIM_400000_NS6detail17trampoline_kernelINS0_14default_configENS1_35adjacent_difference_config_selectorILb1EtEEZNS1_24adjacent_difference_implIS3_Lb1ELb0EPKtPtN6thrust23THRUST_200600_302600_NS4plusItEEEE10hipError_tPvRmT2_T3_mT4_P12ihipStream_tbEUlT_E_NS1_11comp_targetILNS1_3genE0ELNS1_11target_archE4294967295ELNS1_3gpuE0ELNS1_3repE0EEENS1_30default_config_static_selectorELNS0_4arch9wavefront6targetE0EEEvT1_
		.amdhsa_group_segment_fixed_size 0
		.amdhsa_private_segment_fixed_size 0
		.amdhsa_kernarg_size 56
		.amdhsa_user_sgpr_count 15
		.amdhsa_user_sgpr_dispatch_ptr 0
		.amdhsa_user_sgpr_queue_ptr 0
		.amdhsa_user_sgpr_kernarg_segment_ptr 1
		.amdhsa_user_sgpr_dispatch_id 0
		.amdhsa_user_sgpr_private_segment_size 0
		.amdhsa_wavefront_size32 1
		.amdhsa_uses_dynamic_stack 0
		.amdhsa_enable_private_segment 0
		.amdhsa_system_sgpr_workgroup_id_x 1
		.amdhsa_system_sgpr_workgroup_id_y 0
		.amdhsa_system_sgpr_workgroup_id_z 0
		.amdhsa_system_sgpr_workgroup_info 0
		.amdhsa_system_vgpr_workitem_id 0
		.amdhsa_next_free_vgpr 1
		.amdhsa_next_free_sgpr 1
		.amdhsa_reserve_vcc 0
		.amdhsa_float_round_mode_32 0
		.amdhsa_float_round_mode_16_64 0
		.amdhsa_float_denorm_mode_32 3
		.amdhsa_float_denorm_mode_16_64 3
		.amdhsa_dx10_clamp 1
		.amdhsa_ieee_mode 1
		.amdhsa_fp16_overflow 0
		.amdhsa_workgroup_processor_mode 1
		.amdhsa_memory_ordered 1
		.amdhsa_forward_progress 0
		.amdhsa_shared_vgpr_count 0
		.amdhsa_exception_fp_ieee_invalid_op 0
		.amdhsa_exception_fp_denorm_src 0
		.amdhsa_exception_fp_ieee_div_zero 0
		.amdhsa_exception_fp_ieee_overflow 0
		.amdhsa_exception_fp_ieee_underflow 0
		.amdhsa_exception_fp_ieee_inexact 0
		.amdhsa_exception_int_div_zero 0
	.end_amdhsa_kernel
	.section	.text._ZN7rocprim17ROCPRIM_400000_NS6detail17trampoline_kernelINS0_14default_configENS1_35adjacent_difference_config_selectorILb1EtEEZNS1_24adjacent_difference_implIS3_Lb1ELb0EPKtPtN6thrust23THRUST_200600_302600_NS4plusItEEEE10hipError_tPvRmT2_T3_mT4_P12ihipStream_tbEUlT_E_NS1_11comp_targetILNS1_3genE0ELNS1_11target_archE4294967295ELNS1_3gpuE0ELNS1_3repE0EEENS1_30default_config_static_selectorELNS0_4arch9wavefront6targetE0EEEvT1_,"axG",@progbits,_ZN7rocprim17ROCPRIM_400000_NS6detail17trampoline_kernelINS0_14default_configENS1_35adjacent_difference_config_selectorILb1EtEEZNS1_24adjacent_difference_implIS3_Lb1ELb0EPKtPtN6thrust23THRUST_200600_302600_NS4plusItEEEE10hipError_tPvRmT2_T3_mT4_P12ihipStream_tbEUlT_E_NS1_11comp_targetILNS1_3genE0ELNS1_11target_archE4294967295ELNS1_3gpuE0ELNS1_3repE0EEENS1_30default_config_static_selectorELNS0_4arch9wavefront6targetE0EEEvT1_,comdat
.Lfunc_end690:
	.size	_ZN7rocprim17ROCPRIM_400000_NS6detail17trampoline_kernelINS0_14default_configENS1_35adjacent_difference_config_selectorILb1EtEEZNS1_24adjacent_difference_implIS3_Lb1ELb0EPKtPtN6thrust23THRUST_200600_302600_NS4plusItEEEE10hipError_tPvRmT2_T3_mT4_P12ihipStream_tbEUlT_E_NS1_11comp_targetILNS1_3genE0ELNS1_11target_archE4294967295ELNS1_3gpuE0ELNS1_3repE0EEENS1_30default_config_static_selectorELNS0_4arch9wavefront6targetE0EEEvT1_, .Lfunc_end690-_ZN7rocprim17ROCPRIM_400000_NS6detail17trampoline_kernelINS0_14default_configENS1_35adjacent_difference_config_selectorILb1EtEEZNS1_24adjacent_difference_implIS3_Lb1ELb0EPKtPtN6thrust23THRUST_200600_302600_NS4plusItEEEE10hipError_tPvRmT2_T3_mT4_P12ihipStream_tbEUlT_E_NS1_11comp_targetILNS1_3genE0ELNS1_11target_archE4294967295ELNS1_3gpuE0ELNS1_3repE0EEENS1_30default_config_static_selectorELNS0_4arch9wavefront6targetE0EEEvT1_
                                        ; -- End function
	.section	.AMDGPU.csdata,"",@progbits
; Kernel info:
; codeLenInByte = 0
; NumSgprs: 0
; NumVgprs: 0
; ScratchSize: 0
; MemoryBound: 0
; FloatMode: 240
; IeeeMode: 1
; LDSByteSize: 0 bytes/workgroup (compile time only)
; SGPRBlocks: 0
; VGPRBlocks: 0
; NumSGPRsForWavesPerEU: 1
; NumVGPRsForWavesPerEU: 1
; Occupancy: 16
; WaveLimiterHint : 0
; COMPUTE_PGM_RSRC2:SCRATCH_EN: 0
; COMPUTE_PGM_RSRC2:USER_SGPR: 15
; COMPUTE_PGM_RSRC2:TRAP_HANDLER: 0
; COMPUTE_PGM_RSRC2:TGID_X_EN: 1
; COMPUTE_PGM_RSRC2:TGID_Y_EN: 0
; COMPUTE_PGM_RSRC2:TGID_Z_EN: 0
; COMPUTE_PGM_RSRC2:TIDIG_COMP_CNT: 0
	.section	.text._ZN7rocprim17ROCPRIM_400000_NS6detail17trampoline_kernelINS0_14default_configENS1_35adjacent_difference_config_selectorILb1EtEEZNS1_24adjacent_difference_implIS3_Lb1ELb0EPKtPtN6thrust23THRUST_200600_302600_NS4plusItEEEE10hipError_tPvRmT2_T3_mT4_P12ihipStream_tbEUlT_E_NS1_11comp_targetILNS1_3genE10ELNS1_11target_archE1201ELNS1_3gpuE5ELNS1_3repE0EEENS1_30default_config_static_selectorELNS0_4arch9wavefront6targetE0EEEvT1_,"axG",@progbits,_ZN7rocprim17ROCPRIM_400000_NS6detail17trampoline_kernelINS0_14default_configENS1_35adjacent_difference_config_selectorILb1EtEEZNS1_24adjacent_difference_implIS3_Lb1ELb0EPKtPtN6thrust23THRUST_200600_302600_NS4plusItEEEE10hipError_tPvRmT2_T3_mT4_P12ihipStream_tbEUlT_E_NS1_11comp_targetILNS1_3genE10ELNS1_11target_archE1201ELNS1_3gpuE5ELNS1_3repE0EEENS1_30default_config_static_selectorELNS0_4arch9wavefront6targetE0EEEvT1_,comdat
	.protected	_ZN7rocprim17ROCPRIM_400000_NS6detail17trampoline_kernelINS0_14default_configENS1_35adjacent_difference_config_selectorILb1EtEEZNS1_24adjacent_difference_implIS3_Lb1ELb0EPKtPtN6thrust23THRUST_200600_302600_NS4plusItEEEE10hipError_tPvRmT2_T3_mT4_P12ihipStream_tbEUlT_E_NS1_11comp_targetILNS1_3genE10ELNS1_11target_archE1201ELNS1_3gpuE5ELNS1_3repE0EEENS1_30default_config_static_selectorELNS0_4arch9wavefront6targetE0EEEvT1_ ; -- Begin function _ZN7rocprim17ROCPRIM_400000_NS6detail17trampoline_kernelINS0_14default_configENS1_35adjacent_difference_config_selectorILb1EtEEZNS1_24adjacent_difference_implIS3_Lb1ELb0EPKtPtN6thrust23THRUST_200600_302600_NS4plusItEEEE10hipError_tPvRmT2_T3_mT4_P12ihipStream_tbEUlT_E_NS1_11comp_targetILNS1_3genE10ELNS1_11target_archE1201ELNS1_3gpuE5ELNS1_3repE0EEENS1_30default_config_static_selectorELNS0_4arch9wavefront6targetE0EEEvT1_
	.globl	_ZN7rocprim17ROCPRIM_400000_NS6detail17trampoline_kernelINS0_14default_configENS1_35adjacent_difference_config_selectorILb1EtEEZNS1_24adjacent_difference_implIS3_Lb1ELb0EPKtPtN6thrust23THRUST_200600_302600_NS4plusItEEEE10hipError_tPvRmT2_T3_mT4_P12ihipStream_tbEUlT_E_NS1_11comp_targetILNS1_3genE10ELNS1_11target_archE1201ELNS1_3gpuE5ELNS1_3repE0EEENS1_30default_config_static_selectorELNS0_4arch9wavefront6targetE0EEEvT1_
	.p2align	8
	.type	_ZN7rocprim17ROCPRIM_400000_NS6detail17trampoline_kernelINS0_14default_configENS1_35adjacent_difference_config_selectorILb1EtEEZNS1_24adjacent_difference_implIS3_Lb1ELb0EPKtPtN6thrust23THRUST_200600_302600_NS4plusItEEEE10hipError_tPvRmT2_T3_mT4_P12ihipStream_tbEUlT_E_NS1_11comp_targetILNS1_3genE10ELNS1_11target_archE1201ELNS1_3gpuE5ELNS1_3repE0EEENS1_30default_config_static_selectorELNS0_4arch9wavefront6targetE0EEEvT1_,@function
_ZN7rocprim17ROCPRIM_400000_NS6detail17trampoline_kernelINS0_14default_configENS1_35adjacent_difference_config_selectorILb1EtEEZNS1_24adjacent_difference_implIS3_Lb1ELb0EPKtPtN6thrust23THRUST_200600_302600_NS4plusItEEEE10hipError_tPvRmT2_T3_mT4_P12ihipStream_tbEUlT_E_NS1_11comp_targetILNS1_3genE10ELNS1_11target_archE1201ELNS1_3gpuE5ELNS1_3repE0EEENS1_30default_config_static_selectorELNS0_4arch9wavefront6targetE0EEEvT1_: ; @_ZN7rocprim17ROCPRIM_400000_NS6detail17trampoline_kernelINS0_14default_configENS1_35adjacent_difference_config_selectorILb1EtEEZNS1_24adjacent_difference_implIS3_Lb1ELb0EPKtPtN6thrust23THRUST_200600_302600_NS4plusItEEEE10hipError_tPvRmT2_T3_mT4_P12ihipStream_tbEUlT_E_NS1_11comp_targetILNS1_3genE10ELNS1_11target_archE1201ELNS1_3gpuE5ELNS1_3repE0EEENS1_30default_config_static_selectorELNS0_4arch9wavefront6targetE0EEEvT1_
; %bb.0:
	.section	.rodata,"a",@progbits
	.p2align	6, 0x0
	.amdhsa_kernel _ZN7rocprim17ROCPRIM_400000_NS6detail17trampoline_kernelINS0_14default_configENS1_35adjacent_difference_config_selectorILb1EtEEZNS1_24adjacent_difference_implIS3_Lb1ELb0EPKtPtN6thrust23THRUST_200600_302600_NS4plusItEEEE10hipError_tPvRmT2_T3_mT4_P12ihipStream_tbEUlT_E_NS1_11comp_targetILNS1_3genE10ELNS1_11target_archE1201ELNS1_3gpuE5ELNS1_3repE0EEENS1_30default_config_static_selectorELNS0_4arch9wavefront6targetE0EEEvT1_
		.amdhsa_group_segment_fixed_size 0
		.amdhsa_private_segment_fixed_size 0
		.amdhsa_kernarg_size 56
		.amdhsa_user_sgpr_count 15
		.amdhsa_user_sgpr_dispatch_ptr 0
		.amdhsa_user_sgpr_queue_ptr 0
		.amdhsa_user_sgpr_kernarg_segment_ptr 1
		.amdhsa_user_sgpr_dispatch_id 0
		.amdhsa_user_sgpr_private_segment_size 0
		.amdhsa_wavefront_size32 1
		.amdhsa_uses_dynamic_stack 0
		.amdhsa_enable_private_segment 0
		.amdhsa_system_sgpr_workgroup_id_x 1
		.amdhsa_system_sgpr_workgroup_id_y 0
		.amdhsa_system_sgpr_workgroup_id_z 0
		.amdhsa_system_sgpr_workgroup_info 0
		.amdhsa_system_vgpr_workitem_id 0
		.amdhsa_next_free_vgpr 1
		.amdhsa_next_free_sgpr 1
		.amdhsa_reserve_vcc 0
		.amdhsa_float_round_mode_32 0
		.amdhsa_float_round_mode_16_64 0
		.amdhsa_float_denorm_mode_32 3
		.amdhsa_float_denorm_mode_16_64 3
		.amdhsa_dx10_clamp 1
		.amdhsa_ieee_mode 1
		.amdhsa_fp16_overflow 0
		.amdhsa_workgroup_processor_mode 1
		.amdhsa_memory_ordered 1
		.amdhsa_forward_progress 0
		.amdhsa_shared_vgpr_count 0
		.amdhsa_exception_fp_ieee_invalid_op 0
		.amdhsa_exception_fp_denorm_src 0
		.amdhsa_exception_fp_ieee_div_zero 0
		.amdhsa_exception_fp_ieee_overflow 0
		.amdhsa_exception_fp_ieee_underflow 0
		.amdhsa_exception_fp_ieee_inexact 0
		.amdhsa_exception_int_div_zero 0
	.end_amdhsa_kernel
	.section	.text._ZN7rocprim17ROCPRIM_400000_NS6detail17trampoline_kernelINS0_14default_configENS1_35adjacent_difference_config_selectorILb1EtEEZNS1_24adjacent_difference_implIS3_Lb1ELb0EPKtPtN6thrust23THRUST_200600_302600_NS4plusItEEEE10hipError_tPvRmT2_T3_mT4_P12ihipStream_tbEUlT_E_NS1_11comp_targetILNS1_3genE10ELNS1_11target_archE1201ELNS1_3gpuE5ELNS1_3repE0EEENS1_30default_config_static_selectorELNS0_4arch9wavefront6targetE0EEEvT1_,"axG",@progbits,_ZN7rocprim17ROCPRIM_400000_NS6detail17trampoline_kernelINS0_14default_configENS1_35adjacent_difference_config_selectorILb1EtEEZNS1_24adjacent_difference_implIS3_Lb1ELb0EPKtPtN6thrust23THRUST_200600_302600_NS4plusItEEEE10hipError_tPvRmT2_T3_mT4_P12ihipStream_tbEUlT_E_NS1_11comp_targetILNS1_3genE10ELNS1_11target_archE1201ELNS1_3gpuE5ELNS1_3repE0EEENS1_30default_config_static_selectorELNS0_4arch9wavefront6targetE0EEEvT1_,comdat
.Lfunc_end691:
	.size	_ZN7rocprim17ROCPRIM_400000_NS6detail17trampoline_kernelINS0_14default_configENS1_35adjacent_difference_config_selectorILb1EtEEZNS1_24adjacent_difference_implIS3_Lb1ELb0EPKtPtN6thrust23THRUST_200600_302600_NS4plusItEEEE10hipError_tPvRmT2_T3_mT4_P12ihipStream_tbEUlT_E_NS1_11comp_targetILNS1_3genE10ELNS1_11target_archE1201ELNS1_3gpuE5ELNS1_3repE0EEENS1_30default_config_static_selectorELNS0_4arch9wavefront6targetE0EEEvT1_, .Lfunc_end691-_ZN7rocprim17ROCPRIM_400000_NS6detail17trampoline_kernelINS0_14default_configENS1_35adjacent_difference_config_selectorILb1EtEEZNS1_24adjacent_difference_implIS3_Lb1ELb0EPKtPtN6thrust23THRUST_200600_302600_NS4plusItEEEE10hipError_tPvRmT2_T3_mT4_P12ihipStream_tbEUlT_E_NS1_11comp_targetILNS1_3genE10ELNS1_11target_archE1201ELNS1_3gpuE5ELNS1_3repE0EEENS1_30default_config_static_selectorELNS0_4arch9wavefront6targetE0EEEvT1_
                                        ; -- End function
	.section	.AMDGPU.csdata,"",@progbits
; Kernel info:
; codeLenInByte = 0
; NumSgprs: 0
; NumVgprs: 0
; ScratchSize: 0
; MemoryBound: 0
; FloatMode: 240
; IeeeMode: 1
; LDSByteSize: 0 bytes/workgroup (compile time only)
; SGPRBlocks: 0
; VGPRBlocks: 0
; NumSGPRsForWavesPerEU: 1
; NumVGPRsForWavesPerEU: 1
; Occupancy: 16
; WaveLimiterHint : 0
; COMPUTE_PGM_RSRC2:SCRATCH_EN: 0
; COMPUTE_PGM_RSRC2:USER_SGPR: 15
; COMPUTE_PGM_RSRC2:TRAP_HANDLER: 0
; COMPUTE_PGM_RSRC2:TGID_X_EN: 1
; COMPUTE_PGM_RSRC2:TGID_Y_EN: 0
; COMPUTE_PGM_RSRC2:TGID_Z_EN: 0
; COMPUTE_PGM_RSRC2:TIDIG_COMP_CNT: 0
	.section	.text._ZN7rocprim17ROCPRIM_400000_NS6detail17trampoline_kernelINS0_14default_configENS1_35adjacent_difference_config_selectorILb1EtEEZNS1_24adjacent_difference_implIS3_Lb1ELb0EPKtPtN6thrust23THRUST_200600_302600_NS4plusItEEEE10hipError_tPvRmT2_T3_mT4_P12ihipStream_tbEUlT_E_NS1_11comp_targetILNS1_3genE5ELNS1_11target_archE942ELNS1_3gpuE9ELNS1_3repE0EEENS1_30default_config_static_selectorELNS0_4arch9wavefront6targetE0EEEvT1_,"axG",@progbits,_ZN7rocprim17ROCPRIM_400000_NS6detail17trampoline_kernelINS0_14default_configENS1_35adjacent_difference_config_selectorILb1EtEEZNS1_24adjacent_difference_implIS3_Lb1ELb0EPKtPtN6thrust23THRUST_200600_302600_NS4plusItEEEE10hipError_tPvRmT2_T3_mT4_P12ihipStream_tbEUlT_E_NS1_11comp_targetILNS1_3genE5ELNS1_11target_archE942ELNS1_3gpuE9ELNS1_3repE0EEENS1_30default_config_static_selectorELNS0_4arch9wavefront6targetE0EEEvT1_,comdat
	.protected	_ZN7rocprim17ROCPRIM_400000_NS6detail17trampoline_kernelINS0_14default_configENS1_35adjacent_difference_config_selectorILb1EtEEZNS1_24adjacent_difference_implIS3_Lb1ELb0EPKtPtN6thrust23THRUST_200600_302600_NS4plusItEEEE10hipError_tPvRmT2_T3_mT4_P12ihipStream_tbEUlT_E_NS1_11comp_targetILNS1_3genE5ELNS1_11target_archE942ELNS1_3gpuE9ELNS1_3repE0EEENS1_30default_config_static_selectorELNS0_4arch9wavefront6targetE0EEEvT1_ ; -- Begin function _ZN7rocprim17ROCPRIM_400000_NS6detail17trampoline_kernelINS0_14default_configENS1_35adjacent_difference_config_selectorILb1EtEEZNS1_24adjacent_difference_implIS3_Lb1ELb0EPKtPtN6thrust23THRUST_200600_302600_NS4plusItEEEE10hipError_tPvRmT2_T3_mT4_P12ihipStream_tbEUlT_E_NS1_11comp_targetILNS1_3genE5ELNS1_11target_archE942ELNS1_3gpuE9ELNS1_3repE0EEENS1_30default_config_static_selectorELNS0_4arch9wavefront6targetE0EEEvT1_
	.globl	_ZN7rocprim17ROCPRIM_400000_NS6detail17trampoline_kernelINS0_14default_configENS1_35adjacent_difference_config_selectorILb1EtEEZNS1_24adjacent_difference_implIS3_Lb1ELb0EPKtPtN6thrust23THRUST_200600_302600_NS4plusItEEEE10hipError_tPvRmT2_T3_mT4_P12ihipStream_tbEUlT_E_NS1_11comp_targetILNS1_3genE5ELNS1_11target_archE942ELNS1_3gpuE9ELNS1_3repE0EEENS1_30default_config_static_selectorELNS0_4arch9wavefront6targetE0EEEvT1_
	.p2align	8
	.type	_ZN7rocprim17ROCPRIM_400000_NS6detail17trampoline_kernelINS0_14default_configENS1_35adjacent_difference_config_selectorILb1EtEEZNS1_24adjacent_difference_implIS3_Lb1ELb0EPKtPtN6thrust23THRUST_200600_302600_NS4plusItEEEE10hipError_tPvRmT2_T3_mT4_P12ihipStream_tbEUlT_E_NS1_11comp_targetILNS1_3genE5ELNS1_11target_archE942ELNS1_3gpuE9ELNS1_3repE0EEENS1_30default_config_static_selectorELNS0_4arch9wavefront6targetE0EEEvT1_,@function
_ZN7rocprim17ROCPRIM_400000_NS6detail17trampoline_kernelINS0_14default_configENS1_35adjacent_difference_config_selectorILb1EtEEZNS1_24adjacent_difference_implIS3_Lb1ELb0EPKtPtN6thrust23THRUST_200600_302600_NS4plusItEEEE10hipError_tPvRmT2_T3_mT4_P12ihipStream_tbEUlT_E_NS1_11comp_targetILNS1_3genE5ELNS1_11target_archE942ELNS1_3gpuE9ELNS1_3repE0EEENS1_30default_config_static_selectorELNS0_4arch9wavefront6targetE0EEEvT1_: ; @_ZN7rocprim17ROCPRIM_400000_NS6detail17trampoline_kernelINS0_14default_configENS1_35adjacent_difference_config_selectorILb1EtEEZNS1_24adjacent_difference_implIS3_Lb1ELb0EPKtPtN6thrust23THRUST_200600_302600_NS4plusItEEEE10hipError_tPvRmT2_T3_mT4_P12ihipStream_tbEUlT_E_NS1_11comp_targetILNS1_3genE5ELNS1_11target_archE942ELNS1_3gpuE9ELNS1_3repE0EEENS1_30default_config_static_selectorELNS0_4arch9wavefront6targetE0EEEvT1_
; %bb.0:
	.section	.rodata,"a",@progbits
	.p2align	6, 0x0
	.amdhsa_kernel _ZN7rocprim17ROCPRIM_400000_NS6detail17trampoline_kernelINS0_14default_configENS1_35adjacent_difference_config_selectorILb1EtEEZNS1_24adjacent_difference_implIS3_Lb1ELb0EPKtPtN6thrust23THRUST_200600_302600_NS4plusItEEEE10hipError_tPvRmT2_T3_mT4_P12ihipStream_tbEUlT_E_NS1_11comp_targetILNS1_3genE5ELNS1_11target_archE942ELNS1_3gpuE9ELNS1_3repE0EEENS1_30default_config_static_selectorELNS0_4arch9wavefront6targetE0EEEvT1_
		.amdhsa_group_segment_fixed_size 0
		.amdhsa_private_segment_fixed_size 0
		.amdhsa_kernarg_size 56
		.amdhsa_user_sgpr_count 15
		.amdhsa_user_sgpr_dispatch_ptr 0
		.amdhsa_user_sgpr_queue_ptr 0
		.amdhsa_user_sgpr_kernarg_segment_ptr 1
		.amdhsa_user_sgpr_dispatch_id 0
		.amdhsa_user_sgpr_private_segment_size 0
		.amdhsa_wavefront_size32 1
		.amdhsa_uses_dynamic_stack 0
		.amdhsa_enable_private_segment 0
		.amdhsa_system_sgpr_workgroup_id_x 1
		.amdhsa_system_sgpr_workgroup_id_y 0
		.amdhsa_system_sgpr_workgroup_id_z 0
		.amdhsa_system_sgpr_workgroup_info 0
		.amdhsa_system_vgpr_workitem_id 0
		.amdhsa_next_free_vgpr 1
		.amdhsa_next_free_sgpr 1
		.amdhsa_reserve_vcc 0
		.amdhsa_float_round_mode_32 0
		.amdhsa_float_round_mode_16_64 0
		.amdhsa_float_denorm_mode_32 3
		.amdhsa_float_denorm_mode_16_64 3
		.amdhsa_dx10_clamp 1
		.amdhsa_ieee_mode 1
		.amdhsa_fp16_overflow 0
		.amdhsa_workgroup_processor_mode 1
		.amdhsa_memory_ordered 1
		.amdhsa_forward_progress 0
		.amdhsa_shared_vgpr_count 0
		.amdhsa_exception_fp_ieee_invalid_op 0
		.amdhsa_exception_fp_denorm_src 0
		.amdhsa_exception_fp_ieee_div_zero 0
		.amdhsa_exception_fp_ieee_overflow 0
		.amdhsa_exception_fp_ieee_underflow 0
		.amdhsa_exception_fp_ieee_inexact 0
		.amdhsa_exception_int_div_zero 0
	.end_amdhsa_kernel
	.section	.text._ZN7rocprim17ROCPRIM_400000_NS6detail17trampoline_kernelINS0_14default_configENS1_35adjacent_difference_config_selectorILb1EtEEZNS1_24adjacent_difference_implIS3_Lb1ELb0EPKtPtN6thrust23THRUST_200600_302600_NS4plusItEEEE10hipError_tPvRmT2_T3_mT4_P12ihipStream_tbEUlT_E_NS1_11comp_targetILNS1_3genE5ELNS1_11target_archE942ELNS1_3gpuE9ELNS1_3repE0EEENS1_30default_config_static_selectorELNS0_4arch9wavefront6targetE0EEEvT1_,"axG",@progbits,_ZN7rocprim17ROCPRIM_400000_NS6detail17trampoline_kernelINS0_14default_configENS1_35adjacent_difference_config_selectorILb1EtEEZNS1_24adjacent_difference_implIS3_Lb1ELb0EPKtPtN6thrust23THRUST_200600_302600_NS4plusItEEEE10hipError_tPvRmT2_T3_mT4_P12ihipStream_tbEUlT_E_NS1_11comp_targetILNS1_3genE5ELNS1_11target_archE942ELNS1_3gpuE9ELNS1_3repE0EEENS1_30default_config_static_selectorELNS0_4arch9wavefront6targetE0EEEvT1_,comdat
.Lfunc_end692:
	.size	_ZN7rocprim17ROCPRIM_400000_NS6detail17trampoline_kernelINS0_14default_configENS1_35adjacent_difference_config_selectorILb1EtEEZNS1_24adjacent_difference_implIS3_Lb1ELb0EPKtPtN6thrust23THRUST_200600_302600_NS4plusItEEEE10hipError_tPvRmT2_T3_mT4_P12ihipStream_tbEUlT_E_NS1_11comp_targetILNS1_3genE5ELNS1_11target_archE942ELNS1_3gpuE9ELNS1_3repE0EEENS1_30default_config_static_selectorELNS0_4arch9wavefront6targetE0EEEvT1_, .Lfunc_end692-_ZN7rocprim17ROCPRIM_400000_NS6detail17trampoline_kernelINS0_14default_configENS1_35adjacent_difference_config_selectorILb1EtEEZNS1_24adjacent_difference_implIS3_Lb1ELb0EPKtPtN6thrust23THRUST_200600_302600_NS4plusItEEEE10hipError_tPvRmT2_T3_mT4_P12ihipStream_tbEUlT_E_NS1_11comp_targetILNS1_3genE5ELNS1_11target_archE942ELNS1_3gpuE9ELNS1_3repE0EEENS1_30default_config_static_selectorELNS0_4arch9wavefront6targetE0EEEvT1_
                                        ; -- End function
	.section	.AMDGPU.csdata,"",@progbits
; Kernel info:
; codeLenInByte = 0
; NumSgprs: 0
; NumVgprs: 0
; ScratchSize: 0
; MemoryBound: 0
; FloatMode: 240
; IeeeMode: 1
; LDSByteSize: 0 bytes/workgroup (compile time only)
; SGPRBlocks: 0
; VGPRBlocks: 0
; NumSGPRsForWavesPerEU: 1
; NumVGPRsForWavesPerEU: 1
; Occupancy: 16
; WaveLimiterHint : 0
; COMPUTE_PGM_RSRC2:SCRATCH_EN: 0
; COMPUTE_PGM_RSRC2:USER_SGPR: 15
; COMPUTE_PGM_RSRC2:TRAP_HANDLER: 0
; COMPUTE_PGM_RSRC2:TGID_X_EN: 1
; COMPUTE_PGM_RSRC2:TGID_Y_EN: 0
; COMPUTE_PGM_RSRC2:TGID_Z_EN: 0
; COMPUTE_PGM_RSRC2:TIDIG_COMP_CNT: 0
	.section	.text._ZN7rocprim17ROCPRIM_400000_NS6detail17trampoline_kernelINS0_14default_configENS1_35adjacent_difference_config_selectorILb1EtEEZNS1_24adjacent_difference_implIS3_Lb1ELb0EPKtPtN6thrust23THRUST_200600_302600_NS4plusItEEEE10hipError_tPvRmT2_T3_mT4_P12ihipStream_tbEUlT_E_NS1_11comp_targetILNS1_3genE4ELNS1_11target_archE910ELNS1_3gpuE8ELNS1_3repE0EEENS1_30default_config_static_selectorELNS0_4arch9wavefront6targetE0EEEvT1_,"axG",@progbits,_ZN7rocprim17ROCPRIM_400000_NS6detail17trampoline_kernelINS0_14default_configENS1_35adjacent_difference_config_selectorILb1EtEEZNS1_24adjacent_difference_implIS3_Lb1ELb0EPKtPtN6thrust23THRUST_200600_302600_NS4plusItEEEE10hipError_tPvRmT2_T3_mT4_P12ihipStream_tbEUlT_E_NS1_11comp_targetILNS1_3genE4ELNS1_11target_archE910ELNS1_3gpuE8ELNS1_3repE0EEENS1_30default_config_static_selectorELNS0_4arch9wavefront6targetE0EEEvT1_,comdat
	.protected	_ZN7rocprim17ROCPRIM_400000_NS6detail17trampoline_kernelINS0_14default_configENS1_35adjacent_difference_config_selectorILb1EtEEZNS1_24adjacent_difference_implIS3_Lb1ELb0EPKtPtN6thrust23THRUST_200600_302600_NS4plusItEEEE10hipError_tPvRmT2_T3_mT4_P12ihipStream_tbEUlT_E_NS1_11comp_targetILNS1_3genE4ELNS1_11target_archE910ELNS1_3gpuE8ELNS1_3repE0EEENS1_30default_config_static_selectorELNS0_4arch9wavefront6targetE0EEEvT1_ ; -- Begin function _ZN7rocprim17ROCPRIM_400000_NS6detail17trampoline_kernelINS0_14default_configENS1_35adjacent_difference_config_selectorILb1EtEEZNS1_24adjacent_difference_implIS3_Lb1ELb0EPKtPtN6thrust23THRUST_200600_302600_NS4plusItEEEE10hipError_tPvRmT2_T3_mT4_P12ihipStream_tbEUlT_E_NS1_11comp_targetILNS1_3genE4ELNS1_11target_archE910ELNS1_3gpuE8ELNS1_3repE0EEENS1_30default_config_static_selectorELNS0_4arch9wavefront6targetE0EEEvT1_
	.globl	_ZN7rocprim17ROCPRIM_400000_NS6detail17trampoline_kernelINS0_14default_configENS1_35adjacent_difference_config_selectorILb1EtEEZNS1_24adjacent_difference_implIS3_Lb1ELb0EPKtPtN6thrust23THRUST_200600_302600_NS4plusItEEEE10hipError_tPvRmT2_T3_mT4_P12ihipStream_tbEUlT_E_NS1_11comp_targetILNS1_3genE4ELNS1_11target_archE910ELNS1_3gpuE8ELNS1_3repE0EEENS1_30default_config_static_selectorELNS0_4arch9wavefront6targetE0EEEvT1_
	.p2align	8
	.type	_ZN7rocprim17ROCPRIM_400000_NS6detail17trampoline_kernelINS0_14default_configENS1_35adjacent_difference_config_selectorILb1EtEEZNS1_24adjacent_difference_implIS3_Lb1ELb0EPKtPtN6thrust23THRUST_200600_302600_NS4plusItEEEE10hipError_tPvRmT2_T3_mT4_P12ihipStream_tbEUlT_E_NS1_11comp_targetILNS1_3genE4ELNS1_11target_archE910ELNS1_3gpuE8ELNS1_3repE0EEENS1_30default_config_static_selectorELNS0_4arch9wavefront6targetE0EEEvT1_,@function
_ZN7rocprim17ROCPRIM_400000_NS6detail17trampoline_kernelINS0_14default_configENS1_35adjacent_difference_config_selectorILb1EtEEZNS1_24adjacent_difference_implIS3_Lb1ELb0EPKtPtN6thrust23THRUST_200600_302600_NS4plusItEEEE10hipError_tPvRmT2_T3_mT4_P12ihipStream_tbEUlT_E_NS1_11comp_targetILNS1_3genE4ELNS1_11target_archE910ELNS1_3gpuE8ELNS1_3repE0EEENS1_30default_config_static_selectorELNS0_4arch9wavefront6targetE0EEEvT1_: ; @_ZN7rocprim17ROCPRIM_400000_NS6detail17trampoline_kernelINS0_14default_configENS1_35adjacent_difference_config_selectorILb1EtEEZNS1_24adjacent_difference_implIS3_Lb1ELb0EPKtPtN6thrust23THRUST_200600_302600_NS4plusItEEEE10hipError_tPvRmT2_T3_mT4_P12ihipStream_tbEUlT_E_NS1_11comp_targetILNS1_3genE4ELNS1_11target_archE910ELNS1_3gpuE8ELNS1_3repE0EEENS1_30default_config_static_selectorELNS0_4arch9wavefront6targetE0EEEvT1_
; %bb.0:
	.section	.rodata,"a",@progbits
	.p2align	6, 0x0
	.amdhsa_kernel _ZN7rocprim17ROCPRIM_400000_NS6detail17trampoline_kernelINS0_14default_configENS1_35adjacent_difference_config_selectorILb1EtEEZNS1_24adjacent_difference_implIS3_Lb1ELb0EPKtPtN6thrust23THRUST_200600_302600_NS4plusItEEEE10hipError_tPvRmT2_T3_mT4_P12ihipStream_tbEUlT_E_NS1_11comp_targetILNS1_3genE4ELNS1_11target_archE910ELNS1_3gpuE8ELNS1_3repE0EEENS1_30default_config_static_selectorELNS0_4arch9wavefront6targetE0EEEvT1_
		.amdhsa_group_segment_fixed_size 0
		.amdhsa_private_segment_fixed_size 0
		.amdhsa_kernarg_size 56
		.amdhsa_user_sgpr_count 15
		.amdhsa_user_sgpr_dispatch_ptr 0
		.amdhsa_user_sgpr_queue_ptr 0
		.amdhsa_user_sgpr_kernarg_segment_ptr 1
		.amdhsa_user_sgpr_dispatch_id 0
		.amdhsa_user_sgpr_private_segment_size 0
		.amdhsa_wavefront_size32 1
		.amdhsa_uses_dynamic_stack 0
		.amdhsa_enable_private_segment 0
		.amdhsa_system_sgpr_workgroup_id_x 1
		.amdhsa_system_sgpr_workgroup_id_y 0
		.amdhsa_system_sgpr_workgroup_id_z 0
		.amdhsa_system_sgpr_workgroup_info 0
		.amdhsa_system_vgpr_workitem_id 0
		.amdhsa_next_free_vgpr 1
		.amdhsa_next_free_sgpr 1
		.amdhsa_reserve_vcc 0
		.amdhsa_float_round_mode_32 0
		.amdhsa_float_round_mode_16_64 0
		.amdhsa_float_denorm_mode_32 3
		.amdhsa_float_denorm_mode_16_64 3
		.amdhsa_dx10_clamp 1
		.amdhsa_ieee_mode 1
		.amdhsa_fp16_overflow 0
		.amdhsa_workgroup_processor_mode 1
		.amdhsa_memory_ordered 1
		.amdhsa_forward_progress 0
		.amdhsa_shared_vgpr_count 0
		.amdhsa_exception_fp_ieee_invalid_op 0
		.amdhsa_exception_fp_denorm_src 0
		.amdhsa_exception_fp_ieee_div_zero 0
		.amdhsa_exception_fp_ieee_overflow 0
		.amdhsa_exception_fp_ieee_underflow 0
		.amdhsa_exception_fp_ieee_inexact 0
		.amdhsa_exception_int_div_zero 0
	.end_amdhsa_kernel
	.section	.text._ZN7rocprim17ROCPRIM_400000_NS6detail17trampoline_kernelINS0_14default_configENS1_35adjacent_difference_config_selectorILb1EtEEZNS1_24adjacent_difference_implIS3_Lb1ELb0EPKtPtN6thrust23THRUST_200600_302600_NS4plusItEEEE10hipError_tPvRmT2_T3_mT4_P12ihipStream_tbEUlT_E_NS1_11comp_targetILNS1_3genE4ELNS1_11target_archE910ELNS1_3gpuE8ELNS1_3repE0EEENS1_30default_config_static_selectorELNS0_4arch9wavefront6targetE0EEEvT1_,"axG",@progbits,_ZN7rocprim17ROCPRIM_400000_NS6detail17trampoline_kernelINS0_14default_configENS1_35adjacent_difference_config_selectorILb1EtEEZNS1_24adjacent_difference_implIS3_Lb1ELb0EPKtPtN6thrust23THRUST_200600_302600_NS4plusItEEEE10hipError_tPvRmT2_T3_mT4_P12ihipStream_tbEUlT_E_NS1_11comp_targetILNS1_3genE4ELNS1_11target_archE910ELNS1_3gpuE8ELNS1_3repE0EEENS1_30default_config_static_selectorELNS0_4arch9wavefront6targetE0EEEvT1_,comdat
.Lfunc_end693:
	.size	_ZN7rocprim17ROCPRIM_400000_NS6detail17trampoline_kernelINS0_14default_configENS1_35adjacent_difference_config_selectorILb1EtEEZNS1_24adjacent_difference_implIS3_Lb1ELb0EPKtPtN6thrust23THRUST_200600_302600_NS4plusItEEEE10hipError_tPvRmT2_T3_mT4_P12ihipStream_tbEUlT_E_NS1_11comp_targetILNS1_3genE4ELNS1_11target_archE910ELNS1_3gpuE8ELNS1_3repE0EEENS1_30default_config_static_selectorELNS0_4arch9wavefront6targetE0EEEvT1_, .Lfunc_end693-_ZN7rocprim17ROCPRIM_400000_NS6detail17trampoline_kernelINS0_14default_configENS1_35adjacent_difference_config_selectorILb1EtEEZNS1_24adjacent_difference_implIS3_Lb1ELb0EPKtPtN6thrust23THRUST_200600_302600_NS4plusItEEEE10hipError_tPvRmT2_T3_mT4_P12ihipStream_tbEUlT_E_NS1_11comp_targetILNS1_3genE4ELNS1_11target_archE910ELNS1_3gpuE8ELNS1_3repE0EEENS1_30default_config_static_selectorELNS0_4arch9wavefront6targetE0EEEvT1_
                                        ; -- End function
	.section	.AMDGPU.csdata,"",@progbits
; Kernel info:
; codeLenInByte = 0
; NumSgprs: 0
; NumVgprs: 0
; ScratchSize: 0
; MemoryBound: 0
; FloatMode: 240
; IeeeMode: 1
; LDSByteSize: 0 bytes/workgroup (compile time only)
; SGPRBlocks: 0
; VGPRBlocks: 0
; NumSGPRsForWavesPerEU: 1
; NumVGPRsForWavesPerEU: 1
; Occupancy: 16
; WaveLimiterHint : 0
; COMPUTE_PGM_RSRC2:SCRATCH_EN: 0
; COMPUTE_PGM_RSRC2:USER_SGPR: 15
; COMPUTE_PGM_RSRC2:TRAP_HANDLER: 0
; COMPUTE_PGM_RSRC2:TGID_X_EN: 1
; COMPUTE_PGM_RSRC2:TGID_Y_EN: 0
; COMPUTE_PGM_RSRC2:TGID_Z_EN: 0
; COMPUTE_PGM_RSRC2:TIDIG_COMP_CNT: 0
	.section	.text._ZN7rocprim17ROCPRIM_400000_NS6detail17trampoline_kernelINS0_14default_configENS1_35adjacent_difference_config_selectorILb1EtEEZNS1_24adjacent_difference_implIS3_Lb1ELb0EPKtPtN6thrust23THRUST_200600_302600_NS4plusItEEEE10hipError_tPvRmT2_T3_mT4_P12ihipStream_tbEUlT_E_NS1_11comp_targetILNS1_3genE3ELNS1_11target_archE908ELNS1_3gpuE7ELNS1_3repE0EEENS1_30default_config_static_selectorELNS0_4arch9wavefront6targetE0EEEvT1_,"axG",@progbits,_ZN7rocprim17ROCPRIM_400000_NS6detail17trampoline_kernelINS0_14default_configENS1_35adjacent_difference_config_selectorILb1EtEEZNS1_24adjacent_difference_implIS3_Lb1ELb0EPKtPtN6thrust23THRUST_200600_302600_NS4plusItEEEE10hipError_tPvRmT2_T3_mT4_P12ihipStream_tbEUlT_E_NS1_11comp_targetILNS1_3genE3ELNS1_11target_archE908ELNS1_3gpuE7ELNS1_3repE0EEENS1_30default_config_static_selectorELNS0_4arch9wavefront6targetE0EEEvT1_,comdat
	.protected	_ZN7rocprim17ROCPRIM_400000_NS6detail17trampoline_kernelINS0_14default_configENS1_35adjacent_difference_config_selectorILb1EtEEZNS1_24adjacent_difference_implIS3_Lb1ELb0EPKtPtN6thrust23THRUST_200600_302600_NS4plusItEEEE10hipError_tPvRmT2_T3_mT4_P12ihipStream_tbEUlT_E_NS1_11comp_targetILNS1_3genE3ELNS1_11target_archE908ELNS1_3gpuE7ELNS1_3repE0EEENS1_30default_config_static_selectorELNS0_4arch9wavefront6targetE0EEEvT1_ ; -- Begin function _ZN7rocprim17ROCPRIM_400000_NS6detail17trampoline_kernelINS0_14default_configENS1_35adjacent_difference_config_selectorILb1EtEEZNS1_24adjacent_difference_implIS3_Lb1ELb0EPKtPtN6thrust23THRUST_200600_302600_NS4plusItEEEE10hipError_tPvRmT2_T3_mT4_P12ihipStream_tbEUlT_E_NS1_11comp_targetILNS1_3genE3ELNS1_11target_archE908ELNS1_3gpuE7ELNS1_3repE0EEENS1_30default_config_static_selectorELNS0_4arch9wavefront6targetE0EEEvT1_
	.globl	_ZN7rocprim17ROCPRIM_400000_NS6detail17trampoline_kernelINS0_14default_configENS1_35adjacent_difference_config_selectorILb1EtEEZNS1_24adjacent_difference_implIS3_Lb1ELb0EPKtPtN6thrust23THRUST_200600_302600_NS4plusItEEEE10hipError_tPvRmT2_T3_mT4_P12ihipStream_tbEUlT_E_NS1_11comp_targetILNS1_3genE3ELNS1_11target_archE908ELNS1_3gpuE7ELNS1_3repE0EEENS1_30default_config_static_selectorELNS0_4arch9wavefront6targetE0EEEvT1_
	.p2align	8
	.type	_ZN7rocprim17ROCPRIM_400000_NS6detail17trampoline_kernelINS0_14default_configENS1_35adjacent_difference_config_selectorILb1EtEEZNS1_24adjacent_difference_implIS3_Lb1ELb0EPKtPtN6thrust23THRUST_200600_302600_NS4plusItEEEE10hipError_tPvRmT2_T3_mT4_P12ihipStream_tbEUlT_E_NS1_11comp_targetILNS1_3genE3ELNS1_11target_archE908ELNS1_3gpuE7ELNS1_3repE0EEENS1_30default_config_static_selectorELNS0_4arch9wavefront6targetE0EEEvT1_,@function
_ZN7rocprim17ROCPRIM_400000_NS6detail17trampoline_kernelINS0_14default_configENS1_35adjacent_difference_config_selectorILb1EtEEZNS1_24adjacent_difference_implIS3_Lb1ELb0EPKtPtN6thrust23THRUST_200600_302600_NS4plusItEEEE10hipError_tPvRmT2_T3_mT4_P12ihipStream_tbEUlT_E_NS1_11comp_targetILNS1_3genE3ELNS1_11target_archE908ELNS1_3gpuE7ELNS1_3repE0EEENS1_30default_config_static_selectorELNS0_4arch9wavefront6targetE0EEEvT1_: ; @_ZN7rocprim17ROCPRIM_400000_NS6detail17trampoline_kernelINS0_14default_configENS1_35adjacent_difference_config_selectorILb1EtEEZNS1_24adjacent_difference_implIS3_Lb1ELb0EPKtPtN6thrust23THRUST_200600_302600_NS4plusItEEEE10hipError_tPvRmT2_T3_mT4_P12ihipStream_tbEUlT_E_NS1_11comp_targetILNS1_3genE3ELNS1_11target_archE908ELNS1_3gpuE7ELNS1_3repE0EEENS1_30default_config_static_selectorELNS0_4arch9wavefront6targetE0EEEvT1_
; %bb.0:
	.section	.rodata,"a",@progbits
	.p2align	6, 0x0
	.amdhsa_kernel _ZN7rocprim17ROCPRIM_400000_NS6detail17trampoline_kernelINS0_14default_configENS1_35adjacent_difference_config_selectorILb1EtEEZNS1_24adjacent_difference_implIS3_Lb1ELb0EPKtPtN6thrust23THRUST_200600_302600_NS4plusItEEEE10hipError_tPvRmT2_T3_mT4_P12ihipStream_tbEUlT_E_NS1_11comp_targetILNS1_3genE3ELNS1_11target_archE908ELNS1_3gpuE7ELNS1_3repE0EEENS1_30default_config_static_selectorELNS0_4arch9wavefront6targetE0EEEvT1_
		.amdhsa_group_segment_fixed_size 0
		.amdhsa_private_segment_fixed_size 0
		.amdhsa_kernarg_size 56
		.amdhsa_user_sgpr_count 15
		.amdhsa_user_sgpr_dispatch_ptr 0
		.amdhsa_user_sgpr_queue_ptr 0
		.amdhsa_user_sgpr_kernarg_segment_ptr 1
		.amdhsa_user_sgpr_dispatch_id 0
		.amdhsa_user_sgpr_private_segment_size 0
		.amdhsa_wavefront_size32 1
		.amdhsa_uses_dynamic_stack 0
		.amdhsa_enable_private_segment 0
		.amdhsa_system_sgpr_workgroup_id_x 1
		.amdhsa_system_sgpr_workgroup_id_y 0
		.amdhsa_system_sgpr_workgroup_id_z 0
		.amdhsa_system_sgpr_workgroup_info 0
		.amdhsa_system_vgpr_workitem_id 0
		.amdhsa_next_free_vgpr 1
		.amdhsa_next_free_sgpr 1
		.amdhsa_reserve_vcc 0
		.amdhsa_float_round_mode_32 0
		.amdhsa_float_round_mode_16_64 0
		.amdhsa_float_denorm_mode_32 3
		.amdhsa_float_denorm_mode_16_64 3
		.amdhsa_dx10_clamp 1
		.amdhsa_ieee_mode 1
		.amdhsa_fp16_overflow 0
		.amdhsa_workgroup_processor_mode 1
		.amdhsa_memory_ordered 1
		.amdhsa_forward_progress 0
		.amdhsa_shared_vgpr_count 0
		.amdhsa_exception_fp_ieee_invalid_op 0
		.amdhsa_exception_fp_denorm_src 0
		.amdhsa_exception_fp_ieee_div_zero 0
		.amdhsa_exception_fp_ieee_overflow 0
		.amdhsa_exception_fp_ieee_underflow 0
		.amdhsa_exception_fp_ieee_inexact 0
		.amdhsa_exception_int_div_zero 0
	.end_amdhsa_kernel
	.section	.text._ZN7rocprim17ROCPRIM_400000_NS6detail17trampoline_kernelINS0_14default_configENS1_35adjacent_difference_config_selectorILb1EtEEZNS1_24adjacent_difference_implIS3_Lb1ELb0EPKtPtN6thrust23THRUST_200600_302600_NS4plusItEEEE10hipError_tPvRmT2_T3_mT4_P12ihipStream_tbEUlT_E_NS1_11comp_targetILNS1_3genE3ELNS1_11target_archE908ELNS1_3gpuE7ELNS1_3repE0EEENS1_30default_config_static_selectorELNS0_4arch9wavefront6targetE0EEEvT1_,"axG",@progbits,_ZN7rocprim17ROCPRIM_400000_NS6detail17trampoline_kernelINS0_14default_configENS1_35adjacent_difference_config_selectorILb1EtEEZNS1_24adjacent_difference_implIS3_Lb1ELb0EPKtPtN6thrust23THRUST_200600_302600_NS4plusItEEEE10hipError_tPvRmT2_T3_mT4_P12ihipStream_tbEUlT_E_NS1_11comp_targetILNS1_3genE3ELNS1_11target_archE908ELNS1_3gpuE7ELNS1_3repE0EEENS1_30default_config_static_selectorELNS0_4arch9wavefront6targetE0EEEvT1_,comdat
.Lfunc_end694:
	.size	_ZN7rocprim17ROCPRIM_400000_NS6detail17trampoline_kernelINS0_14default_configENS1_35adjacent_difference_config_selectorILb1EtEEZNS1_24adjacent_difference_implIS3_Lb1ELb0EPKtPtN6thrust23THRUST_200600_302600_NS4plusItEEEE10hipError_tPvRmT2_T3_mT4_P12ihipStream_tbEUlT_E_NS1_11comp_targetILNS1_3genE3ELNS1_11target_archE908ELNS1_3gpuE7ELNS1_3repE0EEENS1_30default_config_static_selectorELNS0_4arch9wavefront6targetE0EEEvT1_, .Lfunc_end694-_ZN7rocprim17ROCPRIM_400000_NS6detail17trampoline_kernelINS0_14default_configENS1_35adjacent_difference_config_selectorILb1EtEEZNS1_24adjacent_difference_implIS3_Lb1ELb0EPKtPtN6thrust23THRUST_200600_302600_NS4plusItEEEE10hipError_tPvRmT2_T3_mT4_P12ihipStream_tbEUlT_E_NS1_11comp_targetILNS1_3genE3ELNS1_11target_archE908ELNS1_3gpuE7ELNS1_3repE0EEENS1_30default_config_static_selectorELNS0_4arch9wavefront6targetE0EEEvT1_
                                        ; -- End function
	.section	.AMDGPU.csdata,"",@progbits
; Kernel info:
; codeLenInByte = 0
; NumSgprs: 0
; NumVgprs: 0
; ScratchSize: 0
; MemoryBound: 0
; FloatMode: 240
; IeeeMode: 1
; LDSByteSize: 0 bytes/workgroup (compile time only)
; SGPRBlocks: 0
; VGPRBlocks: 0
; NumSGPRsForWavesPerEU: 1
; NumVGPRsForWavesPerEU: 1
; Occupancy: 16
; WaveLimiterHint : 0
; COMPUTE_PGM_RSRC2:SCRATCH_EN: 0
; COMPUTE_PGM_RSRC2:USER_SGPR: 15
; COMPUTE_PGM_RSRC2:TRAP_HANDLER: 0
; COMPUTE_PGM_RSRC2:TGID_X_EN: 1
; COMPUTE_PGM_RSRC2:TGID_Y_EN: 0
; COMPUTE_PGM_RSRC2:TGID_Z_EN: 0
; COMPUTE_PGM_RSRC2:TIDIG_COMP_CNT: 0
	.section	.text._ZN7rocprim17ROCPRIM_400000_NS6detail17trampoline_kernelINS0_14default_configENS1_35adjacent_difference_config_selectorILb1EtEEZNS1_24adjacent_difference_implIS3_Lb1ELb0EPKtPtN6thrust23THRUST_200600_302600_NS4plusItEEEE10hipError_tPvRmT2_T3_mT4_P12ihipStream_tbEUlT_E_NS1_11comp_targetILNS1_3genE2ELNS1_11target_archE906ELNS1_3gpuE6ELNS1_3repE0EEENS1_30default_config_static_selectorELNS0_4arch9wavefront6targetE0EEEvT1_,"axG",@progbits,_ZN7rocprim17ROCPRIM_400000_NS6detail17trampoline_kernelINS0_14default_configENS1_35adjacent_difference_config_selectorILb1EtEEZNS1_24adjacent_difference_implIS3_Lb1ELb0EPKtPtN6thrust23THRUST_200600_302600_NS4plusItEEEE10hipError_tPvRmT2_T3_mT4_P12ihipStream_tbEUlT_E_NS1_11comp_targetILNS1_3genE2ELNS1_11target_archE906ELNS1_3gpuE6ELNS1_3repE0EEENS1_30default_config_static_selectorELNS0_4arch9wavefront6targetE0EEEvT1_,comdat
	.protected	_ZN7rocprim17ROCPRIM_400000_NS6detail17trampoline_kernelINS0_14default_configENS1_35adjacent_difference_config_selectorILb1EtEEZNS1_24adjacent_difference_implIS3_Lb1ELb0EPKtPtN6thrust23THRUST_200600_302600_NS4plusItEEEE10hipError_tPvRmT2_T3_mT4_P12ihipStream_tbEUlT_E_NS1_11comp_targetILNS1_3genE2ELNS1_11target_archE906ELNS1_3gpuE6ELNS1_3repE0EEENS1_30default_config_static_selectorELNS0_4arch9wavefront6targetE0EEEvT1_ ; -- Begin function _ZN7rocprim17ROCPRIM_400000_NS6detail17trampoline_kernelINS0_14default_configENS1_35adjacent_difference_config_selectorILb1EtEEZNS1_24adjacent_difference_implIS3_Lb1ELb0EPKtPtN6thrust23THRUST_200600_302600_NS4plusItEEEE10hipError_tPvRmT2_T3_mT4_P12ihipStream_tbEUlT_E_NS1_11comp_targetILNS1_3genE2ELNS1_11target_archE906ELNS1_3gpuE6ELNS1_3repE0EEENS1_30default_config_static_selectorELNS0_4arch9wavefront6targetE0EEEvT1_
	.globl	_ZN7rocprim17ROCPRIM_400000_NS6detail17trampoline_kernelINS0_14default_configENS1_35adjacent_difference_config_selectorILb1EtEEZNS1_24adjacent_difference_implIS3_Lb1ELb0EPKtPtN6thrust23THRUST_200600_302600_NS4plusItEEEE10hipError_tPvRmT2_T3_mT4_P12ihipStream_tbEUlT_E_NS1_11comp_targetILNS1_3genE2ELNS1_11target_archE906ELNS1_3gpuE6ELNS1_3repE0EEENS1_30default_config_static_selectorELNS0_4arch9wavefront6targetE0EEEvT1_
	.p2align	8
	.type	_ZN7rocprim17ROCPRIM_400000_NS6detail17trampoline_kernelINS0_14default_configENS1_35adjacent_difference_config_selectorILb1EtEEZNS1_24adjacent_difference_implIS3_Lb1ELb0EPKtPtN6thrust23THRUST_200600_302600_NS4plusItEEEE10hipError_tPvRmT2_T3_mT4_P12ihipStream_tbEUlT_E_NS1_11comp_targetILNS1_3genE2ELNS1_11target_archE906ELNS1_3gpuE6ELNS1_3repE0EEENS1_30default_config_static_selectorELNS0_4arch9wavefront6targetE0EEEvT1_,@function
_ZN7rocprim17ROCPRIM_400000_NS6detail17trampoline_kernelINS0_14default_configENS1_35adjacent_difference_config_selectorILb1EtEEZNS1_24adjacent_difference_implIS3_Lb1ELb0EPKtPtN6thrust23THRUST_200600_302600_NS4plusItEEEE10hipError_tPvRmT2_T3_mT4_P12ihipStream_tbEUlT_E_NS1_11comp_targetILNS1_3genE2ELNS1_11target_archE906ELNS1_3gpuE6ELNS1_3repE0EEENS1_30default_config_static_selectorELNS0_4arch9wavefront6targetE0EEEvT1_: ; @_ZN7rocprim17ROCPRIM_400000_NS6detail17trampoline_kernelINS0_14default_configENS1_35adjacent_difference_config_selectorILb1EtEEZNS1_24adjacent_difference_implIS3_Lb1ELb0EPKtPtN6thrust23THRUST_200600_302600_NS4plusItEEEE10hipError_tPvRmT2_T3_mT4_P12ihipStream_tbEUlT_E_NS1_11comp_targetILNS1_3genE2ELNS1_11target_archE906ELNS1_3gpuE6ELNS1_3repE0EEENS1_30default_config_static_selectorELNS0_4arch9wavefront6targetE0EEEvT1_
; %bb.0:
	.section	.rodata,"a",@progbits
	.p2align	6, 0x0
	.amdhsa_kernel _ZN7rocprim17ROCPRIM_400000_NS6detail17trampoline_kernelINS0_14default_configENS1_35adjacent_difference_config_selectorILb1EtEEZNS1_24adjacent_difference_implIS3_Lb1ELb0EPKtPtN6thrust23THRUST_200600_302600_NS4plusItEEEE10hipError_tPvRmT2_T3_mT4_P12ihipStream_tbEUlT_E_NS1_11comp_targetILNS1_3genE2ELNS1_11target_archE906ELNS1_3gpuE6ELNS1_3repE0EEENS1_30default_config_static_selectorELNS0_4arch9wavefront6targetE0EEEvT1_
		.amdhsa_group_segment_fixed_size 0
		.amdhsa_private_segment_fixed_size 0
		.amdhsa_kernarg_size 56
		.amdhsa_user_sgpr_count 15
		.amdhsa_user_sgpr_dispatch_ptr 0
		.amdhsa_user_sgpr_queue_ptr 0
		.amdhsa_user_sgpr_kernarg_segment_ptr 1
		.amdhsa_user_sgpr_dispatch_id 0
		.amdhsa_user_sgpr_private_segment_size 0
		.amdhsa_wavefront_size32 1
		.amdhsa_uses_dynamic_stack 0
		.amdhsa_enable_private_segment 0
		.amdhsa_system_sgpr_workgroup_id_x 1
		.amdhsa_system_sgpr_workgroup_id_y 0
		.amdhsa_system_sgpr_workgroup_id_z 0
		.amdhsa_system_sgpr_workgroup_info 0
		.amdhsa_system_vgpr_workitem_id 0
		.amdhsa_next_free_vgpr 1
		.amdhsa_next_free_sgpr 1
		.amdhsa_reserve_vcc 0
		.amdhsa_float_round_mode_32 0
		.amdhsa_float_round_mode_16_64 0
		.amdhsa_float_denorm_mode_32 3
		.amdhsa_float_denorm_mode_16_64 3
		.amdhsa_dx10_clamp 1
		.amdhsa_ieee_mode 1
		.amdhsa_fp16_overflow 0
		.amdhsa_workgroup_processor_mode 1
		.amdhsa_memory_ordered 1
		.amdhsa_forward_progress 0
		.amdhsa_shared_vgpr_count 0
		.amdhsa_exception_fp_ieee_invalid_op 0
		.amdhsa_exception_fp_denorm_src 0
		.amdhsa_exception_fp_ieee_div_zero 0
		.amdhsa_exception_fp_ieee_overflow 0
		.amdhsa_exception_fp_ieee_underflow 0
		.amdhsa_exception_fp_ieee_inexact 0
		.amdhsa_exception_int_div_zero 0
	.end_amdhsa_kernel
	.section	.text._ZN7rocprim17ROCPRIM_400000_NS6detail17trampoline_kernelINS0_14default_configENS1_35adjacent_difference_config_selectorILb1EtEEZNS1_24adjacent_difference_implIS3_Lb1ELb0EPKtPtN6thrust23THRUST_200600_302600_NS4plusItEEEE10hipError_tPvRmT2_T3_mT4_P12ihipStream_tbEUlT_E_NS1_11comp_targetILNS1_3genE2ELNS1_11target_archE906ELNS1_3gpuE6ELNS1_3repE0EEENS1_30default_config_static_selectorELNS0_4arch9wavefront6targetE0EEEvT1_,"axG",@progbits,_ZN7rocprim17ROCPRIM_400000_NS6detail17trampoline_kernelINS0_14default_configENS1_35adjacent_difference_config_selectorILb1EtEEZNS1_24adjacent_difference_implIS3_Lb1ELb0EPKtPtN6thrust23THRUST_200600_302600_NS4plusItEEEE10hipError_tPvRmT2_T3_mT4_P12ihipStream_tbEUlT_E_NS1_11comp_targetILNS1_3genE2ELNS1_11target_archE906ELNS1_3gpuE6ELNS1_3repE0EEENS1_30default_config_static_selectorELNS0_4arch9wavefront6targetE0EEEvT1_,comdat
.Lfunc_end695:
	.size	_ZN7rocprim17ROCPRIM_400000_NS6detail17trampoline_kernelINS0_14default_configENS1_35adjacent_difference_config_selectorILb1EtEEZNS1_24adjacent_difference_implIS3_Lb1ELb0EPKtPtN6thrust23THRUST_200600_302600_NS4plusItEEEE10hipError_tPvRmT2_T3_mT4_P12ihipStream_tbEUlT_E_NS1_11comp_targetILNS1_3genE2ELNS1_11target_archE906ELNS1_3gpuE6ELNS1_3repE0EEENS1_30default_config_static_selectorELNS0_4arch9wavefront6targetE0EEEvT1_, .Lfunc_end695-_ZN7rocprim17ROCPRIM_400000_NS6detail17trampoline_kernelINS0_14default_configENS1_35adjacent_difference_config_selectorILb1EtEEZNS1_24adjacent_difference_implIS3_Lb1ELb0EPKtPtN6thrust23THRUST_200600_302600_NS4plusItEEEE10hipError_tPvRmT2_T3_mT4_P12ihipStream_tbEUlT_E_NS1_11comp_targetILNS1_3genE2ELNS1_11target_archE906ELNS1_3gpuE6ELNS1_3repE0EEENS1_30default_config_static_selectorELNS0_4arch9wavefront6targetE0EEEvT1_
                                        ; -- End function
	.section	.AMDGPU.csdata,"",@progbits
; Kernel info:
; codeLenInByte = 0
; NumSgprs: 0
; NumVgprs: 0
; ScratchSize: 0
; MemoryBound: 0
; FloatMode: 240
; IeeeMode: 1
; LDSByteSize: 0 bytes/workgroup (compile time only)
; SGPRBlocks: 0
; VGPRBlocks: 0
; NumSGPRsForWavesPerEU: 1
; NumVGPRsForWavesPerEU: 1
; Occupancy: 16
; WaveLimiterHint : 0
; COMPUTE_PGM_RSRC2:SCRATCH_EN: 0
; COMPUTE_PGM_RSRC2:USER_SGPR: 15
; COMPUTE_PGM_RSRC2:TRAP_HANDLER: 0
; COMPUTE_PGM_RSRC2:TGID_X_EN: 1
; COMPUTE_PGM_RSRC2:TGID_Y_EN: 0
; COMPUTE_PGM_RSRC2:TGID_Z_EN: 0
; COMPUTE_PGM_RSRC2:TIDIG_COMP_CNT: 0
	.section	.text._ZN7rocprim17ROCPRIM_400000_NS6detail17trampoline_kernelINS0_14default_configENS1_35adjacent_difference_config_selectorILb1EtEEZNS1_24adjacent_difference_implIS3_Lb1ELb0EPKtPtN6thrust23THRUST_200600_302600_NS4plusItEEEE10hipError_tPvRmT2_T3_mT4_P12ihipStream_tbEUlT_E_NS1_11comp_targetILNS1_3genE9ELNS1_11target_archE1100ELNS1_3gpuE3ELNS1_3repE0EEENS1_30default_config_static_selectorELNS0_4arch9wavefront6targetE0EEEvT1_,"axG",@progbits,_ZN7rocprim17ROCPRIM_400000_NS6detail17trampoline_kernelINS0_14default_configENS1_35adjacent_difference_config_selectorILb1EtEEZNS1_24adjacent_difference_implIS3_Lb1ELb0EPKtPtN6thrust23THRUST_200600_302600_NS4plusItEEEE10hipError_tPvRmT2_T3_mT4_P12ihipStream_tbEUlT_E_NS1_11comp_targetILNS1_3genE9ELNS1_11target_archE1100ELNS1_3gpuE3ELNS1_3repE0EEENS1_30default_config_static_selectorELNS0_4arch9wavefront6targetE0EEEvT1_,comdat
	.protected	_ZN7rocprim17ROCPRIM_400000_NS6detail17trampoline_kernelINS0_14default_configENS1_35adjacent_difference_config_selectorILb1EtEEZNS1_24adjacent_difference_implIS3_Lb1ELb0EPKtPtN6thrust23THRUST_200600_302600_NS4plusItEEEE10hipError_tPvRmT2_T3_mT4_P12ihipStream_tbEUlT_E_NS1_11comp_targetILNS1_3genE9ELNS1_11target_archE1100ELNS1_3gpuE3ELNS1_3repE0EEENS1_30default_config_static_selectorELNS0_4arch9wavefront6targetE0EEEvT1_ ; -- Begin function _ZN7rocprim17ROCPRIM_400000_NS6detail17trampoline_kernelINS0_14default_configENS1_35adjacent_difference_config_selectorILb1EtEEZNS1_24adjacent_difference_implIS3_Lb1ELb0EPKtPtN6thrust23THRUST_200600_302600_NS4plusItEEEE10hipError_tPvRmT2_T3_mT4_P12ihipStream_tbEUlT_E_NS1_11comp_targetILNS1_3genE9ELNS1_11target_archE1100ELNS1_3gpuE3ELNS1_3repE0EEENS1_30default_config_static_selectorELNS0_4arch9wavefront6targetE0EEEvT1_
	.globl	_ZN7rocprim17ROCPRIM_400000_NS6detail17trampoline_kernelINS0_14default_configENS1_35adjacent_difference_config_selectorILb1EtEEZNS1_24adjacent_difference_implIS3_Lb1ELb0EPKtPtN6thrust23THRUST_200600_302600_NS4plusItEEEE10hipError_tPvRmT2_T3_mT4_P12ihipStream_tbEUlT_E_NS1_11comp_targetILNS1_3genE9ELNS1_11target_archE1100ELNS1_3gpuE3ELNS1_3repE0EEENS1_30default_config_static_selectorELNS0_4arch9wavefront6targetE0EEEvT1_
	.p2align	8
	.type	_ZN7rocprim17ROCPRIM_400000_NS6detail17trampoline_kernelINS0_14default_configENS1_35adjacent_difference_config_selectorILb1EtEEZNS1_24adjacent_difference_implIS3_Lb1ELb0EPKtPtN6thrust23THRUST_200600_302600_NS4plusItEEEE10hipError_tPvRmT2_T3_mT4_P12ihipStream_tbEUlT_E_NS1_11comp_targetILNS1_3genE9ELNS1_11target_archE1100ELNS1_3gpuE3ELNS1_3repE0EEENS1_30default_config_static_selectorELNS0_4arch9wavefront6targetE0EEEvT1_,@function
_ZN7rocprim17ROCPRIM_400000_NS6detail17trampoline_kernelINS0_14default_configENS1_35adjacent_difference_config_selectorILb1EtEEZNS1_24adjacent_difference_implIS3_Lb1ELb0EPKtPtN6thrust23THRUST_200600_302600_NS4plusItEEEE10hipError_tPvRmT2_T3_mT4_P12ihipStream_tbEUlT_E_NS1_11comp_targetILNS1_3genE9ELNS1_11target_archE1100ELNS1_3gpuE3ELNS1_3repE0EEENS1_30default_config_static_selectorELNS0_4arch9wavefront6targetE0EEEvT1_: ; @_ZN7rocprim17ROCPRIM_400000_NS6detail17trampoline_kernelINS0_14default_configENS1_35adjacent_difference_config_selectorILb1EtEEZNS1_24adjacent_difference_implIS3_Lb1ELb0EPKtPtN6thrust23THRUST_200600_302600_NS4plusItEEEE10hipError_tPvRmT2_T3_mT4_P12ihipStream_tbEUlT_E_NS1_11comp_targetILNS1_3genE9ELNS1_11target_archE1100ELNS1_3gpuE3ELNS1_3repE0EEENS1_30default_config_static_selectorELNS0_4arch9wavefront6targetE0EEEvT1_
; %bb.0:
	s_load_b256 s[4:11], s[0:1], 0x0
	s_mov_b32 s14, s15
	s_waitcnt lgkmcnt(0)
	s_lshl_b64 s[6:7], s[6:7], 1
	s_delay_alu instid0(SALU_CYCLE_1)
	s_add_u32 s23, s4, s6
	s_addc_u32 s24, s5, s7
	s_add_u32 s2, 0, 0x590b2000
	s_addc_u32 s3, 0, 0
	s_mul_hi_u32 s5, s2, 0xfffff480
	s_add_i32 s3, s3, 0x1642c8
	s_sub_i32 s5, s5, s2
	s_mul_i32 s13, s3, 0xfffff480
	s_mul_i32 s4, s2, 0xfffff480
	s_add_i32 s5, s5, s13
	s_mul_hi_u32 s12, s2, s4
	s_mul_i32 s16, s2, s5
	s_mul_hi_u32 s13, s2, s5
	s_mul_hi_u32 s15, s3, s4
	s_mul_i32 s4, s3, s4
	s_add_u32 s12, s12, s16
	s_addc_u32 s13, 0, s13
	s_mul_hi_u32 s17, s3, s5
	s_add_u32 s4, s12, s4
	s_mul_i32 s5, s3, s5
	s_addc_u32 s4, s13, s15
	s_addc_u32 s12, s17, 0
	s_add_u32 s4, s4, s5
	s_delay_alu instid0(SALU_CYCLE_1) | instskip(SKIP_3) | instid1(VALU_DEP_1)
	v_add_co_u32 v1, s2, s2, s4
	s_addc_u32 s4, 0, s12
	s_cmp_lg_u32 s2, 0
	s_addc_u32 s2, s3, s4
	v_readfirstlane_b32 s3, v1
	s_mul_i32 s5, s10, s2
	s_mul_hi_u32 s4, s10, s2
	s_mul_hi_u32 s12, s11, s2
	s_mul_i32 s2, s11, s2
	s_mul_hi_u32 s13, s10, s3
	s_mul_hi_u32 s15, s11, s3
	s_mul_i32 s3, s11, s3
	s_add_u32 s5, s13, s5
	s_addc_u32 s4, 0, s4
	s_add_u32 s3, s5, s3
	s_addc_u32 s3, s4, s15
	s_addc_u32 s4, s12, 0
	s_add_u32 s5, s3, s2
	s_addc_u32 s4, 0, s4
	s_mul_i32 s3, s5, 0xb80
	s_add_u32 s2, s5, 1
	v_sub_co_u32 v1, s3, s10, s3
	s_mul_hi_u32 s12, s5, 0xb80
	s_addc_u32 s13, s4, 0
	s_mul_i32 s15, s4, 0xb80
	s_delay_alu instid0(VALU_DEP_1)
	v_subrev_co_u32 v2, s16, 0xb80, v1
	s_add_u32 s17, s5, 2
	s_addc_u32 s18, s4, 0
	s_add_i32 s12, s12, s15
	s_cmp_lg_u32 s3, 0
	v_readfirstlane_b32 s3, v2
	s_subb_u32 s12, s11, s12
	s_cmp_lg_u32 s16, 0
	s_subb_u32 s15, s12, 0
	s_delay_alu instid0(VALU_DEP_1) | instskip(SKIP_4) | instid1(SALU_CYCLE_1)
	s_cmpk_gt_u32 s3, 0xb7f
	s_cselect_b32 s3, -1, 0
	s_cmp_eq_u32 s15, 0
	v_readfirstlane_b32 s15, v1
	s_cselect_b32 s3, s3, -1
	s_cmp_lg_u32 s3, 0
	s_cselect_b32 s16, s17, s2
	s_cselect_b32 s13, s18, s13
	s_cmpk_gt_u32 s15, 0xb7f
	s_cselect_b32 s2, -1, 0
	s_cmp_eq_u32 s12, 0
	s_cselect_b32 s2, s2, -1
	s_delay_alu instid0(SALU_CYCLE_1)
	s_cmp_lg_u32 s2, 0
	s_load_b128 s[0:3], s[0:1], 0x28
	s_cselect_b32 s13, s13, s4
	s_cselect_b32 s12, s16, s5
	s_mul_i32 s4, s13, 0xb80
	s_mul_hi_u32 s5, s12, 0xb80
	s_mul_i32 s15, s12, 0xb80
	s_add_i32 s5, s5, s4
	s_sub_u32 s4, s10, s15
	s_subb_u32 s5, s11, s5
	s_mov_b32 s15, 0
	s_cmp_lg_u64 s[4:5], 0
	s_mov_b32 s5, -1
	s_cselect_b32 s4, -1, 0
	s_delay_alu instid0(SALU_CYCLE_1) | instskip(NEXT) | instid1(VALU_DEP_1)
	v_cndmask_b32_e64 v1, 0, 1, s4
	v_readfirstlane_b32 s4, v1
	s_delay_alu instid0(VALU_DEP_1)
	s_add_u32 s12, s12, s4
	s_addc_u32 s13, s13, 0
	s_waitcnt lgkmcnt(0)
	s_add_u32 s16, s2, s14
	s_addc_u32 s17, s3, 0
	s_add_u32 s18, s12, -1
	s_addc_u32 s19, s13, -1
	s_mul_i32 s4, s14, 0xb80
	v_cmp_ge_u64_e64 s22, s[16:17], s[18:19]
	s_mul_i32 s11, s18, 0xfffff480
	s_delay_alu instid0(VALU_DEP_1)
	s_and_b32 vcc_lo, exec_lo, s22
	s_cbranch_vccz .LBB696_48
; %bb.1:
	s_mov_b32 s5, s15
	s_add_i32 s25, s11, s10
	s_lshl_b64 s[20:21], s[4:5], 1
	s_mov_b32 s5, exec_lo
	s_add_u32 s20, s23, s20
	s_addc_u32 s21, s24, s21
                                        ; implicit-def: $vgpr1
	v_cmpx_gt_u32_e64 s25, v0
	s_cbranch_execz .LBB696_3
; %bb.2:
	v_lshlrev_b32_e32 v1, 1, v0
	global_load_u16 v1, v1, s[20:21]
.LBB696_3:
	s_or_b32 exec_lo, exec_lo, s5
	v_or_b32_e32 v2, 0x80, v0
	s_delay_alu instid0(VALU_DEP_1)
	v_cmp_gt_u32_e32 vcc_lo, s25, v2
                                        ; implicit-def: $vgpr2
	s_and_saveexec_b32 s5, vcc_lo
	s_cbranch_execz .LBB696_5
; %bb.4:
	v_lshlrev_b32_e32 v2, 1, v0
	global_load_u16 v2, v2, s[20:21] offset:256
.LBB696_5:
	s_or_b32 exec_lo, exec_lo, s5
	v_or_b32_e32 v3, 0x100, v0
	s_delay_alu instid0(VALU_DEP_1)
	v_cmp_gt_u32_e32 vcc_lo, s25, v3
                                        ; implicit-def: $vgpr3
	s_and_saveexec_b32 s5, vcc_lo
	s_cbranch_execz .LBB696_7
; %bb.6:
	v_lshlrev_b32_e32 v3, 1, v0
	global_load_u16 v3, v3, s[20:21] offset:512
.LBB696_7:
	s_or_b32 exec_lo, exec_lo, s5
	v_or_b32_e32 v4, 0x180, v0
	s_delay_alu instid0(VALU_DEP_1)
	v_cmp_gt_u32_e32 vcc_lo, s25, v4
                                        ; implicit-def: $vgpr4
	s_and_saveexec_b32 s5, vcc_lo
	s_cbranch_execz .LBB696_9
; %bb.8:
	v_lshlrev_b32_e32 v4, 1, v0
	global_load_u16 v4, v4, s[20:21] offset:768
.LBB696_9:
	s_or_b32 exec_lo, exec_lo, s5
	v_or_b32_e32 v5, 0x200, v0
	s_delay_alu instid0(VALU_DEP_1)
	v_cmp_gt_u32_e32 vcc_lo, s25, v5
                                        ; implicit-def: $vgpr5
	s_and_saveexec_b32 s5, vcc_lo
	s_cbranch_execz .LBB696_11
; %bb.10:
	v_lshlrev_b32_e32 v5, 1, v0
	global_load_u16 v5, v5, s[20:21] offset:1024
.LBB696_11:
	s_or_b32 exec_lo, exec_lo, s5
	v_or_b32_e32 v6, 0x280, v0
	s_delay_alu instid0(VALU_DEP_1)
	v_cmp_gt_u32_e32 vcc_lo, s25, v6
                                        ; implicit-def: $vgpr6
	s_and_saveexec_b32 s5, vcc_lo
	s_cbranch_execz .LBB696_13
; %bb.12:
	v_lshlrev_b32_e32 v6, 1, v0
	global_load_u16 v6, v6, s[20:21] offset:1280
.LBB696_13:
	s_or_b32 exec_lo, exec_lo, s5
	v_or_b32_e32 v7, 0x300, v0
	s_delay_alu instid0(VALU_DEP_1)
	v_cmp_gt_u32_e32 vcc_lo, s25, v7
                                        ; implicit-def: $vgpr7
	s_and_saveexec_b32 s5, vcc_lo
	s_cbranch_execz .LBB696_15
; %bb.14:
	v_lshlrev_b32_e32 v7, 1, v0
	global_load_u16 v7, v7, s[20:21] offset:1536
.LBB696_15:
	s_or_b32 exec_lo, exec_lo, s5
	v_or_b32_e32 v8, 0x380, v0
	s_delay_alu instid0(VALU_DEP_1)
	v_cmp_gt_u32_e32 vcc_lo, s25, v8
                                        ; implicit-def: $vgpr8
	s_and_saveexec_b32 s5, vcc_lo
	s_cbranch_execz .LBB696_17
; %bb.16:
	v_lshlrev_b32_e32 v8, 1, v0
	global_load_u16 v8, v8, s[20:21] offset:1792
.LBB696_17:
	s_or_b32 exec_lo, exec_lo, s5
	v_or_b32_e32 v9, 0x400, v0
	s_delay_alu instid0(VALU_DEP_1)
	v_cmp_gt_u32_e32 vcc_lo, s25, v9
                                        ; implicit-def: $vgpr9
	s_and_saveexec_b32 s5, vcc_lo
	s_cbranch_execz .LBB696_19
; %bb.18:
	v_lshlrev_b32_e32 v9, 1, v0
	global_load_u16 v9, v9, s[20:21] offset:2048
.LBB696_19:
	s_or_b32 exec_lo, exec_lo, s5
	v_or_b32_e32 v10, 0x480, v0
	s_delay_alu instid0(VALU_DEP_1)
	v_cmp_gt_u32_e32 vcc_lo, s25, v10
                                        ; implicit-def: $vgpr10
	s_and_saveexec_b32 s5, vcc_lo
	s_cbranch_execz .LBB696_21
; %bb.20:
	v_lshlrev_b32_e32 v10, 1, v0
	global_load_u16 v10, v10, s[20:21] offset:2304
.LBB696_21:
	s_or_b32 exec_lo, exec_lo, s5
	v_or_b32_e32 v11, 0x500, v0
	s_delay_alu instid0(VALU_DEP_1)
	v_cmp_gt_u32_e32 vcc_lo, s25, v11
                                        ; implicit-def: $vgpr11
	s_and_saveexec_b32 s5, vcc_lo
	s_cbranch_execz .LBB696_23
; %bb.22:
	v_lshlrev_b32_e32 v11, 1, v0
	global_load_u16 v11, v11, s[20:21] offset:2560
.LBB696_23:
	s_or_b32 exec_lo, exec_lo, s5
	v_or_b32_e32 v12, 0x580, v0
	s_delay_alu instid0(VALU_DEP_1)
	v_cmp_gt_u32_e32 vcc_lo, s25, v12
                                        ; implicit-def: $vgpr12
	s_and_saveexec_b32 s5, vcc_lo
	s_cbranch_execz .LBB696_25
; %bb.24:
	v_lshlrev_b32_e32 v12, 1, v0
	global_load_u16 v12, v12, s[20:21] offset:2816
.LBB696_25:
	s_or_b32 exec_lo, exec_lo, s5
	v_or_b32_e32 v13, 0x600, v0
	s_delay_alu instid0(VALU_DEP_1)
	v_cmp_gt_u32_e32 vcc_lo, s25, v13
                                        ; implicit-def: $vgpr13
	s_and_saveexec_b32 s5, vcc_lo
	s_cbranch_execz .LBB696_27
; %bb.26:
	v_lshlrev_b32_e32 v13, 1, v0
	global_load_u16 v13, v13, s[20:21] offset:3072
.LBB696_27:
	s_or_b32 exec_lo, exec_lo, s5
	v_or_b32_e32 v14, 0x680, v0
	s_delay_alu instid0(VALU_DEP_1)
	v_cmp_gt_u32_e32 vcc_lo, s25, v14
                                        ; implicit-def: $vgpr14
	s_and_saveexec_b32 s5, vcc_lo
	s_cbranch_execz .LBB696_29
; %bb.28:
	v_lshlrev_b32_e32 v14, 1, v0
	global_load_u16 v14, v14, s[20:21] offset:3328
.LBB696_29:
	s_or_b32 exec_lo, exec_lo, s5
	v_or_b32_e32 v15, 0x700, v0
	s_delay_alu instid0(VALU_DEP_1)
	v_cmp_gt_u32_e32 vcc_lo, s25, v15
                                        ; implicit-def: $vgpr15
	s_and_saveexec_b32 s5, vcc_lo
	s_cbranch_execz .LBB696_31
; %bb.30:
	v_lshlrev_b32_e32 v15, 1, v0
	global_load_u16 v15, v15, s[20:21] offset:3584
.LBB696_31:
	s_or_b32 exec_lo, exec_lo, s5
	v_or_b32_e32 v16, 0x780, v0
	s_delay_alu instid0(VALU_DEP_1)
	v_cmp_gt_u32_e32 vcc_lo, s25, v16
                                        ; implicit-def: $vgpr16
	s_and_saveexec_b32 s5, vcc_lo
	s_cbranch_execz .LBB696_33
; %bb.32:
	v_lshlrev_b32_e32 v16, 1, v0
	global_load_u16 v16, v16, s[20:21] offset:3840
.LBB696_33:
	s_or_b32 exec_lo, exec_lo, s5
	v_or_b32_e32 v18, 0x800, v0
	s_mov_b32 s5, exec_lo
                                        ; implicit-def: $vgpr17
	s_delay_alu instid0(VALU_DEP_1)
	v_cmpx_gt_u32_e64 s25, v18
	s_cbranch_execz .LBB696_35
; %bb.34:
	v_lshlrev_b32_e32 v17, 1, v18
	global_load_u16 v17, v17, s[20:21]
.LBB696_35:
	s_or_b32 exec_lo, exec_lo, s5
	v_or_b32_e32 v19, 0x880, v0
	s_mov_b32 s5, exec_lo
                                        ; implicit-def: $vgpr18
	s_delay_alu instid0(VALU_DEP_1)
	v_cmpx_gt_u32_e64 s25, v19
	s_cbranch_execz .LBB696_37
; %bb.36:
	v_lshlrev_b32_e32 v18, 1, v19
	global_load_u16 v18, v18, s[20:21]
.LBB696_37:
	s_or_b32 exec_lo, exec_lo, s5
	v_or_b32_e32 v20, 0x900, v0
	s_mov_b32 s5, exec_lo
                                        ; implicit-def: $vgpr19
	s_delay_alu instid0(VALU_DEP_1)
	v_cmpx_gt_u32_e64 s25, v20
	s_cbranch_execz .LBB696_39
; %bb.38:
	v_lshlrev_b32_e32 v19, 1, v20
	global_load_u16 v19, v19, s[20:21]
.LBB696_39:
	s_or_b32 exec_lo, exec_lo, s5
	v_or_b32_e32 v21, 0x980, v0
	s_mov_b32 s5, exec_lo
                                        ; implicit-def: $vgpr20
	s_delay_alu instid0(VALU_DEP_1)
	v_cmpx_gt_u32_e64 s25, v21
	s_cbranch_execz .LBB696_41
; %bb.40:
	v_lshlrev_b32_e32 v20, 1, v21
	global_load_u16 v20, v20, s[20:21]
.LBB696_41:
	s_or_b32 exec_lo, exec_lo, s5
	v_or_b32_e32 v22, 0xa00, v0
	s_mov_b32 s5, exec_lo
                                        ; implicit-def: $vgpr21
	s_delay_alu instid0(VALU_DEP_1)
	v_cmpx_gt_u32_e64 s25, v22
	s_cbranch_execz .LBB696_43
; %bb.42:
	v_lshlrev_b32_e32 v21, 1, v22
	global_load_u16 v21, v21, s[20:21]
.LBB696_43:
	s_or_b32 exec_lo, exec_lo, s5
	v_or_b32_e32 v23, 0xa80, v0
	s_mov_b32 s5, exec_lo
                                        ; implicit-def: $vgpr22
	s_delay_alu instid0(VALU_DEP_1)
	v_cmpx_gt_u32_e64 s25, v23
	s_cbranch_execz .LBB696_45
; %bb.44:
	v_lshlrev_b32_e32 v22, 1, v23
	global_load_u16 v22, v22, s[20:21]
.LBB696_45:
	s_or_b32 exec_lo, exec_lo, s5
	v_or_b32_e32 v24, 0xb00, v0
	s_mov_b32 s5, exec_lo
                                        ; implicit-def: $vgpr23
	s_delay_alu instid0(VALU_DEP_1)
	v_cmpx_gt_u32_e64 s25, v24
	s_cbranch_execz .LBB696_47
; %bb.46:
	v_lshlrev_b32_e32 v23, 1, v24
	global_load_u16 v23, v23, s[20:21]
.LBB696_47:
	s_or_b32 exec_lo, exec_lo, s5
	v_lshlrev_b32_e32 v24, 1, v0
	s_mov_b32 s5, 0
	s_waitcnt vmcnt(0)
	ds_store_b16 v24, v1
	ds_store_b16 v24, v2 offset:256
	ds_store_b16 v24, v3 offset:512
	;; [unrolled: 1-line block ×22, first 2 shown]
	s_waitcnt lgkmcnt(0)
	s_barrier
.LBB696_48:
	v_lshlrev_b32_e32 v22, 1, v0
	s_and_b32 vcc_lo, exec_lo, s5
	s_cbranch_vccz .LBB696_50
; %bb.49:
	s_mov_b32 s5, 0
	s_delay_alu instid0(SALU_CYCLE_1) | instskip(NEXT) | instid1(SALU_CYCLE_1)
	s_lshl_b64 s[20:21], s[4:5], 1
	s_add_u32 s20, s23, s20
	s_addc_u32 s21, s24, s21
	v_add_co_u32 v1, s5, s20, v22
	s_delay_alu instid0(VALU_DEP_1)
	v_add_co_ci_u32_e64 v2, null, s21, 0, s5
	s_clause 0x8
	global_load_u16 v3, v22, s[20:21]
	global_load_u16 v4, v22, s[20:21] offset:256
	global_load_u16 v5, v22, s[20:21] offset:512
	;; [unrolled: 1-line block ×8, first 2 shown]
	v_add_co_u32 v1, vcc_lo, 0x1000, v1
	v_add_co_ci_u32_e32 v2, vcc_lo, 0, v2, vcc_lo
	s_clause 0xd
	global_load_u16 v12, v22, s[20:21] offset:2304
	global_load_u16 v13, v22, s[20:21] offset:2560
	;; [unrolled: 1-line block ×7, first 2 shown]
	global_load_u16 v19, v[1:2], off
	global_load_u16 v20, v[1:2], off offset:256
	global_load_u16 v21, v[1:2], off offset:512
	;; [unrolled: 1-line block ×6, first 2 shown]
	s_waitcnt vmcnt(22)
	ds_store_b16 v22, v3
	s_waitcnt vmcnt(21)
	ds_store_b16 v22, v4 offset:256
	s_waitcnt vmcnt(20)
	ds_store_b16 v22, v5 offset:512
	;; [unrolled: 2-line block ×22, first 2 shown]
	s_waitcnt lgkmcnt(0)
	s_barrier
.LBB696_50:
	v_mul_u32_u24_e32 v1, 23, v0
	buffer_gl0_inv
	s_cmp_eq_u64 s[16:17], 0
	v_lshlrev_b32_e32 v12, 1, v1
	ds_load_b128 v[5:8], v12
	ds_load_b128 v[1:4], v12 offset:16
	ds_load_b96 v[9:11], v12 offset:32
	ds_load_u16 v23, v12 offset:44
	s_waitcnt lgkmcnt(0)
	s_barrier
	buffer_gl0_inv
	s_cbranch_scc1 .LBB696_55
; %bb.51:
	s_lshl_b64 s[2:3], s[2:3], 1
	v_mov_b32_e32 v12, 0
	s_add_u32 s2, s0, s2
	s_addc_u32 s3, s1, s3
	s_lshl_b64 s[0:1], s[14:15], 1
	s_delay_alu instid0(SALU_CYCLE_1)
	s_add_u32 s0, s2, s0
	s_addc_u32 s1, s3, s1
	s_cmp_eq_u64 s[16:17], s[18:19]
	global_load_u16 v26, v12, s[0:1] offset:-2
	s_cbranch_scc1 .LBB696_56
; %bb.52:
	s_waitcnt vmcnt(0)
	v_mov_b32_e32 v12, v26
	s_mov_b32 s0, 0
	s_mov_b32 s1, exec_lo
	ds_store_b16 v22, v23
	s_waitcnt lgkmcnt(0)
	s_barrier
	buffer_gl0_inv
	v_cmpx_ne_u32_e32 0, v0
	s_cbranch_execz .LBB696_54
; %bb.53:
	v_add_nc_u32_e32 v12, -2, v22
	ds_load_u16 v12, v12
.LBB696_54:
	s_or_b32 exec_lo, exec_lo, s1
	s_waitcnt lgkmcnt(0)
	v_add_nc_u16 v24, v12, v5
	s_branch .LBB696_57
.LBB696_55:
                                        ; implicit-def: $vgpr25
                                        ; implicit-def: $vgpr12_vgpr13
                                        ; implicit-def: $vgpr14_vgpr15
                                        ; implicit-def: $vgpr16_vgpr17
                                        ; implicit-def: $vgpr18_vgpr19
                                        ; implicit-def: $vgpr20_vgpr21
                                        ; implicit-def: $vgpr24
	s_branch .LBB696_62
.LBB696_56:
	s_mov_b32 s0, -1
                                        ; implicit-def: $vgpr24
.LBB696_57:
	v_mov_b32_e32 v13, v10
	v_mov_b32_e32 v15, v4
	;; [unrolled: 1-line block ×4, first 2 shown]
	v_dual_mov_b32 v21, v6 :: v_dual_mov_b32 v20, v5
	v_dual_mov_b32 v25, v11 :: v_dual_mov_b32 v12, v9
	v_mov_b32_e32 v14, v3
	v_mov_b32_e32 v16, v1
	;; [unrolled: 1-line block ×3, first 2 shown]
	s_and_b32 vcc_lo, exec_lo, s0
	s_cbranch_vccz .LBB696_61
; %bb.58:
	v_mul_u32_u24_e32 v18, 23, v0
	s_mov_b32 s0, exec_lo
	ds_store_b16 v22, v23
	s_waitcnt vmcnt(0) lgkmcnt(0)
	s_barrier
	buffer_gl0_inv
	v_cmpx_ne_u32_e32 0, v0
	s_cbranch_execz .LBB696_60
; %bb.59:
	v_add_nc_u32_e32 v12, -2, v22
	ds_load_u16 v26, v12
.LBB696_60:
	s_or_b32 exec_lo, exec_lo, s0
	v_lshrrev_b32_e32 v17, 16, v10
	v_add_nc_u32_e32 v12, 21, v18
	s_mul_i32 s0, s16, 0xfffff480
	v_lshrrev_b32_e32 v14, 16, v11
	s_add_i32 s0, s0, s10
	v_add_nc_u32_e32 v15, 19, v18
	v_cmp_gt_u32_e32 vcc_lo, s0, v12
	v_add_nc_u32_e32 v13, 22, v18
	v_add_nc_u32_e32 v16, 20, v18
	v_lshrrev_b32_e32 v21, 16, v3
	v_lshrrev_b32_e32 v28, 16, v2
	v_cndmask_b32_e32 v12, 0, v11, vcc_lo
	v_cmp_gt_u32_e32 vcc_lo, s0, v13
	v_lshrrev_b32_e32 v20, 16, v4
	v_lshrrev_b32_e32 v29, 16, v1
	v_add_nc_u32_e32 v19, 14, v18
	v_add_nc_u32_e32 v24, 9, v18
	v_cndmask_b32_e32 v13, 0, v14, vcc_lo
	v_cmp_gt_u32_e32 vcc_lo, s0, v15
	v_lshrrev_b32_e32 v31, 16, v6
	v_add_nc_u32_e32 v27, 10, v18
	v_lshrrev_b32_e32 v32, 16, v5
	v_perm_b32 v25, v13, v12, 0x5040100
	v_cndmask_b32_e32 v14, 0, v10, vcc_lo
	v_cmp_gt_u32_e32 vcc_lo, s0, v16
	v_add_nc_u32_e32 v16, 17, v18
	v_add_nc_u32_e32 v12, 18, v18
	v_dual_cndmask_b32 v15, 0, v17 :: v_dual_add_nc_u32 v30, 2, v18
	s_delay_alu instid0(VALU_DEP_3) | instskip(SKIP_2) | instid1(VALU_DEP_4)
	v_cmp_gt_u32_e32 vcc_lo, s0, v16
	v_lshrrev_b32_e32 v17, 16, v9
	v_add_nc_u32_e32 v16, 16, v18
	v_perm_b32 v13, v15, v14, 0x5040100
	v_cndmask_b32_e32 v14, 0, v9, vcc_lo
	v_cmp_gt_u32_e32 vcc_lo, s0, v12
	v_dual_cndmask_b32 v12, 0, v17 :: v_dual_add_nc_u32 v15, 15, v18
	s_delay_alu instid0(VALU_DEP_1) | instskip(SKIP_1) | instid1(VALU_DEP_3)
	v_cmp_gt_u32_e32 vcc_lo, s0, v15
	v_add_nc_u32_e32 v17, 13, v18
	v_perm_b32 v12, v12, v14, 0x5040100
	v_cndmask_b32_e32 v15, 0, v4, vcc_lo
	v_cmp_gt_u32_e32 vcc_lo, s0, v16
	v_cndmask_b32_e32 v16, 0, v20, vcc_lo
	v_cmp_gt_u32_e32 vcc_lo, s0, v17
	v_add_nc_u32_e32 v20, 11, v18
	s_delay_alu instid0(VALU_DEP_3)
	v_perm_b32 v15, v16, v15, 0x5040100
	v_cndmask_b32_e32 v17, 0, v3, vcc_lo
	v_cmp_gt_u32_e32 vcc_lo, s0, v19
	v_cndmask_b32_e32 v19, 0, v21, vcc_lo
	v_add_nc_u32_e32 v21, 12, v18
	v_cmp_gt_u32_e32 vcc_lo, s0, v20
	s_delay_alu instid0(VALU_DEP_3)
	v_perm_b32 v14, v19, v17, 0x5040100
	v_add_nc_u32_e32 v19, 7, v18
	v_cndmask_b32_e32 v20, 0, v2, vcc_lo
	v_cmp_gt_u32_e32 vcc_lo, s0, v21
	v_cndmask_b32_e32 v21, 0, v28, vcc_lo
	v_cmp_gt_u32_e32 vcc_lo, s0, v24
	v_lshrrev_b32_e32 v28, 16, v7
	s_delay_alu instid0(VALU_DEP_3)
	v_perm_b32 v17, v21, v20, 0x5040100
	v_cndmask_b32_e32 v24, 0, v1, vcc_lo
	v_cmp_gt_u32_e32 vcc_lo, s0, v27
	v_add_nc_u32_e32 v20, 8, v18
	v_add_nc_u32_e32 v21, 5, v18
	v_cndmask_b32_e32 v27, 0, v29, vcc_lo
	v_cmp_gt_u32_e32 vcc_lo, s0, v19
	v_add_nc_u32_e32 v29, 1, v18
	s_delay_alu instid0(VALU_DEP_3) | instskip(SKIP_4) | instid1(VALU_DEP_4)
	v_perm_b32 v16, v27, v24, 0x5040100
	v_lshrrev_b32_e32 v27, 16, v8
	v_cndmask_b32_e32 v19, 0, v8, vcc_lo
	v_cmp_gt_u32_e32 vcc_lo, s0, v20
	v_add_nc_u32_e32 v24, 6, v18
	v_cndmask_b32_e32 v20, 0, v27, vcc_lo
	v_cmp_gt_u32_e32 vcc_lo, s0, v21
	v_add_nc_u32_e32 v27, 3, v18
	s_delay_alu instid0(VALU_DEP_3)
	v_perm_b32 v19, v20, v19, 0x5040100
	v_cndmask_b32_e32 v21, 0, v7, vcc_lo
	v_cmp_gt_u32_e32 vcc_lo, s0, v24
	v_cndmask_b32_e32 v24, 0, v28, vcc_lo
	v_add_nc_u32_e32 v28, 4, v18
	v_cmp_gt_u32_e32 vcc_lo, s0, v27
	v_cndmask_b32_e32 v27, 0, v6, vcc_lo
	s_delay_alu instid0(VALU_DEP_3)
	v_cmp_gt_u32_e32 vcc_lo, s0, v28
	v_cndmask_b32_e32 v28, 0, v31, vcc_lo
	v_cmp_gt_u32_e32 vcc_lo, s0, v29
	v_cndmask_b32_e32 v29, 0, v5, vcc_lo
	v_cmp_gt_u32_e32 vcc_lo, s0, v30
	v_cndmask_b32_e32 v30, 0, v32, vcc_lo
	v_cmp_gt_u32_e32 vcc_lo, s0, v18
	v_perm_b32 v18, v24, v21, 0x5040100
	v_perm_b32 v21, v28, v27, 0x5040100
	s_delay_alu instid0(VALU_DEP_4) | instskip(SKIP_2) | instid1(VALU_DEP_1)
	v_perm_b32 v20, v30, v29, 0x5040100
	s_waitcnt lgkmcnt(0)
	v_cndmask_b32_e32 v26, 0, v26, vcc_lo
	v_add_nc_u16 v24, v26, v5
.LBB696_61:
	s_cbranch_execnz .LBB696_71
.LBB696_62:
	v_cmp_ne_u32_e32 vcc_lo, 0, v0
	s_cmp_eq_u64 s[12:13], 1
	s_cbranch_scc1 .LBB696_66
; %bb.63:
	v_mov_b32_e32 v24, v5
	s_mov_b32 s0, 0
	ds_store_b16 v22, v23
	s_waitcnt vmcnt(0) lgkmcnt(0)
	s_barrier
	buffer_gl0_inv
	s_and_saveexec_b32 s1, vcc_lo
	s_cbranch_execz .LBB696_65
; %bb.64:
	v_add_nc_u32_e32 v12, -2, v22
	ds_load_u16 v12, v12
	s_waitcnt lgkmcnt(0)
	v_add_nc_u16 v24, v12, v5
.LBB696_65:
	s_or_b32 exec_lo, exec_lo, s1
	s_branch .LBB696_67
.LBB696_66:
	s_mov_b32 s0, -1
                                        ; implicit-def: $vgpr24
.LBB696_67:
	v_mov_b32_e32 v13, v10
	v_mov_b32_e32 v15, v4
	;; [unrolled: 1-line block ×4, first 2 shown]
	v_dual_mov_b32 v21, v6 :: v_dual_mov_b32 v20, v5
	v_dual_mov_b32 v25, v11 :: v_dual_mov_b32 v12, v9
	v_mov_b32_e32 v14, v3
	v_mov_b32_e32 v16, v1
	;; [unrolled: 1-line block ×3, first 2 shown]
	s_and_not1_b32 vcc_lo, exec_lo, s0
	s_cbranch_vccnz .LBB696_71
; %bb.68:
	v_mad_u32_u24 v15, v0, 23, 19
	v_mad_u32_u24 v16, v0, 23, 20
	;; [unrolled: 1-line block ×3, first 2 shown]
	v_lshrrev_b32_e32 v19, 16, v10
	v_mad_u32_u24 v18, v0, 23, 18
	v_cmp_gt_u32_e32 vcc_lo, s10, v15
	v_mad_u32_u24 v12, v0, 23, 21
	v_lshrrev_b32_e32 v14, 16, v11
	v_lshrrev_b32_e32 v21, 16, v9
	v_mad_u32_u24 v13, v0, 23, 22
	v_cndmask_b32_e32 v15, 0, v10, vcc_lo
	v_cmp_gt_u32_e32 vcc_lo, s10, v16
	v_lshrrev_b32_e32 v24, 16, v2
	v_lshrrev_b32_e32 v30, 16, v6
	;; [unrolled: 1-line block ×3, first 2 shown]
	v_mad_u32_u24 v28, v0, 23, 1
	v_cndmask_b32_e32 v16, 0, v19, vcc_lo
	v_cmp_gt_u32_e32 vcc_lo, s10, v17
	v_mad_u32_u24 v19, v0, 23, 11
	v_mad_u32_u24 v29, v0, 23, 2
	v_lshrrev_b32_e32 v31, 16, v5
	v_mul_u32_u24_e32 v20, 23, v0
	v_cndmask_b32_e32 v17, 0, v9, vcc_lo
	v_cmp_gt_u32_e32 vcc_lo, s10, v18
	ds_store_b16 v22, v23
	s_waitcnt vmcnt(0) lgkmcnt(0)
	v_cmp_gt_u32_e64 s0, s10, v20
	s_barrier
	v_cndmask_b32_e32 v18, 0, v21, vcc_lo
	v_cmp_gt_u32_e32 vcc_lo, s10, v12
	v_mad_u32_u24 v21, v0, 23, 12
	buffer_gl0_inv
	v_cndmask_b32_e32 v25, 0, v11, vcc_lo
	v_cmp_gt_u32_e32 vcc_lo, s10, v13
	v_perm_b32 v13, v16, v15, 0x5040100
	v_mad_u32_u24 v15, v0, 23, 16
	v_mad_u32_u24 v16, v0, 23, 13
	v_cndmask_b32_e32 v26, 0, v14, vcc_lo
	v_mad_u32_u24 v14, v0, 23, 15
	v_perm_b32 v12, v18, v17, 0x5040100
	v_lshrrev_b32_e32 v17, 16, v4
	v_mad_u32_u24 v18, v0, 23, 14
	s_delay_alu instid0(VALU_DEP_4)
	v_cmp_gt_u32_e32 vcc_lo, s10, v14
	v_cndmask_b32_e32 v14, 0, v4, vcc_lo
	v_cmp_gt_u32_e32 vcc_lo, s10, v15
	v_cndmask_b32_e32 v15, 0, v17, vcc_lo
	v_cmp_gt_u32_e32 vcc_lo, s10, v16
	v_lshrrev_b32_e32 v17, 16, v3
	s_delay_alu instid0(VALU_DEP_3) | instskip(SKIP_2) | instid1(VALU_DEP_4)
	v_perm_b32 v15, v15, v14, 0x5040100
	v_cndmask_b32_e32 v16, 0, v3, vcc_lo
	v_cmp_gt_u32_e32 vcc_lo, s10, v18
	v_cndmask_b32_e32 v17, 0, v17, vcc_lo
	v_cmp_gt_u32_e32 vcc_lo, s10, v19
	s_delay_alu instid0(VALU_DEP_2)
	v_perm_b32 v14, v17, v16, 0x5040100
	v_cndmask_b32_e32 v18, 0, v2, vcc_lo
	v_cmp_gt_u32_e32 vcc_lo, s10, v21
	v_mad_u32_u24 v21, v0, 23, 9
	v_mad_u32_u24 v16, v0, 23, 10
	v_cndmask_b32_e32 v19, 0, v24, vcc_lo
	s_delay_alu instid0(VALU_DEP_3) | instskip(SKIP_2) | instid1(VALU_DEP_4)
	v_cmp_gt_u32_e32 vcc_lo, s10, v21
	v_mad_u32_u24 v21, v0, 23, 7
	v_mad_u32_u24 v24, v0, 23, 8
	v_perm_b32 v17, v19, v18, 0x5040100
	v_cndmask_b32_e32 v18, 0, v1, vcc_lo
	v_lshrrev_b32_e32 v19, 16, v1
	v_cmp_gt_u32_e32 vcc_lo, s10, v16
	s_delay_alu instid0(VALU_DEP_2)
	v_cndmask_b32_e32 v16, 0, v19, vcc_lo
	v_cmp_gt_u32_e32 vcc_lo, s10, v21
	v_cndmask_b32_e32 v19, 0, v8, vcc_lo
	v_cmp_gt_u32_e32 vcc_lo, s10, v24
	v_mad_u32_u24 v24, v0, 23, 5
	v_perm_b32 v16, v16, v18, 0x5040100
	v_mad_u32_u24 v18, v0, 23, 6
	v_cndmask_b32_e32 v21, 0, v27, vcc_lo
	s_delay_alu instid0(VALU_DEP_4) | instskip(SKIP_2) | instid1(VALU_DEP_4)
	v_cmp_gt_u32_e32 vcc_lo, s10, v24
	v_lshrrev_b32_e32 v27, 16, v7
	v_mad_u32_u24 v24, v0, 23, 3
	v_perm_b32 v19, v21, v19, 0x5040100
	v_cndmask_b32_e32 v21, 0, v7, vcc_lo
	v_cmp_gt_u32_e32 vcc_lo, s10, v18
	v_cndmask_b32_e32 v18, 0, v27, vcc_lo
	v_mad_u32_u24 v27, v0, 23, 4
	v_cmp_gt_u32_e32 vcc_lo, s10, v24
	v_cndmask_b32_e32 v24, 0, v6, vcc_lo
	s_delay_alu instid0(VALU_DEP_3)
	v_cmp_gt_u32_e32 vcc_lo, s10, v27
	v_cndmask_b32_e32 v27, 0, v30, vcc_lo
	v_cmp_gt_u32_e32 vcc_lo, s10, v28
	v_cndmask_b32_e32 v28, 0, v5, vcc_lo
	v_cmp_gt_u32_e32 vcc_lo, s10, v29
	v_perm_b32 v18, v18, v21, 0x5040100
	v_perm_b32 v21, v27, v24, 0x5040100
	v_dual_mov_b32 v24, v5 :: v_dual_cndmask_b32 v29, 0, v31
	v_cmp_ne_u32_e32 vcc_lo, 0, v0
	s_delay_alu instid0(VALU_DEP_2) | instskip(SKIP_1) | instid1(SALU_CYCLE_1)
	v_perm_b32 v20, v29, v28, 0x5040100
	s_and_b32 s1, vcc_lo, s0
	s_and_saveexec_b32 s0, s1
	s_cbranch_execz .LBB696_70
; %bb.69:
	v_add_nc_u32_e32 v24, -2, v22
	ds_load_u16 v24, v24
	s_waitcnt lgkmcnt(0)
	v_add_nc_u16 v24, v24, v5
.LBB696_70:
	s_or_b32 exec_lo, exec_lo, s0
	v_perm_b32 v25, v26, v25, 0x5040100
.LBB696_71:
	s_waitcnt vmcnt(0)
	v_alignbit_b32 v26, v7, v6, 16
	v_alignbit_b32 v5, v6, v5, 16
	;; [unrolled: 1-line block ×5, first 2 shown]
	v_pk_add_u16 v6, v21, v26
	v_alignbit_b32 v21, v3, v2, 16
	v_alignbit_b32 v3, v4, v3, 16
	v_pk_add_u16 v1, v16, v1
	v_alignbit_b32 v16, v9, v4, 16
	v_alignbit_b32 v9, v10, v9, 16
	;; [unrolled: 3-line block ×3, first 2 shown]
	v_pk_add_u16 v5, v20, v5
	v_pk_add_u16 v8, v19, v27
	v_pk_add_u16 v7, v18, v7
	v_pk_add_u16 v4, v15, v16
	v_pk_add_u16 v3, v14, v3
	v_pk_add_u16 v10, v13, v17
	v_pk_add_u16 v9, v12, v9
	v_pk_add_u16 v11, v25, v11
	v_mul_u32_u24_e32 v14, 46, v0
	v_mul_i32_i24_e32 v15, 0xffffffd4, v0
	s_add_u32 s0, s8, s6
	s_addc_u32 s1, s9, s7
	s_and_b32 vcc_lo, exec_lo, s22
	s_barrier
	buffer_gl0_inv
	s_cbranch_vccz .LBB696_117
; %bb.72:
	v_mad_u32_u24 v12, v0, 46, v15
	ds_store_b16 v14, v24
	ds_store_b128 v14, v[5:8] offset:2
	ds_store_b128 v14, v[1:4] offset:18
	ds_store_b96 v14, v[9:11] offset:34
	s_waitcnt lgkmcnt(0)
	s_barrier
	buffer_gl0_inv
	ds_load_u16 v39, v12 offset:256
	ds_load_u16 v38, v12 offset:512
	;; [unrolled: 1-line block ×22, first 2 shown]
	s_mov_b32 s5, 0
	s_add_i32 s11, s11, s10
	s_lshl_b64 s[2:3], s[4:5], 1
	s_delay_alu instid0(SALU_CYCLE_1) | instskip(SKIP_2) | instid1(VALU_DEP_1)
	s_add_u32 s2, s0, s2
	s_addc_u32 s3, s1, s3
	v_add_co_u32 v12, s2, s2, v22
	v_add_co_ci_u32_e64 v13, null, s3, 0, s2
	s_mov_b32 s2, exec_lo
	v_cmpx_gt_u32_e64 s11, v0
	s_cbranch_execz .LBB696_74
; %bb.73:
	v_add_nc_u32_e32 v40, v14, v15
	ds_load_u16 v40, v40
	s_waitcnt lgkmcnt(0)
	global_store_b16 v[12:13], v40, off
.LBB696_74:
	s_or_b32 exec_lo, exec_lo, s2
	v_or_b32_e32 v40, 0x80, v0
	s_mov_b32 s2, exec_lo
	s_delay_alu instid0(VALU_DEP_1)
	v_cmpx_gt_u32_e64 s11, v40
	s_cbranch_execz .LBB696_76
; %bb.75:
	s_waitcnt lgkmcnt(21)
	global_store_b16 v[12:13], v39, off offset:256
.LBB696_76:
	s_or_b32 exec_lo, exec_lo, s2
	s_waitcnt lgkmcnt(21)
	v_or_b32_e32 v39, 0x100, v0
	s_mov_b32 s2, exec_lo
	s_delay_alu instid0(VALU_DEP_1)
	v_cmpx_gt_u32_e64 s11, v39
	s_cbranch_execz .LBB696_78
; %bb.77:
	s_waitcnt lgkmcnt(20)
	global_store_b16 v[12:13], v38, off offset:512
.LBB696_78:
	s_or_b32 exec_lo, exec_lo, s2
	s_waitcnt lgkmcnt(20)
	;; [unrolled: 11-line block ×15, first 2 shown]
	v_or_b32_e32 v25, 0x800, v0
	s_mov_b32 s2, exec_lo
	s_delay_alu instid0(VALU_DEP_1)
	v_cmpx_gt_u32_e64 s11, v25
	s_cbranch_execz .LBB696_106
; %bb.105:
	v_add_co_u32 v25, vcc_lo, 0x1000, v12
	v_add_co_ci_u32_e32 v26, vcc_lo, 0, v13, vcc_lo
	s_waitcnt lgkmcnt(6)
	global_store_b16 v[25:26], v23, off
.LBB696_106:
	s_or_b32 exec_lo, exec_lo, s2
	s_waitcnt lgkmcnt(6)
	v_or_b32_e32 v23, 0x880, v0
	s_mov_b32 s2, exec_lo
	s_delay_alu instid0(VALU_DEP_1)
	v_cmpx_gt_u32_e64 s11, v23
	s_cbranch_execz .LBB696_108
; %bb.107:
	v_add_co_u32 v25, vcc_lo, 0x1000, v12
	v_add_co_ci_u32_e32 v26, vcc_lo, 0, v13, vcc_lo
	s_waitcnt lgkmcnt(5)
	global_store_b16 v[25:26], v21, off offset:256
.LBB696_108:
	s_or_b32 exec_lo, exec_lo, s2
	s_waitcnt lgkmcnt(5)
	v_or_b32_e32 v21, 0x900, v0
	s_mov_b32 s2, exec_lo
	s_delay_alu instid0(VALU_DEP_1)
	v_cmpx_gt_u32_e64 s11, v21
	s_cbranch_execz .LBB696_110
; %bb.109:
	v_add_co_u32 v25, vcc_lo, 0x1000, v12
	v_add_co_ci_u32_e32 v26, vcc_lo, 0, v13, vcc_lo
	s_waitcnt lgkmcnt(4)
	global_store_b16 v[25:26], v20, off offset:512
.LBB696_110:
	;; [unrolled: 13-line block ×5, first 2 shown]
	s_or_b32 exec_lo, exec_lo, s2
	s_waitcnt lgkmcnt(1)
	v_or_b32_e32 v17, 0xb00, v0
	s_delay_alu instid0(VALU_DEP_1)
	v_cmp_gt_u32_e64 s2, s11, v17
	s_branch .LBB696_119
.LBB696_117:
	s_mov_b32 s2, 0
                                        ; implicit-def: $vgpr16
                                        ; implicit-def: $vgpr12_vgpr13
	s_cbranch_execz .LBB696_119
; %bb.118:
	v_mad_u32_u24 v0, v0, 46, v15
	ds_store_b16 v14, v24
	ds_store_b128 v14, v[5:8] offset:2
	ds_store_b128 v14, v[1:4] offset:18
	ds_store_b96 v14, v[9:11] offset:34
	s_waitcnt lgkmcnt(0)
	s_waitcnt_vscnt null, 0x0
	s_barrier
	buffer_gl0_inv
	ds_load_u16 v2, v0
	ds_load_u16 v1, v0 offset:256
	ds_load_u16 v3, v0 offset:512
	;; [unrolled: 1-line block ×22, first 2 shown]
	s_mov_b32 s5, 0
	s_delay_alu instid0(SALU_CYCLE_1) | instskip(NEXT) | instid1(SALU_CYCLE_1)
	s_lshl_b64 s[4:5], s[4:5], 1
	s_add_u32 s0, s0, s4
	s_addc_u32 s1, s1, s5
	v_add_co_u32 v12, s3, s0, v22
	s_delay_alu instid0(VALU_DEP_1)
	v_add_co_ci_u32_e64 v13, null, s1, 0, s3
	s_waitcnt lgkmcnt(21)
	global_store_b16 v22, v1, s[0:1] offset:256
	s_waitcnt lgkmcnt(20)
	global_store_b16 v22, v3, s[0:1] offset:512
	;; [unrolled: 2-line block ×9, first 2 shown]
	v_add_co_u32 v0, vcc_lo, 0x1000, v12
	v_add_co_ci_u32_e32 v1, vcc_lo, 0, v13, vcc_lo
	s_or_b32 s2, s2, exec_lo
	s_waitcnt lgkmcnt(12)
	global_store_b16 v22, v11, s[0:1] offset:2560
	s_waitcnt lgkmcnt(11)
	global_store_b16 v22, v14, s[0:1] offset:2816
	;; [unrolled: 2-line block ×6, first 2 shown]
	s_waitcnt lgkmcnt(6)
	global_store_b16 v[0:1], v20, off
	s_waitcnt lgkmcnt(5)
	global_store_b16 v[0:1], v21, off offset:256
	s_waitcnt lgkmcnt(4)
	global_store_b16 v[0:1], v23, off offset:512
	;; [unrolled: 2-line block ×3, first 2 shown]
	s_waitcnt lgkmcnt(2)
	s_clause 0x1
	global_store_b16 v[0:1], v25, off offset:1024
	global_store_b16 v22, v2, s[0:1]
	s_waitcnt lgkmcnt(1)
	global_store_b16 v[0:1], v26, off offset:1280
.LBB696_119:
	s_delay_alu instid0(VALU_DEP_1)
	s_and_saveexec_b32 s0, s2
	s_cbranch_execnz .LBB696_121
; %bb.120:
	s_nop 0
	s_sendmsg sendmsg(MSG_DEALLOC_VGPRS)
	s_endpgm
.LBB696_121:
	v_add_co_u32 v0, vcc_lo, 0x1000, v12
	v_add_co_ci_u32_e32 v1, vcc_lo, 0, v13, vcc_lo
	s_waitcnt lgkmcnt(0)
	global_store_b16 v[0:1], v16, off offset:1536
	s_nop 0
	s_sendmsg sendmsg(MSG_DEALLOC_VGPRS)
	s_endpgm
	.section	.rodata,"a",@progbits
	.p2align	6, 0x0
	.amdhsa_kernel _ZN7rocprim17ROCPRIM_400000_NS6detail17trampoline_kernelINS0_14default_configENS1_35adjacent_difference_config_selectorILb1EtEEZNS1_24adjacent_difference_implIS3_Lb1ELb0EPKtPtN6thrust23THRUST_200600_302600_NS4plusItEEEE10hipError_tPvRmT2_T3_mT4_P12ihipStream_tbEUlT_E_NS1_11comp_targetILNS1_3genE9ELNS1_11target_archE1100ELNS1_3gpuE3ELNS1_3repE0EEENS1_30default_config_static_selectorELNS0_4arch9wavefront6targetE0EEEvT1_
		.amdhsa_group_segment_fixed_size 5888
		.amdhsa_private_segment_fixed_size 0
		.amdhsa_kernarg_size 56
		.amdhsa_user_sgpr_count 15
		.amdhsa_user_sgpr_dispatch_ptr 0
		.amdhsa_user_sgpr_queue_ptr 0
		.amdhsa_user_sgpr_kernarg_segment_ptr 1
		.amdhsa_user_sgpr_dispatch_id 0
		.amdhsa_user_sgpr_private_segment_size 0
		.amdhsa_wavefront_size32 1
		.amdhsa_uses_dynamic_stack 0
		.amdhsa_enable_private_segment 0
		.amdhsa_system_sgpr_workgroup_id_x 1
		.amdhsa_system_sgpr_workgroup_id_y 0
		.amdhsa_system_sgpr_workgroup_id_z 0
		.amdhsa_system_sgpr_workgroup_info 0
		.amdhsa_system_vgpr_workitem_id 0
		.amdhsa_next_free_vgpr 41
		.amdhsa_next_free_sgpr 26
		.amdhsa_reserve_vcc 1
		.amdhsa_float_round_mode_32 0
		.amdhsa_float_round_mode_16_64 0
		.amdhsa_float_denorm_mode_32 3
		.amdhsa_float_denorm_mode_16_64 3
		.amdhsa_dx10_clamp 1
		.amdhsa_ieee_mode 1
		.amdhsa_fp16_overflow 0
		.amdhsa_workgroup_processor_mode 1
		.amdhsa_memory_ordered 1
		.amdhsa_forward_progress 0
		.amdhsa_shared_vgpr_count 0
		.amdhsa_exception_fp_ieee_invalid_op 0
		.amdhsa_exception_fp_denorm_src 0
		.amdhsa_exception_fp_ieee_div_zero 0
		.amdhsa_exception_fp_ieee_overflow 0
		.amdhsa_exception_fp_ieee_underflow 0
		.amdhsa_exception_fp_ieee_inexact 0
		.amdhsa_exception_int_div_zero 0
	.end_amdhsa_kernel
	.section	.text._ZN7rocprim17ROCPRIM_400000_NS6detail17trampoline_kernelINS0_14default_configENS1_35adjacent_difference_config_selectorILb1EtEEZNS1_24adjacent_difference_implIS3_Lb1ELb0EPKtPtN6thrust23THRUST_200600_302600_NS4plusItEEEE10hipError_tPvRmT2_T3_mT4_P12ihipStream_tbEUlT_E_NS1_11comp_targetILNS1_3genE9ELNS1_11target_archE1100ELNS1_3gpuE3ELNS1_3repE0EEENS1_30default_config_static_selectorELNS0_4arch9wavefront6targetE0EEEvT1_,"axG",@progbits,_ZN7rocprim17ROCPRIM_400000_NS6detail17trampoline_kernelINS0_14default_configENS1_35adjacent_difference_config_selectorILb1EtEEZNS1_24adjacent_difference_implIS3_Lb1ELb0EPKtPtN6thrust23THRUST_200600_302600_NS4plusItEEEE10hipError_tPvRmT2_T3_mT4_P12ihipStream_tbEUlT_E_NS1_11comp_targetILNS1_3genE9ELNS1_11target_archE1100ELNS1_3gpuE3ELNS1_3repE0EEENS1_30default_config_static_selectorELNS0_4arch9wavefront6targetE0EEEvT1_,comdat
.Lfunc_end696:
	.size	_ZN7rocprim17ROCPRIM_400000_NS6detail17trampoline_kernelINS0_14default_configENS1_35adjacent_difference_config_selectorILb1EtEEZNS1_24adjacent_difference_implIS3_Lb1ELb0EPKtPtN6thrust23THRUST_200600_302600_NS4plusItEEEE10hipError_tPvRmT2_T3_mT4_P12ihipStream_tbEUlT_E_NS1_11comp_targetILNS1_3genE9ELNS1_11target_archE1100ELNS1_3gpuE3ELNS1_3repE0EEENS1_30default_config_static_selectorELNS0_4arch9wavefront6targetE0EEEvT1_, .Lfunc_end696-_ZN7rocprim17ROCPRIM_400000_NS6detail17trampoline_kernelINS0_14default_configENS1_35adjacent_difference_config_selectorILb1EtEEZNS1_24adjacent_difference_implIS3_Lb1ELb0EPKtPtN6thrust23THRUST_200600_302600_NS4plusItEEEE10hipError_tPvRmT2_T3_mT4_P12ihipStream_tbEUlT_E_NS1_11comp_targetILNS1_3genE9ELNS1_11target_archE1100ELNS1_3gpuE3ELNS1_3repE0EEENS1_30default_config_static_selectorELNS0_4arch9wavefront6targetE0EEEvT1_
                                        ; -- End function
	.section	.AMDGPU.csdata,"",@progbits
; Kernel info:
; codeLenInByte = 6144
; NumSgprs: 28
; NumVgprs: 41
; ScratchSize: 0
; MemoryBound: 0
; FloatMode: 240
; IeeeMode: 1
; LDSByteSize: 5888 bytes/workgroup (compile time only)
; SGPRBlocks: 3
; VGPRBlocks: 5
; NumSGPRsForWavesPerEU: 28
; NumVGPRsForWavesPerEU: 41
; Occupancy: 16
; WaveLimiterHint : 1
; COMPUTE_PGM_RSRC2:SCRATCH_EN: 0
; COMPUTE_PGM_RSRC2:USER_SGPR: 15
; COMPUTE_PGM_RSRC2:TRAP_HANDLER: 0
; COMPUTE_PGM_RSRC2:TGID_X_EN: 1
; COMPUTE_PGM_RSRC2:TGID_Y_EN: 0
; COMPUTE_PGM_RSRC2:TGID_Z_EN: 0
; COMPUTE_PGM_RSRC2:TIDIG_COMP_CNT: 0
	.section	.text._ZN7rocprim17ROCPRIM_400000_NS6detail17trampoline_kernelINS0_14default_configENS1_35adjacent_difference_config_selectorILb1EtEEZNS1_24adjacent_difference_implIS3_Lb1ELb0EPKtPtN6thrust23THRUST_200600_302600_NS4plusItEEEE10hipError_tPvRmT2_T3_mT4_P12ihipStream_tbEUlT_E_NS1_11comp_targetILNS1_3genE8ELNS1_11target_archE1030ELNS1_3gpuE2ELNS1_3repE0EEENS1_30default_config_static_selectorELNS0_4arch9wavefront6targetE0EEEvT1_,"axG",@progbits,_ZN7rocprim17ROCPRIM_400000_NS6detail17trampoline_kernelINS0_14default_configENS1_35adjacent_difference_config_selectorILb1EtEEZNS1_24adjacent_difference_implIS3_Lb1ELb0EPKtPtN6thrust23THRUST_200600_302600_NS4plusItEEEE10hipError_tPvRmT2_T3_mT4_P12ihipStream_tbEUlT_E_NS1_11comp_targetILNS1_3genE8ELNS1_11target_archE1030ELNS1_3gpuE2ELNS1_3repE0EEENS1_30default_config_static_selectorELNS0_4arch9wavefront6targetE0EEEvT1_,comdat
	.protected	_ZN7rocprim17ROCPRIM_400000_NS6detail17trampoline_kernelINS0_14default_configENS1_35adjacent_difference_config_selectorILb1EtEEZNS1_24adjacent_difference_implIS3_Lb1ELb0EPKtPtN6thrust23THRUST_200600_302600_NS4plusItEEEE10hipError_tPvRmT2_T3_mT4_P12ihipStream_tbEUlT_E_NS1_11comp_targetILNS1_3genE8ELNS1_11target_archE1030ELNS1_3gpuE2ELNS1_3repE0EEENS1_30default_config_static_selectorELNS0_4arch9wavefront6targetE0EEEvT1_ ; -- Begin function _ZN7rocprim17ROCPRIM_400000_NS6detail17trampoline_kernelINS0_14default_configENS1_35adjacent_difference_config_selectorILb1EtEEZNS1_24adjacent_difference_implIS3_Lb1ELb0EPKtPtN6thrust23THRUST_200600_302600_NS4plusItEEEE10hipError_tPvRmT2_T3_mT4_P12ihipStream_tbEUlT_E_NS1_11comp_targetILNS1_3genE8ELNS1_11target_archE1030ELNS1_3gpuE2ELNS1_3repE0EEENS1_30default_config_static_selectorELNS0_4arch9wavefront6targetE0EEEvT1_
	.globl	_ZN7rocprim17ROCPRIM_400000_NS6detail17trampoline_kernelINS0_14default_configENS1_35adjacent_difference_config_selectorILb1EtEEZNS1_24adjacent_difference_implIS3_Lb1ELb0EPKtPtN6thrust23THRUST_200600_302600_NS4plusItEEEE10hipError_tPvRmT2_T3_mT4_P12ihipStream_tbEUlT_E_NS1_11comp_targetILNS1_3genE8ELNS1_11target_archE1030ELNS1_3gpuE2ELNS1_3repE0EEENS1_30default_config_static_selectorELNS0_4arch9wavefront6targetE0EEEvT1_
	.p2align	8
	.type	_ZN7rocprim17ROCPRIM_400000_NS6detail17trampoline_kernelINS0_14default_configENS1_35adjacent_difference_config_selectorILb1EtEEZNS1_24adjacent_difference_implIS3_Lb1ELb0EPKtPtN6thrust23THRUST_200600_302600_NS4plusItEEEE10hipError_tPvRmT2_T3_mT4_P12ihipStream_tbEUlT_E_NS1_11comp_targetILNS1_3genE8ELNS1_11target_archE1030ELNS1_3gpuE2ELNS1_3repE0EEENS1_30default_config_static_selectorELNS0_4arch9wavefront6targetE0EEEvT1_,@function
_ZN7rocprim17ROCPRIM_400000_NS6detail17trampoline_kernelINS0_14default_configENS1_35adjacent_difference_config_selectorILb1EtEEZNS1_24adjacent_difference_implIS3_Lb1ELb0EPKtPtN6thrust23THRUST_200600_302600_NS4plusItEEEE10hipError_tPvRmT2_T3_mT4_P12ihipStream_tbEUlT_E_NS1_11comp_targetILNS1_3genE8ELNS1_11target_archE1030ELNS1_3gpuE2ELNS1_3repE0EEENS1_30default_config_static_selectorELNS0_4arch9wavefront6targetE0EEEvT1_: ; @_ZN7rocprim17ROCPRIM_400000_NS6detail17trampoline_kernelINS0_14default_configENS1_35adjacent_difference_config_selectorILb1EtEEZNS1_24adjacent_difference_implIS3_Lb1ELb0EPKtPtN6thrust23THRUST_200600_302600_NS4plusItEEEE10hipError_tPvRmT2_T3_mT4_P12ihipStream_tbEUlT_E_NS1_11comp_targetILNS1_3genE8ELNS1_11target_archE1030ELNS1_3gpuE2ELNS1_3repE0EEENS1_30default_config_static_selectorELNS0_4arch9wavefront6targetE0EEEvT1_
; %bb.0:
	.section	.rodata,"a",@progbits
	.p2align	6, 0x0
	.amdhsa_kernel _ZN7rocprim17ROCPRIM_400000_NS6detail17trampoline_kernelINS0_14default_configENS1_35adjacent_difference_config_selectorILb1EtEEZNS1_24adjacent_difference_implIS3_Lb1ELb0EPKtPtN6thrust23THRUST_200600_302600_NS4plusItEEEE10hipError_tPvRmT2_T3_mT4_P12ihipStream_tbEUlT_E_NS1_11comp_targetILNS1_3genE8ELNS1_11target_archE1030ELNS1_3gpuE2ELNS1_3repE0EEENS1_30default_config_static_selectorELNS0_4arch9wavefront6targetE0EEEvT1_
		.amdhsa_group_segment_fixed_size 0
		.amdhsa_private_segment_fixed_size 0
		.amdhsa_kernarg_size 56
		.amdhsa_user_sgpr_count 15
		.amdhsa_user_sgpr_dispatch_ptr 0
		.amdhsa_user_sgpr_queue_ptr 0
		.amdhsa_user_sgpr_kernarg_segment_ptr 1
		.amdhsa_user_sgpr_dispatch_id 0
		.amdhsa_user_sgpr_private_segment_size 0
		.amdhsa_wavefront_size32 1
		.amdhsa_uses_dynamic_stack 0
		.amdhsa_enable_private_segment 0
		.amdhsa_system_sgpr_workgroup_id_x 1
		.amdhsa_system_sgpr_workgroup_id_y 0
		.amdhsa_system_sgpr_workgroup_id_z 0
		.amdhsa_system_sgpr_workgroup_info 0
		.amdhsa_system_vgpr_workitem_id 0
		.amdhsa_next_free_vgpr 1
		.amdhsa_next_free_sgpr 1
		.amdhsa_reserve_vcc 0
		.amdhsa_float_round_mode_32 0
		.amdhsa_float_round_mode_16_64 0
		.amdhsa_float_denorm_mode_32 3
		.amdhsa_float_denorm_mode_16_64 3
		.amdhsa_dx10_clamp 1
		.amdhsa_ieee_mode 1
		.amdhsa_fp16_overflow 0
		.amdhsa_workgroup_processor_mode 1
		.amdhsa_memory_ordered 1
		.amdhsa_forward_progress 0
		.amdhsa_shared_vgpr_count 0
		.amdhsa_exception_fp_ieee_invalid_op 0
		.amdhsa_exception_fp_denorm_src 0
		.amdhsa_exception_fp_ieee_div_zero 0
		.amdhsa_exception_fp_ieee_overflow 0
		.amdhsa_exception_fp_ieee_underflow 0
		.amdhsa_exception_fp_ieee_inexact 0
		.amdhsa_exception_int_div_zero 0
	.end_amdhsa_kernel
	.section	.text._ZN7rocprim17ROCPRIM_400000_NS6detail17trampoline_kernelINS0_14default_configENS1_35adjacent_difference_config_selectorILb1EtEEZNS1_24adjacent_difference_implIS3_Lb1ELb0EPKtPtN6thrust23THRUST_200600_302600_NS4plusItEEEE10hipError_tPvRmT2_T3_mT4_P12ihipStream_tbEUlT_E_NS1_11comp_targetILNS1_3genE8ELNS1_11target_archE1030ELNS1_3gpuE2ELNS1_3repE0EEENS1_30default_config_static_selectorELNS0_4arch9wavefront6targetE0EEEvT1_,"axG",@progbits,_ZN7rocprim17ROCPRIM_400000_NS6detail17trampoline_kernelINS0_14default_configENS1_35adjacent_difference_config_selectorILb1EtEEZNS1_24adjacent_difference_implIS3_Lb1ELb0EPKtPtN6thrust23THRUST_200600_302600_NS4plusItEEEE10hipError_tPvRmT2_T3_mT4_P12ihipStream_tbEUlT_E_NS1_11comp_targetILNS1_3genE8ELNS1_11target_archE1030ELNS1_3gpuE2ELNS1_3repE0EEENS1_30default_config_static_selectorELNS0_4arch9wavefront6targetE0EEEvT1_,comdat
.Lfunc_end697:
	.size	_ZN7rocprim17ROCPRIM_400000_NS6detail17trampoline_kernelINS0_14default_configENS1_35adjacent_difference_config_selectorILb1EtEEZNS1_24adjacent_difference_implIS3_Lb1ELb0EPKtPtN6thrust23THRUST_200600_302600_NS4plusItEEEE10hipError_tPvRmT2_T3_mT4_P12ihipStream_tbEUlT_E_NS1_11comp_targetILNS1_3genE8ELNS1_11target_archE1030ELNS1_3gpuE2ELNS1_3repE0EEENS1_30default_config_static_selectorELNS0_4arch9wavefront6targetE0EEEvT1_, .Lfunc_end697-_ZN7rocprim17ROCPRIM_400000_NS6detail17trampoline_kernelINS0_14default_configENS1_35adjacent_difference_config_selectorILb1EtEEZNS1_24adjacent_difference_implIS3_Lb1ELb0EPKtPtN6thrust23THRUST_200600_302600_NS4plusItEEEE10hipError_tPvRmT2_T3_mT4_P12ihipStream_tbEUlT_E_NS1_11comp_targetILNS1_3genE8ELNS1_11target_archE1030ELNS1_3gpuE2ELNS1_3repE0EEENS1_30default_config_static_selectorELNS0_4arch9wavefront6targetE0EEEvT1_
                                        ; -- End function
	.section	.AMDGPU.csdata,"",@progbits
; Kernel info:
; codeLenInByte = 0
; NumSgprs: 0
; NumVgprs: 0
; ScratchSize: 0
; MemoryBound: 0
; FloatMode: 240
; IeeeMode: 1
; LDSByteSize: 0 bytes/workgroup (compile time only)
; SGPRBlocks: 0
; VGPRBlocks: 0
; NumSGPRsForWavesPerEU: 1
; NumVGPRsForWavesPerEU: 1
; Occupancy: 16
; WaveLimiterHint : 0
; COMPUTE_PGM_RSRC2:SCRATCH_EN: 0
; COMPUTE_PGM_RSRC2:USER_SGPR: 15
; COMPUTE_PGM_RSRC2:TRAP_HANDLER: 0
; COMPUTE_PGM_RSRC2:TGID_X_EN: 1
; COMPUTE_PGM_RSRC2:TGID_Y_EN: 0
; COMPUTE_PGM_RSRC2:TGID_Z_EN: 0
; COMPUTE_PGM_RSRC2:TIDIG_COMP_CNT: 0
	.section	.text._ZN7rocprim17ROCPRIM_400000_NS6detail17trampoline_kernelINS0_14default_configENS1_35adjacent_difference_config_selectorILb0ExEEZNS1_24adjacent_difference_implIS3_Lb0ELb0EPKxPxN6thrust23THRUST_200600_302600_NS4plusIxEEEE10hipError_tPvRmT2_T3_mT4_P12ihipStream_tbEUlT_E_NS1_11comp_targetILNS1_3genE0ELNS1_11target_archE4294967295ELNS1_3gpuE0ELNS1_3repE0EEENS1_30default_config_static_selectorELNS0_4arch9wavefront6targetE0EEEvT1_,"axG",@progbits,_ZN7rocprim17ROCPRIM_400000_NS6detail17trampoline_kernelINS0_14default_configENS1_35adjacent_difference_config_selectorILb0ExEEZNS1_24adjacent_difference_implIS3_Lb0ELb0EPKxPxN6thrust23THRUST_200600_302600_NS4plusIxEEEE10hipError_tPvRmT2_T3_mT4_P12ihipStream_tbEUlT_E_NS1_11comp_targetILNS1_3genE0ELNS1_11target_archE4294967295ELNS1_3gpuE0ELNS1_3repE0EEENS1_30default_config_static_selectorELNS0_4arch9wavefront6targetE0EEEvT1_,comdat
	.protected	_ZN7rocprim17ROCPRIM_400000_NS6detail17trampoline_kernelINS0_14default_configENS1_35adjacent_difference_config_selectorILb0ExEEZNS1_24adjacent_difference_implIS3_Lb0ELb0EPKxPxN6thrust23THRUST_200600_302600_NS4plusIxEEEE10hipError_tPvRmT2_T3_mT4_P12ihipStream_tbEUlT_E_NS1_11comp_targetILNS1_3genE0ELNS1_11target_archE4294967295ELNS1_3gpuE0ELNS1_3repE0EEENS1_30default_config_static_selectorELNS0_4arch9wavefront6targetE0EEEvT1_ ; -- Begin function _ZN7rocprim17ROCPRIM_400000_NS6detail17trampoline_kernelINS0_14default_configENS1_35adjacent_difference_config_selectorILb0ExEEZNS1_24adjacent_difference_implIS3_Lb0ELb0EPKxPxN6thrust23THRUST_200600_302600_NS4plusIxEEEE10hipError_tPvRmT2_T3_mT4_P12ihipStream_tbEUlT_E_NS1_11comp_targetILNS1_3genE0ELNS1_11target_archE4294967295ELNS1_3gpuE0ELNS1_3repE0EEENS1_30default_config_static_selectorELNS0_4arch9wavefront6targetE0EEEvT1_
	.globl	_ZN7rocprim17ROCPRIM_400000_NS6detail17trampoline_kernelINS0_14default_configENS1_35adjacent_difference_config_selectorILb0ExEEZNS1_24adjacent_difference_implIS3_Lb0ELb0EPKxPxN6thrust23THRUST_200600_302600_NS4plusIxEEEE10hipError_tPvRmT2_T3_mT4_P12ihipStream_tbEUlT_E_NS1_11comp_targetILNS1_3genE0ELNS1_11target_archE4294967295ELNS1_3gpuE0ELNS1_3repE0EEENS1_30default_config_static_selectorELNS0_4arch9wavefront6targetE0EEEvT1_
	.p2align	8
	.type	_ZN7rocprim17ROCPRIM_400000_NS6detail17trampoline_kernelINS0_14default_configENS1_35adjacent_difference_config_selectorILb0ExEEZNS1_24adjacent_difference_implIS3_Lb0ELb0EPKxPxN6thrust23THRUST_200600_302600_NS4plusIxEEEE10hipError_tPvRmT2_T3_mT4_P12ihipStream_tbEUlT_E_NS1_11comp_targetILNS1_3genE0ELNS1_11target_archE4294967295ELNS1_3gpuE0ELNS1_3repE0EEENS1_30default_config_static_selectorELNS0_4arch9wavefront6targetE0EEEvT1_,@function
_ZN7rocprim17ROCPRIM_400000_NS6detail17trampoline_kernelINS0_14default_configENS1_35adjacent_difference_config_selectorILb0ExEEZNS1_24adjacent_difference_implIS3_Lb0ELb0EPKxPxN6thrust23THRUST_200600_302600_NS4plusIxEEEE10hipError_tPvRmT2_T3_mT4_P12ihipStream_tbEUlT_E_NS1_11comp_targetILNS1_3genE0ELNS1_11target_archE4294967295ELNS1_3gpuE0ELNS1_3repE0EEENS1_30default_config_static_selectorELNS0_4arch9wavefront6targetE0EEEvT1_: ; @_ZN7rocprim17ROCPRIM_400000_NS6detail17trampoline_kernelINS0_14default_configENS1_35adjacent_difference_config_selectorILb0ExEEZNS1_24adjacent_difference_implIS3_Lb0ELb0EPKxPxN6thrust23THRUST_200600_302600_NS4plusIxEEEE10hipError_tPvRmT2_T3_mT4_P12ihipStream_tbEUlT_E_NS1_11comp_targetILNS1_3genE0ELNS1_11target_archE4294967295ELNS1_3gpuE0ELNS1_3repE0EEENS1_30default_config_static_selectorELNS0_4arch9wavefront6targetE0EEEvT1_
; %bb.0:
	.section	.rodata,"a",@progbits
	.p2align	6, 0x0
	.amdhsa_kernel _ZN7rocprim17ROCPRIM_400000_NS6detail17trampoline_kernelINS0_14default_configENS1_35adjacent_difference_config_selectorILb0ExEEZNS1_24adjacent_difference_implIS3_Lb0ELb0EPKxPxN6thrust23THRUST_200600_302600_NS4plusIxEEEE10hipError_tPvRmT2_T3_mT4_P12ihipStream_tbEUlT_E_NS1_11comp_targetILNS1_3genE0ELNS1_11target_archE4294967295ELNS1_3gpuE0ELNS1_3repE0EEENS1_30default_config_static_selectorELNS0_4arch9wavefront6targetE0EEEvT1_
		.amdhsa_group_segment_fixed_size 0
		.amdhsa_private_segment_fixed_size 0
		.amdhsa_kernarg_size 56
		.amdhsa_user_sgpr_count 15
		.amdhsa_user_sgpr_dispatch_ptr 0
		.amdhsa_user_sgpr_queue_ptr 0
		.amdhsa_user_sgpr_kernarg_segment_ptr 1
		.amdhsa_user_sgpr_dispatch_id 0
		.amdhsa_user_sgpr_private_segment_size 0
		.amdhsa_wavefront_size32 1
		.amdhsa_uses_dynamic_stack 0
		.amdhsa_enable_private_segment 0
		.amdhsa_system_sgpr_workgroup_id_x 1
		.amdhsa_system_sgpr_workgroup_id_y 0
		.amdhsa_system_sgpr_workgroup_id_z 0
		.amdhsa_system_sgpr_workgroup_info 0
		.amdhsa_system_vgpr_workitem_id 0
		.amdhsa_next_free_vgpr 1
		.amdhsa_next_free_sgpr 1
		.amdhsa_reserve_vcc 0
		.amdhsa_float_round_mode_32 0
		.amdhsa_float_round_mode_16_64 0
		.amdhsa_float_denorm_mode_32 3
		.amdhsa_float_denorm_mode_16_64 3
		.amdhsa_dx10_clamp 1
		.amdhsa_ieee_mode 1
		.amdhsa_fp16_overflow 0
		.amdhsa_workgroup_processor_mode 1
		.amdhsa_memory_ordered 1
		.amdhsa_forward_progress 0
		.amdhsa_shared_vgpr_count 0
		.amdhsa_exception_fp_ieee_invalid_op 0
		.amdhsa_exception_fp_denorm_src 0
		.amdhsa_exception_fp_ieee_div_zero 0
		.amdhsa_exception_fp_ieee_overflow 0
		.amdhsa_exception_fp_ieee_underflow 0
		.amdhsa_exception_fp_ieee_inexact 0
		.amdhsa_exception_int_div_zero 0
	.end_amdhsa_kernel
	.section	.text._ZN7rocprim17ROCPRIM_400000_NS6detail17trampoline_kernelINS0_14default_configENS1_35adjacent_difference_config_selectorILb0ExEEZNS1_24adjacent_difference_implIS3_Lb0ELb0EPKxPxN6thrust23THRUST_200600_302600_NS4plusIxEEEE10hipError_tPvRmT2_T3_mT4_P12ihipStream_tbEUlT_E_NS1_11comp_targetILNS1_3genE0ELNS1_11target_archE4294967295ELNS1_3gpuE0ELNS1_3repE0EEENS1_30default_config_static_selectorELNS0_4arch9wavefront6targetE0EEEvT1_,"axG",@progbits,_ZN7rocprim17ROCPRIM_400000_NS6detail17trampoline_kernelINS0_14default_configENS1_35adjacent_difference_config_selectorILb0ExEEZNS1_24adjacent_difference_implIS3_Lb0ELb0EPKxPxN6thrust23THRUST_200600_302600_NS4plusIxEEEE10hipError_tPvRmT2_T3_mT4_P12ihipStream_tbEUlT_E_NS1_11comp_targetILNS1_3genE0ELNS1_11target_archE4294967295ELNS1_3gpuE0ELNS1_3repE0EEENS1_30default_config_static_selectorELNS0_4arch9wavefront6targetE0EEEvT1_,comdat
.Lfunc_end698:
	.size	_ZN7rocprim17ROCPRIM_400000_NS6detail17trampoline_kernelINS0_14default_configENS1_35adjacent_difference_config_selectorILb0ExEEZNS1_24adjacent_difference_implIS3_Lb0ELb0EPKxPxN6thrust23THRUST_200600_302600_NS4plusIxEEEE10hipError_tPvRmT2_T3_mT4_P12ihipStream_tbEUlT_E_NS1_11comp_targetILNS1_3genE0ELNS1_11target_archE4294967295ELNS1_3gpuE0ELNS1_3repE0EEENS1_30default_config_static_selectorELNS0_4arch9wavefront6targetE0EEEvT1_, .Lfunc_end698-_ZN7rocprim17ROCPRIM_400000_NS6detail17trampoline_kernelINS0_14default_configENS1_35adjacent_difference_config_selectorILb0ExEEZNS1_24adjacent_difference_implIS3_Lb0ELb0EPKxPxN6thrust23THRUST_200600_302600_NS4plusIxEEEE10hipError_tPvRmT2_T3_mT4_P12ihipStream_tbEUlT_E_NS1_11comp_targetILNS1_3genE0ELNS1_11target_archE4294967295ELNS1_3gpuE0ELNS1_3repE0EEENS1_30default_config_static_selectorELNS0_4arch9wavefront6targetE0EEEvT1_
                                        ; -- End function
	.section	.AMDGPU.csdata,"",@progbits
; Kernel info:
; codeLenInByte = 0
; NumSgprs: 0
; NumVgprs: 0
; ScratchSize: 0
; MemoryBound: 0
; FloatMode: 240
; IeeeMode: 1
; LDSByteSize: 0 bytes/workgroup (compile time only)
; SGPRBlocks: 0
; VGPRBlocks: 0
; NumSGPRsForWavesPerEU: 1
; NumVGPRsForWavesPerEU: 1
; Occupancy: 16
; WaveLimiterHint : 0
; COMPUTE_PGM_RSRC2:SCRATCH_EN: 0
; COMPUTE_PGM_RSRC2:USER_SGPR: 15
; COMPUTE_PGM_RSRC2:TRAP_HANDLER: 0
; COMPUTE_PGM_RSRC2:TGID_X_EN: 1
; COMPUTE_PGM_RSRC2:TGID_Y_EN: 0
; COMPUTE_PGM_RSRC2:TGID_Z_EN: 0
; COMPUTE_PGM_RSRC2:TIDIG_COMP_CNT: 0
	.section	.text._ZN7rocprim17ROCPRIM_400000_NS6detail17trampoline_kernelINS0_14default_configENS1_35adjacent_difference_config_selectorILb0ExEEZNS1_24adjacent_difference_implIS3_Lb0ELb0EPKxPxN6thrust23THRUST_200600_302600_NS4plusIxEEEE10hipError_tPvRmT2_T3_mT4_P12ihipStream_tbEUlT_E_NS1_11comp_targetILNS1_3genE10ELNS1_11target_archE1201ELNS1_3gpuE5ELNS1_3repE0EEENS1_30default_config_static_selectorELNS0_4arch9wavefront6targetE0EEEvT1_,"axG",@progbits,_ZN7rocprim17ROCPRIM_400000_NS6detail17trampoline_kernelINS0_14default_configENS1_35adjacent_difference_config_selectorILb0ExEEZNS1_24adjacent_difference_implIS3_Lb0ELb0EPKxPxN6thrust23THRUST_200600_302600_NS4plusIxEEEE10hipError_tPvRmT2_T3_mT4_P12ihipStream_tbEUlT_E_NS1_11comp_targetILNS1_3genE10ELNS1_11target_archE1201ELNS1_3gpuE5ELNS1_3repE0EEENS1_30default_config_static_selectorELNS0_4arch9wavefront6targetE0EEEvT1_,comdat
	.protected	_ZN7rocprim17ROCPRIM_400000_NS6detail17trampoline_kernelINS0_14default_configENS1_35adjacent_difference_config_selectorILb0ExEEZNS1_24adjacent_difference_implIS3_Lb0ELb0EPKxPxN6thrust23THRUST_200600_302600_NS4plusIxEEEE10hipError_tPvRmT2_T3_mT4_P12ihipStream_tbEUlT_E_NS1_11comp_targetILNS1_3genE10ELNS1_11target_archE1201ELNS1_3gpuE5ELNS1_3repE0EEENS1_30default_config_static_selectorELNS0_4arch9wavefront6targetE0EEEvT1_ ; -- Begin function _ZN7rocprim17ROCPRIM_400000_NS6detail17trampoline_kernelINS0_14default_configENS1_35adjacent_difference_config_selectorILb0ExEEZNS1_24adjacent_difference_implIS3_Lb0ELb0EPKxPxN6thrust23THRUST_200600_302600_NS4plusIxEEEE10hipError_tPvRmT2_T3_mT4_P12ihipStream_tbEUlT_E_NS1_11comp_targetILNS1_3genE10ELNS1_11target_archE1201ELNS1_3gpuE5ELNS1_3repE0EEENS1_30default_config_static_selectorELNS0_4arch9wavefront6targetE0EEEvT1_
	.globl	_ZN7rocprim17ROCPRIM_400000_NS6detail17trampoline_kernelINS0_14default_configENS1_35adjacent_difference_config_selectorILb0ExEEZNS1_24adjacent_difference_implIS3_Lb0ELb0EPKxPxN6thrust23THRUST_200600_302600_NS4plusIxEEEE10hipError_tPvRmT2_T3_mT4_P12ihipStream_tbEUlT_E_NS1_11comp_targetILNS1_3genE10ELNS1_11target_archE1201ELNS1_3gpuE5ELNS1_3repE0EEENS1_30default_config_static_selectorELNS0_4arch9wavefront6targetE0EEEvT1_
	.p2align	8
	.type	_ZN7rocprim17ROCPRIM_400000_NS6detail17trampoline_kernelINS0_14default_configENS1_35adjacent_difference_config_selectorILb0ExEEZNS1_24adjacent_difference_implIS3_Lb0ELb0EPKxPxN6thrust23THRUST_200600_302600_NS4plusIxEEEE10hipError_tPvRmT2_T3_mT4_P12ihipStream_tbEUlT_E_NS1_11comp_targetILNS1_3genE10ELNS1_11target_archE1201ELNS1_3gpuE5ELNS1_3repE0EEENS1_30default_config_static_selectorELNS0_4arch9wavefront6targetE0EEEvT1_,@function
_ZN7rocprim17ROCPRIM_400000_NS6detail17trampoline_kernelINS0_14default_configENS1_35adjacent_difference_config_selectorILb0ExEEZNS1_24adjacent_difference_implIS3_Lb0ELb0EPKxPxN6thrust23THRUST_200600_302600_NS4plusIxEEEE10hipError_tPvRmT2_T3_mT4_P12ihipStream_tbEUlT_E_NS1_11comp_targetILNS1_3genE10ELNS1_11target_archE1201ELNS1_3gpuE5ELNS1_3repE0EEENS1_30default_config_static_selectorELNS0_4arch9wavefront6targetE0EEEvT1_: ; @_ZN7rocprim17ROCPRIM_400000_NS6detail17trampoline_kernelINS0_14default_configENS1_35adjacent_difference_config_selectorILb0ExEEZNS1_24adjacent_difference_implIS3_Lb0ELb0EPKxPxN6thrust23THRUST_200600_302600_NS4plusIxEEEE10hipError_tPvRmT2_T3_mT4_P12ihipStream_tbEUlT_E_NS1_11comp_targetILNS1_3genE10ELNS1_11target_archE1201ELNS1_3gpuE5ELNS1_3repE0EEENS1_30default_config_static_selectorELNS0_4arch9wavefront6targetE0EEEvT1_
; %bb.0:
	.section	.rodata,"a",@progbits
	.p2align	6, 0x0
	.amdhsa_kernel _ZN7rocprim17ROCPRIM_400000_NS6detail17trampoline_kernelINS0_14default_configENS1_35adjacent_difference_config_selectorILb0ExEEZNS1_24adjacent_difference_implIS3_Lb0ELb0EPKxPxN6thrust23THRUST_200600_302600_NS4plusIxEEEE10hipError_tPvRmT2_T3_mT4_P12ihipStream_tbEUlT_E_NS1_11comp_targetILNS1_3genE10ELNS1_11target_archE1201ELNS1_3gpuE5ELNS1_3repE0EEENS1_30default_config_static_selectorELNS0_4arch9wavefront6targetE0EEEvT1_
		.amdhsa_group_segment_fixed_size 0
		.amdhsa_private_segment_fixed_size 0
		.amdhsa_kernarg_size 56
		.amdhsa_user_sgpr_count 15
		.amdhsa_user_sgpr_dispatch_ptr 0
		.amdhsa_user_sgpr_queue_ptr 0
		.amdhsa_user_sgpr_kernarg_segment_ptr 1
		.amdhsa_user_sgpr_dispatch_id 0
		.amdhsa_user_sgpr_private_segment_size 0
		.amdhsa_wavefront_size32 1
		.amdhsa_uses_dynamic_stack 0
		.amdhsa_enable_private_segment 0
		.amdhsa_system_sgpr_workgroup_id_x 1
		.amdhsa_system_sgpr_workgroup_id_y 0
		.amdhsa_system_sgpr_workgroup_id_z 0
		.amdhsa_system_sgpr_workgroup_info 0
		.amdhsa_system_vgpr_workitem_id 0
		.amdhsa_next_free_vgpr 1
		.amdhsa_next_free_sgpr 1
		.amdhsa_reserve_vcc 0
		.amdhsa_float_round_mode_32 0
		.amdhsa_float_round_mode_16_64 0
		.amdhsa_float_denorm_mode_32 3
		.amdhsa_float_denorm_mode_16_64 3
		.amdhsa_dx10_clamp 1
		.amdhsa_ieee_mode 1
		.amdhsa_fp16_overflow 0
		.amdhsa_workgroup_processor_mode 1
		.amdhsa_memory_ordered 1
		.amdhsa_forward_progress 0
		.amdhsa_shared_vgpr_count 0
		.amdhsa_exception_fp_ieee_invalid_op 0
		.amdhsa_exception_fp_denorm_src 0
		.amdhsa_exception_fp_ieee_div_zero 0
		.amdhsa_exception_fp_ieee_overflow 0
		.amdhsa_exception_fp_ieee_underflow 0
		.amdhsa_exception_fp_ieee_inexact 0
		.amdhsa_exception_int_div_zero 0
	.end_amdhsa_kernel
	.section	.text._ZN7rocprim17ROCPRIM_400000_NS6detail17trampoline_kernelINS0_14default_configENS1_35adjacent_difference_config_selectorILb0ExEEZNS1_24adjacent_difference_implIS3_Lb0ELb0EPKxPxN6thrust23THRUST_200600_302600_NS4plusIxEEEE10hipError_tPvRmT2_T3_mT4_P12ihipStream_tbEUlT_E_NS1_11comp_targetILNS1_3genE10ELNS1_11target_archE1201ELNS1_3gpuE5ELNS1_3repE0EEENS1_30default_config_static_selectorELNS0_4arch9wavefront6targetE0EEEvT1_,"axG",@progbits,_ZN7rocprim17ROCPRIM_400000_NS6detail17trampoline_kernelINS0_14default_configENS1_35adjacent_difference_config_selectorILb0ExEEZNS1_24adjacent_difference_implIS3_Lb0ELb0EPKxPxN6thrust23THRUST_200600_302600_NS4plusIxEEEE10hipError_tPvRmT2_T3_mT4_P12ihipStream_tbEUlT_E_NS1_11comp_targetILNS1_3genE10ELNS1_11target_archE1201ELNS1_3gpuE5ELNS1_3repE0EEENS1_30default_config_static_selectorELNS0_4arch9wavefront6targetE0EEEvT1_,comdat
.Lfunc_end699:
	.size	_ZN7rocprim17ROCPRIM_400000_NS6detail17trampoline_kernelINS0_14default_configENS1_35adjacent_difference_config_selectorILb0ExEEZNS1_24adjacent_difference_implIS3_Lb0ELb0EPKxPxN6thrust23THRUST_200600_302600_NS4plusIxEEEE10hipError_tPvRmT2_T3_mT4_P12ihipStream_tbEUlT_E_NS1_11comp_targetILNS1_3genE10ELNS1_11target_archE1201ELNS1_3gpuE5ELNS1_3repE0EEENS1_30default_config_static_selectorELNS0_4arch9wavefront6targetE0EEEvT1_, .Lfunc_end699-_ZN7rocprim17ROCPRIM_400000_NS6detail17trampoline_kernelINS0_14default_configENS1_35adjacent_difference_config_selectorILb0ExEEZNS1_24adjacent_difference_implIS3_Lb0ELb0EPKxPxN6thrust23THRUST_200600_302600_NS4plusIxEEEE10hipError_tPvRmT2_T3_mT4_P12ihipStream_tbEUlT_E_NS1_11comp_targetILNS1_3genE10ELNS1_11target_archE1201ELNS1_3gpuE5ELNS1_3repE0EEENS1_30default_config_static_selectorELNS0_4arch9wavefront6targetE0EEEvT1_
                                        ; -- End function
	.section	.AMDGPU.csdata,"",@progbits
; Kernel info:
; codeLenInByte = 0
; NumSgprs: 0
; NumVgprs: 0
; ScratchSize: 0
; MemoryBound: 0
; FloatMode: 240
; IeeeMode: 1
; LDSByteSize: 0 bytes/workgroup (compile time only)
; SGPRBlocks: 0
; VGPRBlocks: 0
; NumSGPRsForWavesPerEU: 1
; NumVGPRsForWavesPerEU: 1
; Occupancy: 16
; WaveLimiterHint : 0
; COMPUTE_PGM_RSRC2:SCRATCH_EN: 0
; COMPUTE_PGM_RSRC2:USER_SGPR: 15
; COMPUTE_PGM_RSRC2:TRAP_HANDLER: 0
; COMPUTE_PGM_RSRC2:TGID_X_EN: 1
; COMPUTE_PGM_RSRC2:TGID_Y_EN: 0
; COMPUTE_PGM_RSRC2:TGID_Z_EN: 0
; COMPUTE_PGM_RSRC2:TIDIG_COMP_CNT: 0
	.section	.text._ZN7rocprim17ROCPRIM_400000_NS6detail17trampoline_kernelINS0_14default_configENS1_35adjacent_difference_config_selectorILb0ExEEZNS1_24adjacent_difference_implIS3_Lb0ELb0EPKxPxN6thrust23THRUST_200600_302600_NS4plusIxEEEE10hipError_tPvRmT2_T3_mT4_P12ihipStream_tbEUlT_E_NS1_11comp_targetILNS1_3genE5ELNS1_11target_archE942ELNS1_3gpuE9ELNS1_3repE0EEENS1_30default_config_static_selectorELNS0_4arch9wavefront6targetE0EEEvT1_,"axG",@progbits,_ZN7rocprim17ROCPRIM_400000_NS6detail17trampoline_kernelINS0_14default_configENS1_35adjacent_difference_config_selectorILb0ExEEZNS1_24adjacent_difference_implIS3_Lb0ELb0EPKxPxN6thrust23THRUST_200600_302600_NS4plusIxEEEE10hipError_tPvRmT2_T3_mT4_P12ihipStream_tbEUlT_E_NS1_11comp_targetILNS1_3genE5ELNS1_11target_archE942ELNS1_3gpuE9ELNS1_3repE0EEENS1_30default_config_static_selectorELNS0_4arch9wavefront6targetE0EEEvT1_,comdat
	.protected	_ZN7rocprim17ROCPRIM_400000_NS6detail17trampoline_kernelINS0_14default_configENS1_35adjacent_difference_config_selectorILb0ExEEZNS1_24adjacent_difference_implIS3_Lb0ELb0EPKxPxN6thrust23THRUST_200600_302600_NS4plusIxEEEE10hipError_tPvRmT2_T3_mT4_P12ihipStream_tbEUlT_E_NS1_11comp_targetILNS1_3genE5ELNS1_11target_archE942ELNS1_3gpuE9ELNS1_3repE0EEENS1_30default_config_static_selectorELNS0_4arch9wavefront6targetE0EEEvT1_ ; -- Begin function _ZN7rocprim17ROCPRIM_400000_NS6detail17trampoline_kernelINS0_14default_configENS1_35adjacent_difference_config_selectorILb0ExEEZNS1_24adjacent_difference_implIS3_Lb0ELb0EPKxPxN6thrust23THRUST_200600_302600_NS4plusIxEEEE10hipError_tPvRmT2_T3_mT4_P12ihipStream_tbEUlT_E_NS1_11comp_targetILNS1_3genE5ELNS1_11target_archE942ELNS1_3gpuE9ELNS1_3repE0EEENS1_30default_config_static_selectorELNS0_4arch9wavefront6targetE0EEEvT1_
	.globl	_ZN7rocprim17ROCPRIM_400000_NS6detail17trampoline_kernelINS0_14default_configENS1_35adjacent_difference_config_selectorILb0ExEEZNS1_24adjacent_difference_implIS3_Lb0ELb0EPKxPxN6thrust23THRUST_200600_302600_NS4plusIxEEEE10hipError_tPvRmT2_T3_mT4_P12ihipStream_tbEUlT_E_NS1_11comp_targetILNS1_3genE5ELNS1_11target_archE942ELNS1_3gpuE9ELNS1_3repE0EEENS1_30default_config_static_selectorELNS0_4arch9wavefront6targetE0EEEvT1_
	.p2align	8
	.type	_ZN7rocprim17ROCPRIM_400000_NS6detail17trampoline_kernelINS0_14default_configENS1_35adjacent_difference_config_selectorILb0ExEEZNS1_24adjacent_difference_implIS3_Lb0ELb0EPKxPxN6thrust23THRUST_200600_302600_NS4plusIxEEEE10hipError_tPvRmT2_T3_mT4_P12ihipStream_tbEUlT_E_NS1_11comp_targetILNS1_3genE5ELNS1_11target_archE942ELNS1_3gpuE9ELNS1_3repE0EEENS1_30default_config_static_selectorELNS0_4arch9wavefront6targetE0EEEvT1_,@function
_ZN7rocprim17ROCPRIM_400000_NS6detail17trampoline_kernelINS0_14default_configENS1_35adjacent_difference_config_selectorILb0ExEEZNS1_24adjacent_difference_implIS3_Lb0ELb0EPKxPxN6thrust23THRUST_200600_302600_NS4plusIxEEEE10hipError_tPvRmT2_T3_mT4_P12ihipStream_tbEUlT_E_NS1_11comp_targetILNS1_3genE5ELNS1_11target_archE942ELNS1_3gpuE9ELNS1_3repE0EEENS1_30default_config_static_selectorELNS0_4arch9wavefront6targetE0EEEvT1_: ; @_ZN7rocprim17ROCPRIM_400000_NS6detail17trampoline_kernelINS0_14default_configENS1_35adjacent_difference_config_selectorILb0ExEEZNS1_24adjacent_difference_implIS3_Lb0ELb0EPKxPxN6thrust23THRUST_200600_302600_NS4plusIxEEEE10hipError_tPvRmT2_T3_mT4_P12ihipStream_tbEUlT_E_NS1_11comp_targetILNS1_3genE5ELNS1_11target_archE942ELNS1_3gpuE9ELNS1_3repE0EEENS1_30default_config_static_selectorELNS0_4arch9wavefront6targetE0EEEvT1_
; %bb.0:
	.section	.rodata,"a",@progbits
	.p2align	6, 0x0
	.amdhsa_kernel _ZN7rocprim17ROCPRIM_400000_NS6detail17trampoline_kernelINS0_14default_configENS1_35adjacent_difference_config_selectorILb0ExEEZNS1_24adjacent_difference_implIS3_Lb0ELb0EPKxPxN6thrust23THRUST_200600_302600_NS4plusIxEEEE10hipError_tPvRmT2_T3_mT4_P12ihipStream_tbEUlT_E_NS1_11comp_targetILNS1_3genE5ELNS1_11target_archE942ELNS1_3gpuE9ELNS1_3repE0EEENS1_30default_config_static_selectorELNS0_4arch9wavefront6targetE0EEEvT1_
		.amdhsa_group_segment_fixed_size 0
		.amdhsa_private_segment_fixed_size 0
		.amdhsa_kernarg_size 56
		.amdhsa_user_sgpr_count 15
		.amdhsa_user_sgpr_dispatch_ptr 0
		.amdhsa_user_sgpr_queue_ptr 0
		.amdhsa_user_sgpr_kernarg_segment_ptr 1
		.amdhsa_user_sgpr_dispatch_id 0
		.amdhsa_user_sgpr_private_segment_size 0
		.amdhsa_wavefront_size32 1
		.amdhsa_uses_dynamic_stack 0
		.amdhsa_enable_private_segment 0
		.amdhsa_system_sgpr_workgroup_id_x 1
		.amdhsa_system_sgpr_workgroup_id_y 0
		.amdhsa_system_sgpr_workgroup_id_z 0
		.amdhsa_system_sgpr_workgroup_info 0
		.amdhsa_system_vgpr_workitem_id 0
		.amdhsa_next_free_vgpr 1
		.amdhsa_next_free_sgpr 1
		.amdhsa_reserve_vcc 0
		.amdhsa_float_round_mode_32 0
		.amdhsa_float_round_mode_16_64 0
		.amdhsa_float_denorm_mode_32 3
		.amdhsa_float_denorm_mode_16_64 3
		.amdhsa_dx10_clamp 1
		.amdhsa_ieee_mode 1
		.amdhsa_fp16_overflow 0
		.amdhsa_workgroup_processor_mode 1
		.amdhsa_memory_ordered 1
		.amdhsa_forward_progress 0
		.amdhsa_shared_vgpr_count 0
		.amdhsa_exception_fp_ieee_invalid_op 0
		.amdhsa_exception_fp_denorm_src 0
		.amdhsa_exception_fp_ieee_div_zero 0
		.amdhsa_exception_fp_ieee_overflow 0
		.amdhsa_exception_fp_ieee_underflow 0
		.amdhsa_exception_fp_ieee_inexact 0
		.amdhsa_exception_int_div_zero 0
	.end_amdhsa_kernel
	.section	.text._ZN7rocprim17ROCPRIM_400000_NS6detail17trampoline_kernelINS0_14default_configENS1_35adjacent_difference_config_selectorILb0ExEEZNS1_24adjacent_difference_implIS3_Lb0ELb0EPKxPxN6thrust23THRUST_200600_302600_NS4plusIxEEEE10hipError_tPvRmT2_T3_mT4_P12ihipStream_tbEUlT_E_NS1_11comp_targetILNS1_3genE5ELNS1_11target_archE942ELNS1_3gpuE9ELNS1_3repE0EEENS1_30default_config_static_selectorELNS0_4arch9wavefront6targetE0EEEvT1_,"axG",@progbits,_ZN7rocprim17ROCPRIM_400000_NS6detail17trampoline_kernelINS0_14default_configENS1_35adjacent_difference_config_selectorILb0ExEEZNS1_24adjacent_difference_implIS3_Lb0ELb0EPKxPxN6thrust23THRUST_200600_302600_NS4plusIxEEEE10hipError_tPvRmT2_T3_mT4_P12ihipStream_tbEUlT_E_NS1_11comp_targetILNS1_3genE5ELNS1_11target_archE942ELNS1_3gpuE9ELNS1_3repE0EEENS1_30default_config_static_selectorELNS0_4arch9wavefront6targetE0EEEvT1_,comdat
.Lfunc_end700:
	.size	_ZN7rocprim17ROCPRIM_400000_NS6detail17trampoline_kernelINS0_14default_configENS1_35adjacent_difference_config_selectorILb0ExEEZNS1_24adjacent_difference_implIS3_Lb0ELb0EPKxPxN6thrust23THRUST_200600_302600_NS4plusIxEEEE10hipError_tPvRmT2_T3_mT4_P12ihipStream_tbEUlT_E_NS1_11comp_targetILNS1_3genE5ELNS1_11target_archE942ELNS1_3gpuE9ELNS1_3repE0EEENS1_30default_config_static_selectorELNS0_4arch9wavefront6targetE0EEEvT1_, .Lfunc_end700-_ZN7rocprim17ROCPRIM_400000_NS6detail17trampoline_kernelINS0_14default_configENS1_35adjacent_difference_config_selectorILb0ExEEZNS1_24adjacent_difference_implIS3_Lb0ELb0EPKxPxN6thrust23THRUST_200600_302600_NS4plusIxEEEE10hipError_tPvRmT2_T3_mT4_P12ihipStream_tbEUlT_E_NS1_11comp_targetILNS1_3genE5ELNS1_11target_archE942ELNS1_3gpuE9ELNS1_3repE0EEENS1_30default_config_static_selectorELNS0_4arch9wavefront6targetE0EEEvT1_
                                        ; -- End function
	.section	.AMDGPU.csdata,"",@progbits
; Kernel info:
; codeLenInByte = 0
; NumSgprs: 0
; NumVgprs: 0
; ScratchSize: 0
; MemoryBound: 0
; FloatMode: 240
; IeeeMode: 1
; LDSByteSize: 0 bytes/workgroup (compile time only)
; SGPRBlocks: 0
; VGPRBlocks: 0
; NumSGPRsForWavesPerEU: 1
; NumVGPRsForWavesPerEU: 1
; Occupancy: 16
; WaveLimiterHint : 0
; COMPUTE_PGM_RSRC2:SCRATCH_EN: 0
; COMPUTE_PGM_RSRC2:USER_SGPR: 15
; COMPUTE_PGM_RSRC2:TRAP_HANDLER: 0
; COMPUTE_PGM_RSRC2:TGID_X_EN: 1
; COMPUTE_PGM_RSRC2:TGID_Y_EN: 0
; COMPUTE_PGM_RSRC2:TGID_Z_EN: 0
; COMPUTE_PGM_RSRC2:TIDIG_COMP_CNT: 0
	.section	.text._ZN7rocprim17ROCPRIM_400000_NS6detail17trampoline_kernelINS0_14default_configENS1_35adjacent_difference_config_selectorILb0ExEEZNS1_24adjacent_difference_implIS3_Lb0ELb0EPKxPxN6thrust23THRUST_200600_302600_NS4plusIxEEEE10hipError_tPvRmT2_T3_mT4_P12ihipStream_tbEUlT_E_NS1_11comp_targetILNS1_3genE4ELNS1_11target_archE910ELNS1_3gpuE8ELNS1_3repE0EEENS1_30default_config_static_selectorELNS0_4arch9wavefront6targetE0EEEvT1_,"axG",@progbits,_ZN7rocprim17ROCPRIM_400000_NS6detail17trampoline_kernelINS0_14default_configENS1_35adjacent_difference_config_selectorILb0ExEEZNS1_24adjacent_difference_implIS3_Lb0ELb0EPKxPxN6thrust23THRUST_200600_302600_NS4plusIxEEEE10hipError_tPvRmT2_T3_mT4_P12ihipStream_tbEUlT_E_NS1_11comp_targetILNS1_3genE4ELNS1_11target_archE910ELNS1_3gpuE8ELNS1_3repE0EEENS1_30default_config_static_selectorELNS0_4arch9wavefront6targetE0EEEvT1_,comdat
	.protected	_ZN7rocprim17ROCPRIM_400000_NS6detail17trampoline_kernelINS0_14default_configENS1_35adjacent_difference_config_selectorILb0ExEEZNS1_24adjacent_difference_implIS3_Lb0ELb0EPKxPxN6thrust23THRUST_200600_302600_NS4plusIxEEEE10hipError_tPvRmT2_T3_mT4_P12ihipStream_tbEUlT_E_NS1_11comp_targetILNS1_3genE4ELNS1_11target_archE910ELNS1_3gpuE8ELNS1_3repE0EEENS1_30default_config_static_selectorELNS0_4arch9wavefront6targetE0EEEvT1_ ; -- Begin function _ZN7rocprim17ROCPRIM_400000_NS6detail17trampoline_kernelINS0_14default_configENS1_35adjacent_difference_config_selectorILb0ExEEZNS1_24adjacent_difference_implIS3_Lb0ELb0EPKxPxN6thrust23THRUST_200600_302600_NS4plusIxEEEE10hipError_tPvRmT2_T3_mT4_P12ihipStream_tbEUlT_E_NS1_11comp_targetILNS1_3genE4ELNS1_11target_archE910ELNS1_3gpuE8ELNS1_3repE0EEENS1_30default_config_static_selectorELNS0_4arch9wavefront6targetE0EEEvT1_
	.globl	_ZN7rocprim17ROCPRIM_400000_NS6detail17trampoline_kernelINS0_14default_configENS1_35adjacent_difference_config_selectorILb0ExEEZNS1_24adjacent_difference_implIS3_Lb0ELb0EPKxPxN6thrust23THRUST_200600_302600_NS4plusIxEEEE10hipError_tPvRmT2_T3_mT4_P12ihipStream_tbEUlT_E_NS1_11comp_targetILNS1_3genE4ELNS1_11target_archE910ELNS1_3gpuE8ELNS1_3repE0EEENS1_30default_config_static_selectorELNS0_4arch9wavefront6targetE0EEEvT1_
	.p2align	8
	.type	_ZN7rocprim17ROCPRIM_400000_NS6detail17trampoline_kernelINS0_14default_configENS1_35adjacent_difference_config_selectorILb0ExEEZNS1_24adjacent_difference_implIS3_Lb0ELb0EPKxPxN6thrust23THRUST_200600_302600_NS4plusIxEEEE10hipError_tPvRmT2_T3_mT4_P12ihipStream_tbEUlT_E_NS1_11comp_targetILNS1_3genE4ELNS1_11target_archE910ELNS1_3gpuE8ELNS1_3repE0EEENS1_30default_config_static_selectorELNS0_4arch9wavefront6targetE0EEEvT1_,@function
_ZN7rocprim17ROCPRIM_400000_NS6detail17trampoline_kernelINS0_14default_configENS1_35adjacent_difference_config_selectorILb0ExEEZNS1_24adjacent_difference_implIS3_Lb0ELb0EPKxPxN6thrust23THRUST_200600_302600_NS4plusIxEEEE10hipError_tPvRmT2_T3_mT4_P12ihipStream_tbEUlT_E_NS1_11comp_targetILNS1_3genE4ELNS1_11target_archE910ELNS1_3gpuE8ELNS1_3repE0EEENS1_30default_config_static_selectorELNS0_4arch9wavefront6targetE0EEEvT1_: ; @_ZN7rocprim17ROCPRIM_400000_NS6detail17trampoline_kernelINS0_14default_configENS1_35adjacent_difference_config_selectorILb0ExEEZNS1_24adjacent_difference_implIS3_Lb0ELb0EPKxPxN6thrust23THRUST_200600_302600_NS4plusIxEEEE10hipError_tPvRmT2_T3_mT4_P12ihipStream_tbEUlT_E_NS1_11comp_targetILNS1_3genE4ELNS1_11target_archE910ELNS1_3gpuE8ELNS1_3repE0EEENS1_30default_config_static_selectorELNS0_4arch9wavefront6targetE0EEEvT1_
; %bb.0:
	.section	.rodata,"a",@progbits
	.p2align	6, 0x0
	.amdhsa_kernel _ZN7rocprim17ROCPRIM_400000_NS6detail17trampoline_kernelINS0_14default_configENS1_35adjacent_difference_config_selectorILb0ExEEZNS1_24adjacent_difference_implIS3_Lb0ELb0EPKxPxN6thrust23THRUST_200600_302600_NS4plusIxEEEE10hipError_tPvRmT2_T3_mT4_P12ihipStream_tbEUlT_E_NS1_11comp_targetILNS1_3genE4ELNS1_11target_archE910ELNS1_3gpuE8ELNS1_3repE0EEENS1_30default_config_static_selectorELNS0_4arch9wavefront6targetE0EEEvT1_
		.amdhsa_group_segment_fixed_size 0
		.amdhsa_private_segment_fixed_size 0
		.amdhsa_kernarg_size 56
		.amdhsa_user_sgpr_count 15
		.amdhsa_user_sgpr_dispatch_ptr 0
		.amdhsa_user_sgpr_queue_ptr 0
		.amdhsa_user_sgpr_kernarg_segment_ptr 1
		.amdhsa_user_sgpr_dispatch_id 0
		.amdhsa_user_sgpr_private_segment_size 0
		.amdhsa_wavefront_size32 1
		.amdhsa_uses_dynamic_stack 0
		.amdhsa_enable_private_segment 0
		.amdhsa_system_sgpr_workgroup_id_x 1
		.amdhsa_system_sgpr_workgroup_id_y 0
		.amdhsa_system_sgpr_workgroup_id_z 0
		.amdhsa_system_sgpr_workgroup_info 0
		.amdhsa_system_vgpr_workitem_id 0
		.amdhsa_next_free_vgpr 1
		.amdhsa_next_free_sgpr 1
		.amdhsa_reserve_vcc 0
		.amdhsa_float_round_mode_32 0
		.amdhsa_float_round_mode_16_64 0
		.amdhsa_float_denorm_mode_32 3
		.amdhsa_float_denorm_mode_16_64 3
		.amdhsa_dx10_clamp 1
		.amdhsa_ieee_mode 1
		.amdhsa_fp16_overflow 0
		.amdhsa_workgroup_processor_mode 1
		.amdhsa_memory_ordered 1
		.amdhsa_forward_progress 0
		.amdhsa_shared_vgpr_count 0
		.amdhsa_exception_fp_ieee_invalid_op 0
		.amdhsa_exception_fp_denorm_src 0
		.amdhsa_exception_fp_ieee_div_zero 0
		.amdhsa_exception_fp_ieee_overflow 0
		.amdhsa_exception_fp_ieee_underflow 0
		.amdhsa_exception_fp_ieee_inexact 0
		.amdhsa_exception_int_div_zero 0
	.end_amdhsa_kernel
	.section	.text._ZN7rocprim17ROCPRIM_400000_NS6detail17trampoline_kernelINS0_14default_configENS1_35adjacent_difference_config_selectorILb0ExEEZNS1_24adjacent_difference_implIS3_Lb0ELb0EPKxPxN6thrust23THRUST_200600_302600_NS4plusIxEEEE10hipError_tPvRmT2_T3_mT4_P12ihipStream_tbEUlT_E_NS1_11comp_targetILNS1_3genE4ELNS1_11target_archE910ELNS1_3gpuE8ELNS1_3repE0EEENS1_30default_config_static_selectorELNS0_4arch9wavefront6targetE0EEEvT1_,"axG",@progbits,_ZN7rocprim17ROCPRIM_400000_NS6detail17trampoline_kernelINS0_14default_configENS1_35adjacent_difference_config_selectorILb0ExEEZNS1_24adjacent_difference_implIS3_Lb0ELb0EPKxPxN6thrust23THRUST_200600_302600_NS4plusIxEEEE10hipError_tPvRmT2_T3_mT4_P12ihipStream_tbEUlT_E_NS1_11comp_targetILNS1_3genE4ELNS1_11target_archE910ELNS1_3gpuE8ELNS1_3repE0EEENS1_30default_config_static_selectorELNS0_4arch9wavefront6targetE0EEEvT1_,comdat
.Lfunc_end701:
	.size	_ZN7rocprim17ROCPRIM_400000_NS6detail17trampoline_kernelINS0_14default_configENS1_35adjacent_difference_config_selectorILb0ExEEZNS1_24adjacent_difference_implIS3_Lb0ELb0EPKxPxN6thrust23THRUST_200600_302600_NS4plusIxEEEE10hipError_tPvRmT2_T3_mT4_P12ihipStream_tbEUlT_E_NS1_11comp_targetILNS1_3genE4ELNS1_11target_archE910ELNS1_3gpuE8ELNS1_3repE0EEENS1_30default_config_static_selectorELNS0_4arch9wavefront6targetE0EEEvT1_, .Lfunc_end701-_ZN7rocprim17ROCPRIM_400000_NS6detail17trampoline_kernelINS0_14default_configENS1_35adjacent_difference_config_selectorILb0ExEEZNS1_24adjacent_difference_implIS3_Lb0ELb0EPKxPxN6thrust23THRUST_200600_302600_NS4plusIxEEEE10hipError_tPvRmT2_T3_mT4_P12ihipStream_tbEUlT_E_NS1_11comp_targetILNS1_3genE4ELNS1_11target_archE910ELNS1_3gpuE8ELNS1_3repE0EEENS1_30default_config_static_selectorELNS0_4arch9wavefront6targetE0EEEvT1_
                                        ; -- End function
	.section	.AMDGPU.csdata,"",@progbits
; Kernel info:
; codeLenInByte = 0
; NumSgprs: 0
; NumVgprs: 0
; ScratchSize: 0
; MemoryBound: 0
; FloatMode: 240
; IeeeMode: 1
; LDSByteSize: 0 bytes/workgroup (compile time only)
; SGPRBlocks: 0
; VGPRBlocks: 0
; NumSGPRsForWavesPerEU: 1
; NumVGPRsForWavesPerEU: 1
; Occupancy: 16
; WaveLimiterHint : 0
; COMPUTE_PGM_RSRC2:SCRATCH_EN: 0
; COMPUTE_PGM_RSRC2:USER_SGPR: 15
; COMPUTE_PGM_RSRC2:TRAP_HANDLER: 0
; COMPUTE_PGM_RSRC2:TGID_X_EN: 1
; COMPUTE_PGM_RSRC2:TGID_Y_EN: 0
; COMPUTE_PGM_RSRC2:TGID_Z_EN: 0
; COMPUTE_PGM_RSRC2:TIDIG_COMP_CNT: 0
	.section	.text._ZN7rocprim17ROCPRIM_400000_NS6detail17trampoline_kernelINS0_14default_configENS1_35adjacent_difference_config_selectorILb0ExEEZNS1_24adjacent_difference_implIS3_Lb0ELb0EPKxPxN6thrust23THRUST_200600_302600_NS4plusIxEEEE10hipError_tPvRmT2_T3_mT4_P12ihipStream_tbEUlT_E_NS1_11comp_targetILNS1_3genE3ELNS1_11target_archE908ELNS1_3gpuE7ELNS1_3repE0EEENS1_30default_config_static_selectorELNS0_4arch9wavefront6targetE0EEEvT1_,"axG",@progbits,_ZN7rocprim17ROCPRIM_400000_NS6detail17trampoline_kernelINS0_14default_configENS1_35adjacent_difference_config_selectorILb0ExEEZNS1_24adjacent_difference_implIS3_Lb0ELb0EPKxPxN6thrust23THRUST_200600_302600_NS4plusIxEEEE10hipError_tPvRmT2_T3_mT4_P12ihipStream_tbEUlT_E_NS1_11comp_targetILNS1_3genE3ELNS1_11target_archE908ELNS1_3gpuE7ELNS1_3repE0EEENS1_30default_config_static_selectorELNS0_4arch9wavefront6targetE0EEEvT1_,comdat
	.protected	_ZN7rocprim17ROCPRIM_400000_NS6detail17trampoline_kernelINS0_14default_configENS1_35adjacent_difference_config_selectorILb0ExEEZNS1_24adjacent_difference_implIS3_Lb0ELb0EPKxPxN6thrust23THRUST_200600_302600_NS4plusIxEEEE10hipError_tPvRmT2_T3_mT4_P12ihipStream_tbEUlT_E_NS1_11comp_targetILNS1_3genE3ELNS1_11target_archE908ELNS1_3gpuE7ELNS1_3repE0EEENS1_30default_config_static_selectorELNS0_4arch9wavefront6targetE0EEEvT1_ ; -- Begin function _ZN7rocprim17ROCPRIM_400000_NS6detail17trampoline_kernelINS0_14default_configENS1_35adjacent_difference_config_selectorILb0ExEEZNS1_24adjacent_difference_implIS3_Lb0ELb0EPKxPxN6thrust23THRUST_200600_302600_NS4plusIxEEEE10hipError_tPvRmT2_T3_mT4_P12ihipStream_tbEUlT_E_NS1_11comp_targetILNS1_3genE3ELNS1_11target_archE908ELNS1_3gpuE7ELNS1_3repE0EEENS1_30default_config_static_selectorELNS0_4arch9wavefront6targetE0EEEvT1_
	.globl	_ZN7rocprim17ROCPRIM_400000_NS6detail17trampoline_kernelINS0_14default_configENS1_35adjacent_difference_config_selectorILb0ExEEZNS1_24adjacent_difference_implIS3_Lb0ELb0EPKxPxN6thrust23THRUST_200600_302600_NS4plusIxEEEE10hipError_tPvRmT2_T3_mT4_P12ihipStream_tbEUlT_E_NS1_11comp_targetILNS1_3genE3ELNS1_11target_archE908ELNS1_3gpuE7ELNS1_3repE0EEENS1_30default_config_static_selectorELNS0_4arch9wavefront6targetE0EEEvT1_
	.p2align	8
	.type	_ZN7rocprim17ROCPRIM_400000_NS6detail17trampoline_kernelINS0_14default_configENS1_35adjacent_difference_config_selectorILb0ExEEZNS1_24adjacent_difference_implIS3_Lb0ELb0EPKxPxN6thrust23THRUST_200600_302600_NS4plusIxEEEE10hipError_tPvRmT2_T3_mT4_P12ihipStream_tbEUlT_E_NS1_11comp_targetILNS1_3genE3ELNS1_11target_archE908ELNS1_3gpuE7ELNS1_3repE0EEENS1_30default_config_static_selectorELNS0_4arch9wavefront6targetE0EEEvT1_,@function
_ZN7rocprim17ROCPRIM_400000_NS6detail17trampoline_kernelINS0_14default_configENS1_35adjacent_difference_config_selectorILb0ExEEZNS1_24adjacent_difference_implIS3_Lb0ELb0EPKxPxN6thrust23THRUST_200600_302600_NS4plusIxEEEE10hipError_tPvRmT2_T3_mT4_P12ihipStream_tbEUlT_E_NS1_11comp_targetILNS1_3genE3ELNS1_11target_archE908ELNS1_3gpuE7ELNS1_3repE0EEENS1_30default_config_static_selectorELNS0_4arch9wavefront6targetE0EEEvT1_: ; @_ZN7rocprim17ROCPRIM_400000_NS6detail17trampoline_kernelINS0_14default_configENS1_35adjacent_difference_config_selectorILb0ExEEZNS1_24adjacent_difference_implIS3_Lb0ELb0EPKxPxN6thrust23THRUST_200600_302600_NS4plusIxEEEE10hipError_tPvRmT2_T3_mT4_P12ihipStream_tbEUlT_E_NS1_11comp_targetILNS1_3genE3ELNS1_11target_archE908ELNS1_3gpuE7ELNS1_3repE0EEENS1_30default_config_static_selectorELNS0_4arch9wavefront6targetE0EEEvT1_
; %bb.0:
	.section	.rodata,"a",@progbits
	.p2align	6, 0x0
	.amdhsa_kernel _ZN7rocprim17ROCPRIM_400000_NS6detail17trampoline_kernelINS0_14default_configENS1_35adjacent_difference_config_selectorILb0ExEEZNS1_24adjacent_difference_implIS3_Lb0ELb0EPKxPxN6thrust23THRUST_200600_302600_NS4plusIxEEEE10hipError_tPvRmT2_T3_mT4_P12ihipStream_tbEUlT_E_NS1_11comp_targetILNS1_3genE3ELNS1_11target_archE908ELNS1_3gpuE7ELNS1_3repE0EEENS1_30default_config_static_selectorELNS0_4arch9wavefront6targetE0EEEvT1_
		.amdhsa_group_segment_fixed_size 0
		.amdhsa_private_segment_fixed_size 0
		.amdhsa_kernarg_size 56
		.amdhsa_user_sgpr_count 15
		.amdhsa_user_sgpr_dispatch_ptr 0
		.amdhsa_user_sgpr_queue_ptr 0
		.amdhsa_user_sgpr_kernarg_segment_ptr 1
		.amdhsa_user_sgpr_dispatch_id 0
		.amdhsa_user_sgpr_private_segment_size 0
		.amdhsa_wavefront_size32 1
		.amdhsa_uses_dynamic_stack 0
		.amdhsa_enable_private_segment 0
		.amdhsa_system_sgpr_workgroup_id_x 1
		.amdhsa_system_sgpr_workgroup_id_y 0
		.amdhsa_system_sgpr_workgroup_id_z 0
		.amdhsa_system_sgpr_workgroup_info 0
		.amdhsa_system_vgpr_workitem_id 0
		.amdhsa_next_free_vgpr 1
		.amdhsa_next_free_sgpr 1
		.amdhsa_reserve_vcc 0
		.amdhsa_float_round_mode_32 0
		.amdhsa_float_round_mode_16_64 0
		.amdhsa_float_denorm_mode_32 3
		.amdhsa_float_denorm_mode_16_64 3
		.amdhsa_dx10_clamp 1
		.amdhsa_ieee_mode 1
		.amdhsa_fp16_overflow 0
		.amdhsa_workgroup_processor_mode 1
		.amdhsa_memory_ordered 1
		.amdhsa_forward_progress 0
		.amdhsa_shared_vgpr_count 0
		.amdhsa_exception_fp_ieee_invalid_op 0
		.amdhsa_exception_fp_denorm_src 0
		.amdhsa_exception_fp_ieee_div_zero 0
		.amdhsa_exception_fp_ieee_overflow 0
		.amdhsa_exception_fp_ieee_underflow 0
		.amdhsa_exception_fp_ieee_inexact 0
		.amdhsa_exception_int_div_zero 0
	.end_amdhsa_kernel
	.section	.text._ZN7rocprim17ROCPRIM_400000_NS6detail17trampoline_kernelINS0_14default_configENS1_35adjacent_difference_config_selectorILb0ExEEZNS1_24adjacent_difference_implIS3_Lb0ELb0EPKxPxN6thrust23THRUST_200600_302600_NS4plusIxEEEE10hipError_tPvRmT2_T3_mT4_P12ihipStream_tbEUlT_E_NS1_11comp_targetILNS1_3genE3ELNS1_11target_archE908ELNS1_3gpuE7ELNS1_3repE0EEENS1_30default_config_static_selectorELNS0_4arch9wavefront6targetE0EEEvT1_,"axG",@progbits,_ZN7rocprim17ROCPRIM_400000_NS6detail17trampoline_kernelINS0_14default_configENS1_35adjacent_difference_config_selectorILb0ExEEZNS1_24adjacent_difference_implIS3_Lb0ELb0EPKxPxN6thrust23THRUST_200600_302600_NS4plusIxEEEE10hipError_tPvRmT2_T3_mT4_P12ihipStream_tbEUlT_E_NS1_11comp_targetILNS1_3genE3ELNS1_11target_archE908ELNS1_3gpuE7ELNS1_3repE0EEENS1_30default_config_static_selectorELNS0_4arch9wavefront6targetE0EEEvT1_,comdat
.Lfunc_end702:
	.size	_ZN7rocprim17ROCPRIM_400000_NS6detail17trampoline_kernelINS0_14default_configENS1_35adjacent_difference_config_selectorILb0ExEEZNS1_24adjacent_difference_implIS3_Lb0ELb0EPKxPxN6thrust23THRUST_200600_302600_NS4plusIxEEEE10hipError_tPvRmT2_T3_mT4_P12ihipStream_tbEUlT_E_NS1_11comp_targetILNS1_3genE3ELNS1_11target_archE908ELNS1_3gpuE7ELNS1_3repE0EEENS1_30default_config_static_selectorELNS0_4arch9wavefront6targetE0EEEvT1_, .Lfunc_end702-_ZN7rocprim17ROCPRIM_400000_NS6detail17trampoline_kernelINS0_14default_configENS1_35adjacent_difference_config_selectorILb0ExEEZNS1_24adjacent_difference_implIS3_Lb0ELb0EPKxPxN6thrust23THRUST_200600_302600_NS4plusIxEEEE10hipError_tPvRmT2_T3_mT4_P12ihipStream_tbEUlT_E_NS1_11comp_targetILNS1_3genE3ELNS1_11target_archE908ELNS1_3gpuE7ELNS1_3repE0EEENS1_30default_config_static_selectorELNS0_4arch9wavefront6targetE0EEEvT1_
                                        ; -- End function
	.section	.AMDGPU.csdata,"",@progbits
; Kernel info:
; codeLenInByte = 0
; NumSgprs: 0
; NumVgprs: 0
; ScratchSize: 0
; MemoryBound: 0
; FloatMode: 240
; IeeeMode: 1
; LDSByteSize: 0 bytes/workgroup (compile time only)
; SGPRBlocks: 0
; VGPRBlocks: 0
; NumSGPRsForWavesPerEU: 1
; NumVGPRsForWavesPerEU: 1
; Occupancy: 16
; WaveLimiterHint : 0
; COMPUTE_PGM_RSRC2:SCRATCH_EN: 0
; COMPUTE_PGM_RSRC2:USER_SGPR: 15
; COMPUTE_PGM_RSRC2:TRAP_HANDLER: 0
; COMPUTE_PGM_RSRC2:TGID_X_EN: 1
; COMPUTE_PGM_RSRC2:TGID_Y_EN: 0
; COMPUTE_PGM_RSRC2:TGID_Z_EN: 0
; COMPUTE_PGM_RSRC2:TIDIG_COMP_CNT: 0
	.section	.text._ZN7rocprim17ROCPRIM_400000_NS6detail17trampoline_kernelINS0_14default_configENS1_35adjacent_difference_config_selectorILb0ExEEZNS1_24adjacent_difference_implIS3_Lb0ELb0EPKxPxN6thrust23THRUST_200600_302600_NS4plusIxEEEE10hipError_tPvRmT2_T3_mT4_P12ihipStream_tbEUlT_E_NS1_11comp_targetILNS1_3genE2ELNS1_11target_archE906ELNS1_3gpuE6ELNS1_3repE0EEENS1_30default_config_static_selectorELNS0_4arch9wavefront6targetE0EEEvT1_,"axG",@progbits,_ZN7rocprim17ROCPRIM_400000_NS6detail17trampoline_kernelINS0_14default_configENS1_35adjacent_difference_config_selectorILb0ExEEZNS1_24adjacent_difference_implIS3_Lb0ELb0EPKxPxN6thrust23THRUST_200600_302600_NS4plusIxEEEE10hipError_tPvRmT2_T3_mT4_P12ihipStream_tbEUlT_E_NS1_11comp_targetILNS1_3genE2ELNS1_11target_archE906ELNS1_3gpuE6ELNS1_3repE0EEENS1_30default_config_static_selectorELNS0_4arch9wavefront6targetE0EEEvT1_,comdat
	.protected	_ZN7rocprim17ROCPRIM_400000_NS6detail17trampoline_kernelINS0_14default_configENS1_35adjacent_difference_config_selectorILb0ExEEZNS1_24adjacent_difference_implIS3_Lb0ELb0EPKxPxN6thrust23THRUST_200600_302600_NS4plusIxEEEE10hipError_tPvRmT2_T3_mT4_P12ihipStream_tbEUlT_E_NS1_11comp_targetILNS1_3genE2ELNS1_11target_archE906ELNS1_3gpuE6ELNS1_3repE0EEENS1_30default_config_static_selectorELNS0_4arch9wavefront6targetE0EEEvT1_ ; -- Begin function _ZN7rocprim17ROCPRIM_400000_NS6detail17trampoline_kernelINS0_14default_configENS1_35adjacent_difference_config_selectorILb0ExEEZNS1_24adjacent_difference_implIS3_Lb0ELb0EPKxPxN6thrust23THRUST_200600_302600_NS4plusIxEEEE10hipError_tPvRmT2_T3_mT4_P12ihipStream_tbEUlT_E_NS1_11comp_targetILNS1_3genE2ELNS1_11target_archE906ELNS1_3gpuE6ELNS1_3repE0EEENS1_30default_config_static_selectorELNS0_4arch9wavefront6targetE0EEEvT1_
	.globl	_ZN7rocprim17ROCPRIM_400000_NS6detail17trampoline_kernelINS0_14default_configENS1_35adjacent_difference_config_selectorILb0ExEEZNS1_24adjacent_difference_implIS3_Lb0ELb0EPKxPxN6thrust23THRUST_200600_302600_NS4plusIxEEEE10hipError_tPvRmT2_T3_mT4_P12ihipStream_tbEUlT_E_NS1_11comp_targetILNS1_3genE2ELNS1_11target_archE906ELNS1_3gpuE6ELNS1_3repE0EEENS1_30default_config_static_selectorELNS0_4arch9wavefront6targetE0EEEvT1_
	.p2align	8
	.type	_ZN7rocprim17ROCPRIM_400000_NS6detail17trampoline_kernelINS0_14default_configENS1_35adjacent_difference_config_selectorILb0ExEEZNS1_24adjacent_difference_implIS3_Lb0ELb0EPKxPxN6thrust23THRUST_200600_302600_NS4plusIxEEEE10hipError_tPvRmT2_T3_mT4_P12ihipStream_tbEUlT_E_NS1_11comp_targetILNS1_3genE2ELNS1_11target_archE906ELNS1_3gpuE6ELNS1_3repE0EEENS1_30default_config_static_selectorELNS0_4arch9wavefront6targetE0EEEvT1_,@function
_ZN7rocprim17ROCPRIM_400000_NS6detail17trampoline_kernelINS0_14default_configENS1_35adjacent_difference_config_selectorILb0ExEEZNS1_24adjacent_difference_implIS3_Lb0ELb0EPKxPxN6thrust23THRUST_200600_302600_NS4plusIxEEEE10hipError_tPvRmT2_T3_mT4_P12ihipStream_tbEUlT_E_NS1_11comp_targetILNS1_3genE2ELNS1_11target_archE906ELNS1_3gpuE6ELNS1_3repE0EEENS1_30default_config_static_selectorELNS0_4arch9wavefront6targetE0EEEvT1_: ; @_ZN7rocprim17ROCPRIM_400000_NS6detail17trampoline_kernelINS0_14default_configENS1_35adjacent_difference_config_selectorILb0ExEEZNS1_24adjacent_difference_implIS3_Lb0ELb0EPKxPxN6thrust23THRUST_200600_302600_NS4plusIxEEEE10hipError_tPvRmT2_T3_mT4_P12ihipStream_tbEUlT_E_NS1_11comp_targetILNS1_3genE2ELNS1_11target_archE906ELNS1_3gpuE6ELNS1_3repE0EEENS1_30default_config_static_selectorELNS0_4arch9wavefront6targetE0EEEvT1_
; %bb.0:
	.section	.rodata,"a",@progbits
	.p2align	6, 0x0
	.amdhsa_kernel _ZN7rocprim17ROCPRIM_400000_NS6detail17trampoline_kernelINS0_14default_configENS1_35adjacent_difference_config_selectorILb0ExEEZNS1_24adjacent_difference_implIS3_Lb0ELb0EPKxPxN6thrust23THRUST_200600_302600_NS4plusIxEEEE10hipError_tPvRmT2_T3_mT4_P12ihipStream_tbEUlT_E_NS1_11comp_targetILNS1_3genE2ELNS1_11target_archE906ELNS1_3gpuE6ELNS1_3repE0EEENS1_30default_config_static_selectorELNS0_4arch9wavefront6targetE0EEEvT1_
		.amdhsa_group_segment_fixed_size 0
		.amdhsa_private_segment_fixed_size 0
		.amdhsa_kernarg_size 56
		.amdhsa_user_sgpr_count 15
		.amdhsa_user_sgpr_dispatch_ptr 0
		.amdhsa_user_sgpr_queue_ptr 0
		.amdhsa_user_sgpr_kernarg_segment_ptr 1
		.amdhsa_user_sgpr_dispatch_id 0
		.amdhsa_user_sgpr_private_segment_size 0
		.amdhsa_wavefront_size32 1
		.amdhsa_uses_dynamic_stack 0
		.amdhsa_enable_private_segment 0
		.amdhsa_system_sgpr_workgroup_id_x 1
		.amdhsa_system_sgpr_workgroup_id_y 0
		.amdhsa_system_sgpr_workgroup_id_z 0
		.amdhsa_system_sgpr_workgroup_info 0
		.amdhsa_system_vgpr_workitem_id 0
		.amdhsa_next_free_vgpr 1
		.amdhsa_next_free_sgpr 1
		.amdhsa_reserve_vcc 0
		.amdhsa_float_round_mode_32 0
		.amdhsa_float_round_mode_16_64 0
		.amdhsa_float_denorm_mode_32 3
		.amdhsa_float_denorm_mode_16_64 3
		.amdhsa_dx10_clamp 1
		.amdhsa_ieee_mode 1
		.amdhsa_fp16_overflow 0
		.amdhsa_workgroup_processor_mode 1
		.amdhsa_memory_ordered 1
		.amdhsa_forward_progress 0
		.amdhsa_shared_vgpr_count 0
		.amdhsa_exception_fp_ieee_invalid_op 0
		.amdhsa_exception_fp_denorm_src 0
		.amdhsa_exception_fp_ieee_div_zero 0
		.amdhsa_exception_fp_ieee_overflow 0
		.amdhsa_exception_fp_ieee_underflow 0
		.amdhsa_exception_fp_ieee_inexact 0
		.amdhsa_exception_int_div_zero 0
	.end_amdhsa_kernel
	.section	.text._ZN7rocprim17ROCPRIM_400000_NS6detail17trampoline_kernelINS0_14default_configENS1_35adjacent_difference_config_selectorILb0ExEEZNS1_24adjacent_difference_implIS3_Lb0ELb0EPKxPxN6thrust23THRUST_200600_302600_NS4plusIxEEEE10hipError_tPvRmT2_T3_mT4_P12ihipStream_tbEUlT_E_NS1_11comp_targetILNS1_3genE2ELNS1_11target_archE906ELNS1_3gpuE6ELNS1_3repE0EEENS1_30default_config_static_selectorELNS0_4arch9wavefront6targetE0EEEvT1_,"axG",@progbits,_ZN7rocprim17ROCPRIM_400000_NS6detail17trampoline_kernelINS0_14default_configENS1_35adjacent_difference_config_selectorILb0ExEEZNS1_24adjacent_difference_implIS3_Lb0ELb0EPKxPxN6thrust23THRUST_200600_302600_NS4plusIxEEEE10hipError_tPvRmT2_T3_mT4_P12ihipStream_tbEUlT_E_NS1_11comp_targetILNS1_3genE2ELNS1_11target_archE906ELNS1_3gpuE6ELNS1_3repE0EEENS1_30default_config_static_selectorELNS0_4arch9wavefront6targetE0EEEvT1_,comdat
.Lfunc_end703:
	.size	_ZN7rocprim17ROCPRIM_400000_NS6detail17trampoline_kernelINS0_14default_configENS1_35adjacent_difference_config_selectorILb0ExEEZNS1_24adjacent_difference_implIS3_Lb0ELb0EPKxPxN6thrust23THRUST_200600_302600_NS4plusIxEEEE10hipError_tPvRmT2_T3_mT4_P12ihipStream_tbEUlT_E_NS1_11comp_targetILNS1_3genE2ELNS1_11target_archE906ELNS1_3gpuE6ELNS1_3repE0EEENS1_30default_config_static_selectorELNS0_4arch9wavefront6targetE0EEEvT1_, .Lfunc_end703-_ZN7rocprim17ROCPRIM_400000_NS6detail17trampoline_kernelINS0_14default_configENS1_35adjacent_difference_config_selectorILb0ExEEZNS1_24adjacent_difference_implIS3_Lb0ELb0EPKxPxN6thrust23THRUST_200600_302600_NS4plusIxEEEE10hipError_tPvRmT2_T3_mT4_P12ihipStream_tbEUlT_E_NS1_11comp_targetILNS1_3genE2ELNS1_11target_archE906ELNS1_3gpuE6ELNS1_3repE0EEENS1_30default_config_static_selectorELNS0_4arch9wavefront6targetE0EEEvT1_
                                        ; -- End function
	.section	.AMDGPU.csdata,"",@progbits
; Kernel info:
; codeLenInByte = 0
; NumSgprs: 0
; NumVgprs: 0
; ScratchSize: 0
; MemoryBound: 0
; FloatMode: 240
; IeeeMode: 1
; LDSByteSize: 0 bytes/workgroup (compile time only)
; SGPRBlocks: 0
; VGPRBlocks: 0
; NumSGPRsForWavesPerEU: 1
; NumVGPRsForWavesPerEU: 1
; Occupancy: 16
; WaveLimiterHint : 0
; COMPUTE_PGM_RSRC2:SCRATCH_EN: 0
; COMPUTE_PGM_RSRC2:USER_SGPR: 15
; COMPUTE_PGM_RSRC2:TRAP_HANDLER: 0
; COMPUTE_PGM_RSRC2:TGID_X_EN: 1
; COMPUTE_PGM_RSRC2:TGID_Y_EN: 0
; COMPUTE_PGM_RSRC2:TGID_Z_EN: 0
; COMPUTE_PGM_RSRC2:TIDIG_COMP_CNT: 0
	.section	.text._ZN7rocprim17ROCPRIM_400000_NS6detail17trampoline_kernelINS0_14default_configENS1_35adjacent_difference_config_selectorILb0ExEEZNS1_24adjacent_difference_implIS3_Lb0ELb0EPKxPxN6thrust23THRUST_200600_302600_NS4plusIxEEEE10hipError_tPvRmT2_T3_mT4_P12ihipStream_tbEUlT_E_NS1_11comp_targetILNS1_3genE9ELNS1_11target_archE1100ELNS1_3gpuE3ELNS1_3repE0EEENS1_30default_config_static_selectorELNS0_4arch9wavefront6targetE0EEEvT1_,"axG",@progbits,_ZN7rocprim17ROCPRIM_400000_NS6detail17trampoline_kernelINS0_14default_configENS1_35adjacent_difference_config_selectorILb0ExEEZNS1_24adjacent_difference_implIS3_Lb0ELb0EPKxPxN6thrust23THRUST_200600_302600_NS4plusIxEEEE10hipError_tPvRmT2_T3_mT4_P12ihipStream_tbEUlT_E_NS1_11comp_targetILNS1_3genE9ELNS1_11target_archE1100ELNS1_3gpuE3ELNS1_3repE0EEENS1_30default_config_static_selectorELNS0_4arch9wavefront6targetE0EEEvT1_,comdat
	.protected	_ZN7rocprim17ROCPRIM_400000_NS6detail17trampoline_kernelINS0_14default_configENS1_35adjacent_difference_config_selectorILb0ExEEZNS1_24adjacent_difference_implIS3_Lb0ELb0EPKxPxN6thrust23THRUST_200600_302600_NS4plusIxEEEE10hipError_tPvRmT2_T3_mT4_P12ihipStream_tbEUlT_E_NS1_11comp_targetILNS1_3genE9ELNS1_11target_archE1100ELNS1_3gpuE3ELNS1_3repE0EEENS1_30default_config_static_selectorELNS0_4arch9wavefront6targetE0EEEvT1_ ; -- Begin function _ZN7rocprim17ROCPRIM_400000_NS6detail17trampoline_kernelINS0_14default_configENS1_35adjacent_difference_config_selectorILb0ExEEZNS1_24adjacent_difference_implIS3_Lb0ELb0EPKxPxN6thrust23THRUST_200600_302600_NS4plusIxEEEE10hipError_tPvRmT2_T3_mT4_P12ihipStream_tbEUlT_E_NS1_11comp_targetILNS1_3genE9ELNS1_11target_archE1100ELNS1_3gpuE3ELNS1_3repE0EEENS1_30default_config_static_selectorELNS0_4arch9wavefront6targetE0EEEvT1_
	.globl	_ZN7rocprim17ROCPRIM_400000_NS6detail17trampoline_kernelINS0_14default_configENS1_35adjacent_difference_config_selectorILb0ExEEZNS1_24adjacent_difference_implIS3_Lb0ELb0EPKxPxN6thrust23THRUST_200600_302600_NS4plusIxEEEE10hipError_tPvRmT2_T3_mT4_P12ihipStream_tbEUlT_E_NS1_11comp_targetILNS1_3genE9ELNS1_11target_archE1100ELNS1_3gpuE3ELNS1_3repE0EEENS1_30default_config_static_selectorELNS0_4arch9wavefront6targetE0EEEvT1_
	.p2align	8
	.type	_ZN7rocprim17ROCPRIM_400000_NS6detail17trampoline_kernelINS0_14default_configENS1_35adjacent_difference_config_selectorILb0ExEEZNS1_24adjacent_difference_implIS3_Lb0ELb0EPKxPxN6thrust23THRUST_200600_302600_NS4plusIxEEEE10hipError_tPvRmT2_T3_mT4_P12ihipStream_tbEUlT_E_NS1_11comp_targetILNS1_3genE9ELNS1_11target_archE1100ELNS1_3gpuE3ELNS1_3repE0EEENS1_30default_config_static_selectorELNS0_4arch9wavefront6targetE0EEEvT1_,@function
_ZN7rocprim17ROCPRIM_400000_NS6detail17trampoline_kernelINS0_14default_configENS1_35adjacent_difference_config_selectorILb0ExEEZNS1_24adjacent_difference_implIS3_Lb0ELb0EPKxPxN6thrust23THRUST_200600_302600_NS4plusIxEEEE10hipError_tPvRmT2_T3_mT4_P12ihipStream_tbEUlT_E_NS1_11comp_targetILNS1_3genE9ELNS1_11target_archE1100ELNS1_3gpuE3ELNS1_3repE0EEENS1_30default_config_static_selectorELNS0_4arch9wavefront6targetE0EEEvT1_: ; @_ZN7rocprim17ROCPRIM_400000_NS6detail17trampoline_kernelINS0_14default_configENS1_35adjacent_difference_config_selectorILb0ExEEZNS1_24adjacent_difference_implIS3_Lb0ELb0EPKxPxN6thrust23THRUST_200600_302600_NS4plusIxEEEE10hipError_tPvRmT2_T3_mT4_P12ihipStream_tbEUlT_E_NS1_11comp_targetILNS1_3genE9ELNS1_11target_archE1100ELNS1_3gpuE3ELNS1_3repE0EEENS1_30default_config_static_selectorELNS0_4arch9wavefront6targetE0EEEvT1_
; %bb.0:
	s_clause 0x1
	s_load_b256 s[4:11], s[0:1], 0x0
	s_load_b64 s[18:19], s[0:1], 0x30
	s_mov_b32 s13, 0
	s_waitcnt lgkmcnt(0)
	s_lshl_b64 s[6:7], s[6:7], 3
	s_delay_alu instid0(SALU_CYCLE_1)
	s_add_u32 s14, s4, s6
	s_addc_u32 s16, s5, s7
	s_and_b32 s12, s10, 0x1ff
	s_lshl_b32 s2, s15, 9
	s_lshr_b64 s[0:1], s[10:11], 9
	s_cmp_lg_u64 s[12:13], 0
	s_cselect_b32 s3, -1, 0
	s_delay_alu instid0(SALU_CYCLE_1) | instskip(NEXT) | instid1(VALU_DEP_1)
	v_cndmask_b32_e64 v1, 0, 1, s3
	v_readfirstlane_b32 s3, v1
	s_delay_alu instid0(VALU_DEP_1)
	s_add_u32 s0, s0, s3
	s_addc_u32 s1, s1, 0
	s_add_u32 s12, s18, s15
	s_addc_u32 s13, s19, 0
	s_add_u32 s4, s0, -1
	s_addc_u32 s5, s1, -1
	s_delay_alu instid0(SALU_CYCLE_1) | instskip(NEXT) | instid1(VALU_DEP_1)
	v_cmp_ge_u64_e64 s11, s[12:13], s[4:5]
	s_and_b32 vcc_lo, exec_lo, s11
	s_cbranch_vccz .LBB704_4
; %bb.1:
	s_lshl_b32 s3, s4, 9
	s_mov_b32 s15, exec_lo
	s_sub_i32 s3, s10, s3
                                        ; implicit-def: $vgpr1_vgpr2
	s_delay_alu instid0(SALU_CYCLE_1)
	v_cmpx_gt_u32_e64 s3, v0
	s_cbranch_execz .LBB704_3
; %bb.2:
	s_mov_b32 s3, 0
	v_lshlrev_b32_e32 v1, 3, v0
	s_lshl_b64 s[18:19], s[2:3], 3
	s_delay_alu instid0(SALU_CYCLE_1)
	s_add_u32 s18, s14, s18
	s_addc_u32 s19, s16, s19
	global_load_b64 v[1:2], v1, s[18:19]
.LBB704_3:
	s_or_b32 exec_lo, exec_lo, s15
	v_lshlrev_b32_e32 v3, 3, v0
	s_waitcnt vmcnt(0)
	ds_store_b64 v3, v[1:2]
	s_waitcnt lgkmcnt(0)
	s_barrier
	v_lshlrev_b32_e32 v5, 3, v0
	s_branch .LBB704_6
.LBB704_4:
                                        ; implicit-def: $vgpr3
	v_lshlrev_b32_e32 v5, 3, v0
	s_cbranch_execz .LBB704_6
; %bb.5:
	s_mov_b32 s3, 0
	s_delay_alu instid0(VALU_DEP_1) | instskip(SKIP_1) | instid1(SALU_CYCLE_1)
	v_mov_b32_e32 v3, v5
	s_lshl_b64 s[18:19], s[2:3], 3
	s_add_u32 s18, s14, s18
	s_addc_u32 s19, s16, s19
	global_load_b64 v[1:2], v5, s[18:19]
	s_waitcnt vmcnt(0)
	ds_store_b64 v5, v[1:2]
	s_waitcnt lgkmcnt(0)
	s_barrier
.LBB704_6:
	buffer_gl0_inv
	ds_load_b64 v[1:2], v3
	s_cmp_eq_u64 s[12:13], 0
	s_waitcnt lgkmcnt(0)
	s_barrier
	buffer_gl0_inv
	s_cbranch_scc1 .LBB704_11
; %bb.7:
	s_mov_b32 s3, 0
	s_delay_alu instid0(SALU_CYCLE_1) | instskip(NEXT) | instid1(SALU_CYCLE_1)
	s_lshl_b64 s[18:19], s[2:3], 3
	s_add_u32 s3, s14, s18
	s_addc_u32 s15, s16, s19
	s_add_u32 s14, s3, -8
	s_addc_u32 s15, s15, -1
	s_cmp_eq_u64 s[12:13], s[4:5]
	s_load_b64 s[14:15], s[14:15], 0x0
	s_cbranch_scc1 .LBB704_12
; %bb.8:
	s_waitcnt lgkmcnt(0)
	v_dual_mov_b32 v3, s14 :: v_dual_mov_b32 v4, s15
	s_mov_b32 s3, exec_lo
	ds_store_b64 v5, v[1:2]
	s_waitcnt lgkmcnt(0)
	s_barrier
	buffer_gl0_inv
	v_cmpx_ne_u32_e32 0, v0
	s_cbranch_execz .LBB704_10
; %bb.9:
	v_add_nc_u32_e32 v3, -8, v5
	ds_load_b64 v[3:4], v3
.LBB704_10:
	s_or_b32 exec_lo, exec_lo, s3
	s_waitcnt lgkmcnt(0)
	v_add_co_u32 v3, vcc_lo, v3, v1
	v_add_co_ci_u32_e32 v4, vcc_lo, v4, v2, vcc_lo
	s_branch .LBB704_16
.LBB704_11:
                                        ; implicit-def: $vgpr3_vgpr4
	s_branch .LBB704_17
.LBB704_12:
                                        ; implicit-def: $vgpr3_vgpr4
	s_cbranch_execz .LBB704_16
; %bb.13:
	s_waitcnt lgkmcnt(0)
	v_dual_mov_b32 v3, s14 :: v_dual_mov_b32 v4, s15
	s_mov_b32 s3, exec_lo
	ds_store_b64 v5, v[1:2]
	s_waitcnt lgkmcnt(0)
	s_barrier
	buffer_gl0_inv
	v_cmpx_ne_u32_e32 0, v0
	s_cbranch_execz .LBB704_15
; %bb.14:
	v_add_nc_u32_e32 v3, -8, v5
	ds_load_b64 v[3:4], v3
.LBB704_15:
	s_or_b32 exec_lo, exec_lo, s3
	s_lshl_b32 s3, s12, 9
	s_delay_alu instid0(SALU_CYCLE_1) | instskip(NEXT) | instid1(SALU_CYCLE_1)
	s_sub_i32 s3, s10, s3
	v_cmp_gt_u32_e32 vcc_lo, s3, v0
	s_waitcnt lgkmcnt(0)
	v_dual_cndmask_b32 v4, 0, v4 :: v_dual_cndmask_b32 v3, 0, v3
	s_delay_alu instid0(VALU_DEP_1) | instskip(NEXT) | instid1(VALU_DEP_2)
	v_add_co_u32 v3, vcc_lo, v3, v1
	v_add_co_ci_u32_e32 v4, vcc_lo, v4, v2, vcc_lo
.LBB704_16:
	s_cbranch_execnz .LBB704_25
.LBB704_17:
	v_cmp_ne_u32_e32 vcc_lo, 0, v0
	s_cmp_eq_u64 s[0:1], 1
	s_cbranch_scc1 .LBB704_21
; %bb.18:
	v_dual_mov_b32 v4, v2 :: v_dual_mov_b32 v3, v1
	s_mov_b32 s0, 0
	ds_store_b64 v5, v[1:2]
	s_waitcnt lgkmcnt(0)
	s_barrier
	buffer_gl0_inv
	s_and_saveexec_b32 s1, vcc_lo
	s_cbranch_execz .LBB704_20
; %bb.19:
	v_add_nc_u32_e32 v3, -8, v5
	ds_load_b64 v[3:4], v3
	s_waitcnt lgkmcnt(0)
	v_add_co_u32 v3, vcc_lo, v3, v1
	v_add_co_ci_u32_e32 v4, vcc_lo, v4, v2, vcc_lo
.LBB704_20:
	s_or_b32 exec_lo, exec_lo, s1
	s_delay_alu instid0(SALU_CYCLE_1)
	s_and_not1_b32 vcc_lo, exec_lo, s0
	s_cbranch_vccz .LBB704_22
	s_branch .LBB704_25
.LBB704_21:
                                        ; implicit-def: $vgpr3_vgpr4
.LBB704_22:
	v_cmp_ne_u32_e32 vcc_lo, 0, v0
	v_cmp_gt_u32_e64 s0, s10, v0
	ds_store_b64 v5, v[1:2]
	s_waitcnt lgkmcnt(0)
	s_barrier
	buffer_gl0_inv
	s_and_b32 s1, vcc_lo, s0
	s_delay_alu instid0(SALU_CYCLE_1)
	s_and_saveexec_b32 s0, s1
	s_cbranch_execz .LBB704_24
; %bb.23:
	v_add_nc_u32_e32 v3, -8, v5
	ds_load_b64 v[3:4], v3
	s_waitcnt lgkmcnt(0)
	v_add_co_u32 v1, vcc_lo, v3, v1
	v_add_co_ci_u32_e32 v2, vcc_lo, v4, v2, vcc_lo
.LBB704_24:
	s_or_b32 exec_lo, exec_lo, s0
	s_delay_alu instid0(VALU_DEP_1)
	v_dual_mov_b32 v4, v2 :: v_dual_mov_b32 v3, v1
.LBB704_25:
	s_add_u32 s0, s8, s6
	s_addc_u32 s1, s9, s7
	s_and_b32 vcc_lo, exec_lo, s11
	s_mov_b32 s3, -1
	s_waitcnt lgkmcnt(0)
	s_barrier
	buffer_gl0_inv
	s_cbranch_vccnz .LBB704_28
; %bb.26:
	s_and_not1_b32 vcc_lo, exec_lo, s3
	s_cbranch_vccz .LBB704_31
.LBB704_27:
	s_nop 0
	s_sendmsg sendmsg(MSG_DEALLOC_VGPRS)
	s_endpgm
.LBB704_28:
	s_lshl_b32 s3, s4, 9
	s_mov_b32 s4, exec_lo
	s_sub_i32 s3, s10, s3
	ds_store_b64 v5, v[3:4]
	s_waitcnt lgkmcnt(0)
	s_barrier
	buffer_gl0_inv
	v_cmpx_gt_u32_e64 s3, v0
	s_cbranch_execz .LBB704_30
; %bb.29:
	ds_load_b64 v[0:1], v5
	s_mov_b32 s3, 0
	s_delay_alu instid0(SALU_CYCLE_1) | instskip(NEXT) | instid1(SALU_CYCLE_1)
	s_lshl_b64 s[6:7], s[2:3], 3
	s_add_u32 s6, s0, s6
	s_addc_u32 s7, s1, s7
	s_waitcnt lgkmcnt(0)
	global_store_b64 v5, v[0:1], s[6:7]
.LBB704_30:
	s_or_b32 exec_lo, exec_lo, s4
	s_cbranch_execnz .LBB704_27
.LBB704_31:
	ds_store_b64 v5, v[3:4]
	s_waitcnt lgkmcnt(0)
	s_waitcnt_vscnt null, 0x0
	s_barrier
	buffer_gl0_inv
	ds_load_b64 v[0:1], v5
	s_mov_b32 s3, 0
	s_delay_alu instid0(SALU_CYCLE_1) | instskip(NEXT) | instid1(SALU_CYCLE_1)
	s_lshl_b64 s[2:3], s[2:3], 3
	s_add_u32 s0, s0, s2
	s_addc_u32 s1, s1, s3
	s_waitcnt lgkmcnt(0)
	global_store_b64 v5, v[0:1], s[0:1]
	s_nop 0
	s_sendmsg sendmsg(MSG_DEALLOC_VGPRS)
	s_endpgm
	.section	.rodata,"a",@progbits
	.p2align	6, 0x0
	.amdhsa_kernel _ZN7rocprim17ROCPRIM_400000_NS6detail17trampoline_kernelINS0_14default_configENS1_35adjacent_difference_config_selectorILb0ExEEZNS1_24adjacent_difference_implIS3_Lb0ELb0EPKxPxN6thrust23THRUST_200600_302600_NS4plusIxEEEE10hipError_tPvRmT2_T3_mT4_P12ihipStream_tbEUlT_E_NS1_11comp_targetILNS1_3genE9ELNS1_11target_archE1100ELNS1_3gpuE3ELNS1_3repE0EEENS1_30default_config_static_selectorELNS0_4arch9wavefront6targetE0EEEvT1_
		.amdhsa_group_segment_fixed_size 8192
		.amdhsa_private_segment_fixed_size 0
		.amdhsa_kernarg_size 56
		.amdhsa_user_sgpr_count 15
		.amdhsa_user_sgpr_dispatch_ptr 0
		.amdhsa_user_sgpr_queue_ptr 0
		.amdhsa_user_sgpr_kernarg_segment_ptr 1
		.amdhsa_user_sgpr_dispatch_id 0
		.amdhsa_user_sgpr_private_segment_size 0
		.amdhsa_wavefront_size32 1
		.amdhsa_uses_dynamic_stack 0
		.amdhsa_enable_private_segment 0
		.amdhsa_system_sgpr_workgroup_id_x 1
		.amdhsa_system_sgpr_workgroup_id_y 0
		.amdhsa_system_sgpr_workgroup_id_z 0
		.amdhsa_system_sgpr_workgroup_info 0
		.amdhsa_system_vgpr_workitem_id 0
		.amdhsa_next_free_vgpr 6
		.amdhsa_next_free_sgpr 20
		.amdhsa_reserve_vcc 1
		.amdhsa_float_round_mode_32 0
		.amdhsa_float_round_mode_16_64 0
		.amdhsa_float_denorm_mode_32 3
		.amdhsa_float_denorm_mode_16_64 3
		.amdhsa_dx10_clamp 1
		.amdhsa_ieee_mode 1
		.amdhsa_fp16_overflow 0
		.amdhsa_workgroup_processor_mode 1
		.amdhsa_memory_ordered 1
		.amdhsa_forward_progress 0
		.amdhsa_shared_vgpr_count 0
		.amdhsa_exception_fp_ieee_invalid_op 0
		.amdhsa_exception_fp_denorm_src 0
		.amdhsa_exception_fp_ieee_div_zero 0
		.amdhsa_exception_fp_ieee_overflow 0
		.amdhsa_exception_fp_ieee_underflow 0
		.amdhsa_exception_fp_ieee_inexact 0
		.amdhsa_exception_int_div_zero 0
	.end_amdhsa_kernel
	.section	.text._ZN7rocprim17ROCPRIM_400000_NS6detail17trampoline_kernelINS0_14default_configENS1_35adjacent_difference_config_selectorILb0ExEEZNS1_24adjacent_difference_implIS3_Lb0ELb0EPKxPxN6thrust23THRUST_200600_302600_NS4plusIxEEEE10hipError_tPvRmT2_T3_mT4_P12ihipStream_tbEUlT_E_NS1_11comp_targetILNS1_3genE9ELNS1_11target_archE1100ELNS1_3gpuE3ELNS1_3repE0EEENS1_30default_config_static_selectorELNS0_4arch9wavefront6targetE0EEEvT1_,"axG",@progbits,_ZN7rocprim17ROCPRIM_400000_NS6detail17trampoline_kernelINS0_14default_configENS1_35adjacent_difference_config_selectorILb0ExEEZNS1_24adjacent_difference_implIS3_Lb0ELb0EPKxPxN6thrust23THRUST_200600_302600_NS4plusIxEEEE10hipError_tPvRmT2_T3_mT4_P12ihipStream_tbEUlT_E_NS1_11comp_targetILNS1_3genE9ELNS1_11target_archE1100ELNS1_3gpuE3ELNS1_3repE0EEENS1_30default_config_static_selectorELNS0_4arch9wavefront6targetE0EEEvT1_,comdat
.Lfunc_end704:
	.size	_ZN7rocprim17ROCPRIM_400000_NS6detail17trampoline_kernelINS0_14default_configENS1_35adjacent_difference_config_selectorILb0ExEEZNS1_24adjacent_difference_implIS3_Lb0ELb0EPKxPxN6thrust23THRUST_200600_302600_NS4plusIxEEEE10hipError_tPvRmT2_T3_mT4_P12ihipStream_tbEUlT_E_NS1_11comp_targetILNS1_3genE9ELNS1_11target_archE1100ELNS1_3gpuE3ELNS1_3repE0EEENS1_30default_config_static_selectorELNS0_4arch9wavefront6targetE0EEEvT1_, .Lfunc_end704-_ZN7rocprim17ROCPRIM_400000_NS6detail17trampoline_kernelINS0_14default_configENS1_35adjacent_difference_config_selectorILb0ExEEZNS1_24adjacent_difference_implIS3_Lb0ELb0EPKxPxN6thrust23THRUST_200600_302600_NS4plusIxEEEE10hipError_tPvRmT2_T3_mT4_P12ihipStream_tbEUlT_E_NS1_11comp_targetILNS1_3genE9ELNS1_11target_archE1100ELNS1_3gpuE3ELNS1_3repE0EEENS1_30default_config_static_selectorELNS0_4arch9wavefront6targetE0EEEvT1_
                                        ; -- End function
	.section	.AMDGPU.csdata,"",@progbits
; Kernel info:
; codeLenInByte = 1008
; NumSgprs: 22
; NumVgprs: 6
; ScratchSize: 0
; MemoryBound: 0
; FloatMode: 240
; IeeeMode: 1
; LDSByteSize: 8192 bytes/workgroup (compile time only)
; SGPRBlocks: 2
; VGPRBlocks: 0
; NumSGPRsForWavesPerEU: 22
; NumVGPRsForWavesPerEU: 6
; Occupancy: 16
; WaveLimiterHint : 0
; COMPUTE_PGM_RSRC2:SCRATCH_EN: 0
; COMPUTE_PGM_RSRC2:USER_SGPR: 15
; COMPUTE_PGM_RSRC2:TRAP_HANDLER: 0
; COMPUTE_PGM_RSRC2:TGID_X_EN: 1
; COMPUTE_PGM_RSRC2:TGID_Y_EN: 0
; COMPUTE_PGM_RSRC2:TGID_Z_EN: 0
; COMPUTE_PGM_RSRC2:TIDIG_COMP_CNT: 0
	.section	.text._ZN7rocprim17ROCPRIM_400000_NS6detail17trampoline_kernelINS0_14default_configENS1_35adjacent_difference_config_selectorILb0ExEEZNS1_24adjacent_difference_implIS3_Lb0ELb0EPKxPxN6thrust23THRUST_200600_302600_NS4plusIxEEEE10hipError_tPvRmT2_T3_mT4_P12ihipStream_tbEUlT_E_NS1_11comp_targetILNS1_3genE8ELNS1_11target_archE1030ELNS1_3gpuE2ELNS1_3repE0EEENS1_30default_config_static_selectorELNS0_4arch9wavefront6targetE0EEEvT1_,"axG",@progbits,_ZN7rocprim17ROCPRIM_400000_NS6detail17trampoline_kernelINS0_14default_configENS1_35adjacent_difference_config_selectorILb0ExEEZNS1_24adjacent_difference_implIS3_Lb0ELb0EPKxPxN6thrust23THRUST_200600_302600_NS4plusIxEEEE10hipError_tPvRmT2_T3_mT4_P12ihipStream_tbEUlT_E_NS1_11comp_targetILNS1_3genE8ELNS1_11target_archE1030ELNS1_3gpuE2ELNS1_3repE0EEENS1_30default_config_static_selectorELNS0_4arch9wavefront6targetE0EEEvT1_,comdat
	.protected	_ZN7rocprim17ROCPRIM_400000_NS6detail17trampoline_kernelINS0_14default_configENS1_35adjacent_difference_config_selectorILb0ExEEZNS1_24adjacent_difference_implIS3_Lb0ELb0EPKxPxN6thrust23THRUST_200600_302600_NS4plusIxEEEE10hipError_tPvRmT2_T3_mT4_P12ihipStream_tbEUlT_E_NS1_11comp_targetILNS1_3genE8ELNS1_11target_archE1030ELNS1_3gpuE2ELNS1_3repE0EEENS1_30default_config_static_selectorELNS0_4arch9wavefront6targetE0EEEvT1_ ; -- Begin function _ZN7rocprim17ROCPRIM_400000_NS6detail17trampoline_kernelINS0_14default_configENS1_35adjacent_difference_config_selectorILb0ExEEZNS1_24adjacent_difference_implIS3_Lb0ELb0EPKxPxN6thrust23THRUST_200600_302600_NS4plusIxEEEE10hipError_tPvRmT2_T3_mT4_P12ihipStream_tbEUlT_E_NS1_11comp_targetILNS1_3genE8ELNS1_11target_archE1030ELNS1_3gpuE2ELNS1_3repE0EEENS1_30default_config_static_selectorELNS0_4arch9wavefront6targetE0EEEvT1_
	.globl	_ZN7rocprim17ROCPRIM_400000_NS6detail17trampoline_kernelINS0_14default_configENS1_35adjacent_difference_config_selectorILb0ExEEZNS1_24adjacent_difference_implIS3_Lb0ELb0EPKxPxN6thrust23THRUST_200600_302600_NS4plusIxEEEE10hipError_tPvRmT2_T3_mT4_P12ihipStream_tbEUlT_E_NS1_11comp_targetILNS1_3genE8ELNS1_11target_archE1030ELNS1_3gpuE2ELNS1_3repE0EEENS1_30default_config_static_selectorELNS0_4arch9wavefront6targetE0EEEvT1_
	.p2align	8
	.type	_ZN7rocprim17ROCPRIM_400000_NS6detail17trampoline_kernelINS0_14default_configENS1_35adjacent_difference_config_selectorILb0ExEEZNS1_24adjacent_difference_implIS3_Lb0ELb0EPKxPxN6thrust23THRUST_200600_302600_NS4plusIxEEEE10hipError_tPvRmT2_T3_mT4_P12ihipStream_tbEUlT_E_NS1_11comp_targetILNS1_3genE8ELNS1_11target_archE1030ELNS1_3gpuE2ELNS1_3repE0EEENS1_30default_config_static_selectorELNS0_4arch9wavefront6targetE0EEEvT1_,@function
_ZN7rocprim17ROCPRIM_400000_NS6detail17trampoline_kernelINS0_14default_configENS1_35adjacent_difference_config_selectorILb0ExEEZNS1_24adjacent_difference_implIS3_Lb0ELb0EPKxPxN6thrust23THRUST_200600_302600_NS4plusIxEEEE10hipError_tPvRmT2_T3_mT4_P12ihipStream_tbEUlT_E_NS1_11comp_targetILNS1_3genE8ELNS1_11target_archE1030ELNS1_3gpuE2ELNS1_3repE0EEENS1_30default_config_static_selectorELNS0_4arch9wavefront6targetE0EEEvT1_: ; @_ZN7rocprim17ROCPRIM_400000_NS6detail17trampoline_kernelINS0_14default_configENS1_35adjacent_difference_config_selectorILb0ExEEZNS1_24adjacent_difference_implIS3_Lb0ELb0EPKxPxN6thrust23THRUST_200600_302600_NS4plusIxEEEE10hipError_tPvRmT2_T3_mT4_P12ihipStream_tbEUlT_E_NS1_11comp_targetILNS1_3genE8ELNS1_11target_archE1030ELNS1_3gpuE2ELNS1_3repE0EEENS1_30default_config_static_selectorELNS0_4arch9wavefront6targetE0EEEvT1_
; %bb.0:
	.section	.rodata,"a",@progbits
	.p2align	6, 0x0
	.amdhsa_kernel _ZN7rocprim17ROCPRIM_400000_NS6detail17trampoline_kernelINS0_14default_configENS1_35adjacent_difference_config_selectorILb0ExEEZNS1_24adjacent_difference_implIS3_Lb0ELb0EPKxPxN6thrust23THRUST_200600_302600_NS4plusIxEEEE10hipError_tPvRmT2_T3_mT4_P12ihipStream_tbEUlT_E_NS1_11comp_targetILNS1_3genE8ELNS1_11target_archE1030ELNS1_3gpuE2ELNS1_3repE0EEENS1_30default_config_static_selectorELNS0_4arch9wavefront6targetE0EEEvT1_
		.amdhsa_group_segment_fixed_size 0
		.amdhsa_private_segment_fixed_size 0
		.amdhsa_kernarg_size 56
		.amdhsa_user_sgpr_count 15
		.amdhsa_user_sgpr_dispatch_ptr 0
		.amdhsa_user_sgpr_queue_ptr 0
		.amdhsa_user_sgpr_kernarg_segment_ptr 1
		.amdhsa_user_sgpr_dispatch_id 0
		.amdhsa_user_sgpr_private_segment_size 0
		.amdhsa_wavefront_size32 1
		.amdhsa_uses_dynamic_stack 0
		.amdhsa_enable_private_segment 0
		.amdhsa_system_sgpr_workgroup_id_x 1
		.amdhsa_system_sgpr_workgroup_id_y 0
		.amdhsa_system_sgpr_workgroup_id_z 0
		.amdhsa_system_sgpr_workgroup_info 0
		.amdhsa_system_vgpr_workitem_id 0
		.amdhsa_next_free_vgpr 1
		.amdhsa_next_free_sgpr 1
		.amdhsa_reserve_vcc 0
		.amdhsa_float_round_mode_32 0
		.amdhsa_float_round_mode_16_64 0
		.amdhsa_float_denorm_mode_32 3
		.amdhsa_float_denorm_mode_16_64 3
		.amdhsa_dx10_clamp 1
		.amdhsa_ieee_mode 1
		.amdhsa_fp16_overflow 0
		.amdhsa_workgroup_processor_mode 1
		.amdhsa_memory_ordered 1
		.amdhsa_forward_progress 0
		.amdhsa_shared_vgpr_count 0
		.amdhsa_exception_fp_ieee_invalid_op 0
		.amdhsa_exception_fp_denorm_src 0
		.amdhsa_exception_fp_ieee_div_zero 0
		.amdhsa_exception_fp_ieee_overflow 0
		.amdhsa_exception_fp_ieee_underflow 0
		.amdhsa_exception_fp_ieee_inexact 0
		.amdhsa_exception_int_div_zero 0
	.end_amdhsa_kernel
	.section	.text._ZN7rocprim17ROCPRIM_400000_NS6detail17trampoline_kernelINS0_14default_configENS1_35adjacent_difference_config_selectorILb0ExEEZNS1_24adjacent_difference_implIS3_Lb0ELb0EPKxPxN6thrust23THRUST_200600_302600_NS4plusIxEEEE10hipError_tPvRmT2_T3_mT4_P12ihipStream_tbEUlT_E_NS1_11comp_targetILNS1_3genE8ELNS1_11target_archE1030ELNS1_3gpuE2ELNS1_3repE0EEENS1_30default_config_static_selectorELNS0_4arch9wavefront6targetE0EEEvT1_,"axG",@progbits,_ZN7rocprim17ROCPRIM_400000_NS6detail17trampoline_kernelINS0_14default_configENS1_35adjacent_difference_config_selectorILb0ExEEZNS1_24adjacent_difference_implIS3_Lb0ELb0EPKxPxN6thrust23THRUST_200600_302600_NS4plusIxEEEE10hipError_tPvRmT2_T3_mT4_P12ihipStream_tbEUlT_E_NS1_11comp_targetILNS1_3genE8ELNS1_11target_archE1030ELNS1_3gpuE2ELNS1_3repE0EEENS1_30default_config_static_selectorELNS0_4arch9wavefront6targetE0EEEvT1_,comdat
.Lfunc_end705:
	.size	_ZN7rocprim17ROCPRIM_400000_NS6detail17trampoline_kernelINS0_14default_configENS1_35adjacent_difference_config_selectorILb0ExEEZNS1_24adjacent_difference_implIS3_Lb0ELb0EPKxPxN6thrust23THRUST_200600_302600_NS4plusIxEEEE10hipError_tPvRmT2_T3_mT4_P12ihipStream_tbEUlT_E_NS1_11comp_targetILNS1_3genE8ELNS1_11target_archE1030ELNS1_3gpuE2ELNS1_3repE0EEENS1_30default_config_static_selectorELNS0_4arch9wavefront6targetE0EEEvT1_, .Lfunc_end705-_ZN7rocprim17ROCPRIM_400000_NS6detail17trampoline_kernelINS0_14default_configENS1_35adjacent_difference_config_selectorILb0ExEEZNS1_24adjacent_difference_implIS3_Lb0ELb0EPKxPxN6thrust23THRUST_200600_302600_NS4plusIxEEEE10hipError_tPvRmT2_T3_mT4_P12ihipStream_tbEUlT_E_NS1_11comp_targetILNS1_3genE8ELNS1_11target_archE1030ELNS1_3gpuE2ELNS1_3repE0EEENS1_30default_config_static_selectorELNS0_4arch9wavefront6targetE0EEEvT1_
                                        ; -- End function
	.section	.AMDGPU.csdata,"",@progbits
; Kernel info:
; codeLenInByte = 0
; NumSgprs: 0
; NumVgprs: 0
; ScratchSize: 0
; MemoryBound: 0
; FloatMode: 240
; IeeeMode: 1
; LDSByteSize: 0 bytes/workgroup (compile time only)
; SGPRBlocks: 0
; VGPRBlocks: 0
; NumSGPRsForWavesPerEU: 1
; NumVGPRsForWavesPerEU: 1
; Occupancy: 16
; WaveLimiterHint : 0
; COMPUTE_PGM_RSRC2:SCRATCH_EN: 0
; COMPUTE_PGM_RSRC2:USER_SGPR: 15
; COMPUTE_PGM_RSRC2:TRAP_HANDLER: 0
; COMPUTE_PGM_RSRC2:TGID_X_EN: 1
; COMPUTE_PGM_RSRC2:TGID_Y_EN: 0
; COMPUTE_PGM_RSRC2:TGID_Z_EN: 0
; COMPUTE_PGM_RSRC2:TIDIG_COMP_CNT: 0
	.section	.text._ZN7rocprim17ROCPRIM_400000_NS6detail17trampoline_kernelINS0_14default_configENS1_25transform_config_selectorIxLb0EEEZNS1_14transform_implILb0ES3_S5_NS0_18transform_iteratorINS0_17counting_iteratorImlEEZNS1_24adjacent_difference_implIS3_Lb1ELb0EPKxPxN6thrust23THRUST_200600_302600_NS4plusIxEEEE10hipError_tPvRmT2_T3_mT4_P12ihipStream_tbEUlmE_xEESD_NS0_8identityIvEEEESI_SL_SM_mSN_SP_bEUlT_E_NS1_11comp_targetILNS1_3genE0ELNS1_11target_archE4294967295ELNS1_3gpuE0ELNS1_3repE0EEENS1_30default_config_static_selectorELNS0_4arch9wavefront6targetE0EEEvT1_,"axG",@progbits,_ZN7rocprim17ROCPRIM_400000_NS6detail17trampoline_kernelINS0_14default_configENS1_25transform_config_selectorIxLb0EEEZNS1_14transform_implILb0ES3_S5_NS0_18transform_iteratorINS0_17counting_iteratorImlEEZNS1_24adjacent_difference_implIS3_Lb1ELb0EPKxPxN6thrust23THRUST_200600_302600_NS4plusIxEEEE10hipError_tPvRmT2_T3_mT4_P12ihipStream_tbEUlmE_xEESD_NS0_8identityIvEEEESI_SL_SM_mSN_SP_bEUlT_E_NS1_11comp_targetILNS1_3genE0ELNS1_11target_archE4294967295ELNS1_3gpuE0ELNS1_3repE0EEENS1_30default_config_static_selectorELNS0_4arch9wavefront6targetE0EEEvT1_,comdat
	.protected	_ZN7rocprim17ROCPRIM_400000_NS6detail17trampoline_kernelINS0_14default_configENS1_25transform_config_selectorIxLb0EEEZNS1_14transform_implILb0ES3_S5_NS0_18transform_iteratorINS0_17counting_iteratorImlEEZNS1_24adjacent_difference_implIS3_Lb1ELb0EPKxPxN6thrust23THRUST_200600_302600_NS4plusIxEEEE10hipError_tPvRmT2_T3_mT4_P12ihipStream_tbEUlmE_xEESD_NS0_8identityIvEEEESI_SL_SM_mSN_SP_bEUlT_E_NS1_11comp_targetILNS1_3genE0ELNS1_11target_archE4294967295ELNS1_3gpuE0ELNS1_3repE0EEENS1_30default_config_static_selectorELNS0_4arch9wavefront6targetE0EEEvT1_ ; -- Begin function _ZN7rocprim17ROCPRIM_400000_NS6detail17trampoline_kernelINS0_14default_configENS1_25transform_config_selectorIxLb0EEEZNS1_14transform_implILb0ES3_S5_NS0_18transform_iteratorINS0_17counting_iteratorImlEEZNS1_24adjacent_difference_implIS3_Lb1ELb0EPKxPxN6thrust23THRUST_200600_302600_NS4plusIxEEEE10hipError_tPvRmT2_T3_mT4_P12ihipStream_tbEUlmE_xEESD_NS0_8identityIvEEEESI_SL_SM_mSN_SP_bEUlT_E_NS1_11comp_targetILNS1_3genE0ELNS1_11target_archE4294967295ELNS1_3gpuE0ELNS1_3repE0EEENS1_30default_config_static_selectorELNS0_4arch9wavefront6targetE0EEEvT1_
	.globl	_ZN7rocprim17ROCPRIM_400000_NS6detail17trampoline_kernelINS0_14default_configENS1_25transform_config_selectorIxLb0EEEZNS1_14transform_implILb0ES3_S5_NS0_18transform_iteratorINS0_17counting_iteratorImlEEZNS1_24adjacent_difference_implIS3_Lb1ELb0EPKxPxN6thrust23THRUST_200600_302600_NS4plusIxEEEE10hipError_tPvRmT2_T3_mT4_P12ihipStream_tbEUlmE_xEESD_NS0_8identityIvEEEESI_SL_SM_mSN_SP_bEUlT_E_NS1_11comp_targetILNS1_3genE0ELNS1_11target_archE4294967295ELNS1_3gpuE0ELNS1_3repE0EEENS1_30default_config_static_selectorELNS0_4arch9wavefront6targetE0EEEvT1_
	.p2align	8
	.type	_ZN7rocprim17ROCPRIM_400000_NS6detail17trampoline_kernelINS0_14default_configENS1_25transform_config_selectorIxLb0EEEZNS1_14transform_implILb0ES3_S5_NS0_18transform_iteratorINS0_17counting_iteratorImlEEZNS1_24adjacent_difference_implIS3_Lb1ELb0EPKxPxN6thrust23THRUST_200600_302600_NS4plusIxEEEE10hipError_tPvRmT2_T3_mT4_P12ihipStream_tbEUlmE_xEESD_NS0_8identityIvEEEESI_SL_SM_mSN_SP_bEUlT_E_NS1_11comp_targetILNS1_3genE0ELNS1_11target_archE4294967295ELNS1_3gpuE0ELNS1_3repE0EEENS1_30default_config_static_selectorELNS0_4arch9wavefront6targetE0EEEvT1_,@function
_ZN7rocprim17ROCPRIM_400000_NS6detail17trampoline_kernelINS0_14default_configENS1_25transform_config_selectorIxLb0EEEZNS1_14transform_implILb0ES3_S5_NS0_18transform_iteratorINS0_17counting_iteratorImlEEZNS1_24adjacent_difference_implIS3_Lb1ELb0EPKxPxN6thrust23THRUST_200600_302600_NS4plusIxEEEE10hipError_tPvRmT2_T3_mT4_P12ihipStream_tbEUlmE_xEESD_NS0_8identityIvEEEESI_SL_SM_mSN_SP_bEUlT_E_NS1_11comp_targetILNS1_3genE0ELNS1_11target_archE4294967295ELNS1_3gpuE0ELNS1_3repE0EEENS1_30default_config_static_selectorELNS0_4arch9wavefront6targetE0EEEvT1_: ; @_ZN7rocprim17ROCPRIM_400000_NS6detail17trampoline_kernelINS0_14default_configENS1_25transform_config_selectorIxLb0EEEZNS1_14transform_implILb0ES3_S5_NS0_18transform_iteratorINS0_17counting_iteratorImlEEZNS1_24adjacent_difference_implIS3_Lb1ELb0EPKxPxN6thrust23THRUST_200600_302600_NS4plusIxEEEE10hipError_tPvRmT2_T3_mT4_P12ihipStream_tbEUlmE_xEESD_NS0_8identityIvEEEESI_SL_SM_mSN_SP_bEUlT_E_NS1_11comp_targetILNS1_3genE0ELNS1_11target_archE4294967295ELNS1_3gpuE0ELNS1_3repE0EEENS1_30default_config_static_selectorELNS0_4arch9wavefront6targetE0EEEvT1_
; %bb.0:
	.section	.rodata,"a",@progbits
	.p2align	6, 0x0
	.amdhsa_kernel _ZN7rocprim17ROCPRIM_400000_NS6detail17trampoline_kernelINS0_14default_configENS1_25transform_config_selectorIxLb0EEEZNS1_14transform_implILb0ES3_S5_NS0_18transform_iteratorINS0_17counting_iteratorImlEEZNS1_24adjacent_difference_implIS3_Lb1ELb0EPKxPxN6thrust23THRUST_200600_302600_NS4plusIxEEEE10hipError_tPvRmT2_T3_mT4_P12ihipStream_tbEUlmE_xEESD_NS0_8identityIvEEEESI_SL_SM_mSN_SP_bEUlT_E_NS1_11comp_targetILNS1_3genE0ELNS1_11target_archE4294967295ELNS1_3gpuE0ELNS1_3repE0EEENS1_30default_config_static_selectorELNS0_4arch9wavefront6targetE0EEEvT1_
		.amdhsa_group_segment_fixed_size 0
		.amdhsa_private_segment_fixed_size 0
		.amdhsa_kernarg_size 56
		.amdhsa_user_sgpr_count 15
		.amdhsa_user_sgpr_dispatch_ptr 0
		.amdhsa_user_sgpr_queue_ptr 0
		.amdhsa_user_sgpr_kernarg_segment_ptr 1
		.amdhsa_user_sgpr_dispatch_id 0
		.amdhsa_user_sgpr_private_segment_size 0
		.amdhsa_wavefront_size32 1
		.amdhsa_uses_dynamic_stack 0
		.amdhsa_enable_private_segment 0
		.amdhsa_system_sgpr_workgroup_id_x 1
		.amdhsa_system_sgpr_workgroup_id_y 0
		.amdhsa_system_sgpr_workgroup_id_z 0
		.amdhsa_system_sgpr_workgroup_info 0
		.amdhsa_system_vgpr_workitem_id 0
		.amdhsa_next_free_vgpr 1
		.amdhsa_next_free_sgpr 1
		.amdhsa_reserve_vcc 0
		.amdhsa_float_round_mode_32 0
		.amdhsa_float_round_mode_16_64 0
		.amdhsa_float_denorm_mode_32 3
		.amdhsa_float_denorm_mode_16_64 3
		.amdhsa_dx10_clamp 1
		.amdhsa_ieee_mode 1
		.amdhsa_fp16_overflow 0
		.amdhsa_workgroup_processor_mode 1
		.amdhsa_memory_ordered 1
		.amdhsa_forward_progress 0
		.amdhsa_shared_vgpr_count 0
		.amdhsa_exception_fp_ieee_invalid_op 0
		.amdhsa_exception_fp_denorm_src 0
		.amdhsa_exception_fp_ieee_div_zero 0
		.amdhsa_exception_fp_ieee_overflow 0
		.amdhsa_exception_fp_ieee_underflow 0
		.amdhsa_exception_fp_ieee_inexact 0
		.amdhsa_exception_int_div_zero 0
	.end_amdhsa_kernel
	.section	.text._ZN7rocprim17ROCPRIM_400000_NS6detail17trampoline_kernelINS0_14default_configENS1_25transform_config_selectorIxLb0EEEZNS1_14transform_implILb0ES3_S5_NS0_18transform_iteratorINS0_17counting_iteratorImlEEZNS1_24adjacent_difference_implIS3_Lb1ELb0EPKxPxN6thrust23THRUST_200600_302600_NS4plusIxEEEE10hipError_tPvRmT2_T3_mT4_P12ihipStream_tbEUlmE_xEESD_NS0_8identityIvEEEESI_SL_SM_mSN_SP_bEUlT_E_NS1_11comp_targetILNS1_3genE0ELNS1_11target_archE4294967295ELNS1_3gpuE0ELNS1_3repE0EEENS1_30default_config_static_selectorELNS0_4arch9wavefront6targetE0EEEvT1_,"axG",@progbits,_ZN7rocprim17ROCPRIM_400000_NS6detail17trampoline_kernelINS0_14default_configENS1_25transform_config_selectorIxLb0EEEZNS1_14transform_implILb0ES3_S5_NS0_18transform_iteratorINS0_17counting_iteratorImlEEZNS1_24adjacent_difference_implIS3_Lb1ELb0EPKxPxN6thrust23THRUST_200600_302600_NS4plusIxEEEE10hipError_tPvRmT2_T3_mT4_P12ihipStream_tbEUlmE_xEESD_NS0_8identityIvEEEESI_SL_SM_mSN_SP_bEUlT_E_NS1_11comp_targetILNS1_3genE0ELNS1_11target_archE4294967295ELNS1_3gpuE0ELNS1_3repE0EEENS1_30default_config_static_selectorELNS0_4arch9wavefront6targetE0EEEvT1_,comdat
.Lfunc_end706:
	.size	_ZN7rocprim17ROCPRIM_400000_NS6detail17trampoline_kernelINS0_14default_configENS1_25transform_config_selectorIxLb0EEEZNS1_14transform_implILb0ES3_S5_NS0_18transform_iteratorINS0_17counting_iteratorImlEEZNS1_24adjacent_difference_implIS3_Lb1ELb0EPKxPxN6thrust23THRUST_200600_302600_NS4plusIxEEEE10hipError_tPvRmT2_T3_mT4_P12ihipStream_tbEUlmE_xEESD_NS0_8identityIvEEEESI_SL_SM_mSN_SP_bEUlT_E_NS1_11comp_targetILNS1_3genE0ELNS1_11target_archE4294967295ELNS1_3gpuE0ELNS1_3repE0EEENS1_30default_config_static_selectorELNS0_4arch9wavefront6targetE0EEEvT1_, .Lfunc_end706-_ZN7rocprim17ROCPRIM_400000_NS6detail17trampoline_kernelINS0_14default_configENS1_25transform_config_selectorIxLb0EEEZNS1_14transform_implILb0ES3_S5_NS0_18transform_iteratorINS0_17counting_iteratorImlEEZNS1_24adjacent_difference_implIS3_Lb1ELb0EPKxPxN6thrust23THRUST_200600_302600_NS4plusIxEEEE10hipError_tPvRmT2_T3_mT4_P12ihipStream_tbEUlmE_xEESD_NS0_8identityIvEEEESI_SL_SM_mSN_SP_bEUlT_E_NS1_11comp_targetILNS1_3genE0ELNS1_11target_archE4294967295ELNS1_3gpuE0ELNS1_3repE0EEENS1_30default_config_static_selectorELNS0_4arch9wavefront6targetE0EEEvT1_
                                        ; -- End function
	.section	.AMDGPU.csdata,"",@progbits
; Kernel info:
; codeLenInByte = 0
; NumSgprs: 0
; NumVgprs: 0
; ScratchSize: 0
; MemoryBound: 0
; FloatMode: 240
; IeeeMode: 1
; LDSByteSize: 0 bytes/workgroup (compile time only)
; SGPRBlocks: 0
; VGPRBlocks: 0
; NumSGPRsForWavesPerEU: 1
; NumVGPRsForWavesPerEU: 1
; Occupancy: 16
; WaveLimiterHint : 0
; COMPUTE_PGM_RSRC2:SCRATCH_EN: 0
; COMPUTE_PGM_RSRC2:USER_SGPR: 15
; COMPUTE_PGM_RSRC2:TRAP_HANDLER: 0
; COMPUTE_PGM_RSRC2:TGID_X_EN: 1
; COMPUTE_PGM_RSRC2:TGID_Y_EN: 0
; COMPUTE_PGM_RSRC2:TGID_Z_EN: 0
; COMPUTE_PGM_RSRC2:TIDIG_COMP_CNT: 0
	.section	.text._ZN7rocprim17ROCPRIM_400000_NS6detail17trampoline_kernelINS0_14default_configENS1_25transform_config_selectorIxLb0EEEZNS1_14transform_implILb0ES3_S5_NS0_18transform_iteratorINS0_17counting_iteratorImlEEZNS1_24adjacent_difference_implIS3_Lb1ELb0EPKxPxN6thrust23THRUST_200600_302600_NS4plusIxEEEE10hipError_tPvRmT2_T3_mT4_P12ihipStream_tbEUlmE_xEESD_NS0_8identityIvEEEESI_SL_SM_mSN_SP_bEUlT_E_NS1_11comp_targetILNS1_3genE5ELNS1_11target_archE942ELNS1_3gpuE9ELNS1_3repE0EEENS1_30default_config_static_selectorELNS0_4arch9wavefront6targetE0EEEvT1_,"axG",@progbits,_ZN7rocprim17ROCPRIM_400000_NS6detail17trampoline_kernelINS0_14default_configENS1_25transform_config_selectorIxLb0EEEZNS1_14transform_implILb0ES3_S5_NS0_18transform_iteratorINS0_17counting_iteratorImlEEZNS1_24adjacent_difference_implIS3_Lb1ELb0EPKxPxN6thrust23THRUST_200600_302600_NS4plusIxEEEE10hipError_tPvRmT2_T3_mT4_P12ihipStream_tbEUlmE_xEESD_NS0_8identityIvEEEESI_SL_SM_mSN_SP_bEUlT_E_NS1_11comp_targetILNS1_3genE5ELNS1_11target_archE942ELNS1_3gpuE9ELNS1_3repE0EEENS1_30default_config_static_selectorELNS0_4arch9wavefront6targetE0EEEvT1_,comdat
	.protected	_ZN7rocprim17ROCPRIM_400000_NS6detail17trampoline_kernelINS0_14default_configENS1_25transform_config_selectorIxLb0EEEZNS1_14transform_implILb0ES3_S5_NS0_18transform_iteratorINS0_17counting_iteratorImlEEZNS1_24adjacent_difference_implIS3_Lb1ELb0EPKxPxN6thrust23THRUST_200600_302600_NS4plusIxEEEE10hipError_tPvRmT2_T3_mT4_P12ihipStream_tbEUlmE_xEESD_NS0_8identityIvEEEESI_SL_SM_mSN_SP_bEUlT_E_NS1_11comp_targetILNS1_3genE5ELNS1_11target_archE942ELNS1_3gpuE9ELNS1_3repE0EEENS1_30default_config_static_selectorELNS0_4arch9wavefront6targetE0EEEvT1_ ; -- Begin function _ZN7rocprim17ROCPRIM_400000_NS6detail17trampoline_kernelINS0_14default_configENS1_25transform_config_selectorIxLb0EEEZNS1_14transform_implILb0ES3_S5_NS0_18transform_iteratorINS0_17counting_iteratorImlEEZNS1_24adjacent_difference_implIS3_Lb1ELb0EPKxPxN6thrust23THRUST_200600_302600_NS4plusIxEEEE10hipError_tPvRmT2_T3_mT4_P12ihipStream_tbEUlmE_xEESD_NS0_8identityIvEEEESI_SL_SM_mSN_SP_bEUlT_E_NS1_11comp_targetILNS1_3genE5ELNS1_11target_archE942ELNS1_3gpuE9ELNS1_3repE0EEENS1_30default_config_static_selectorELNS0_4arch9wavefront6targetE0EEEvT1_
	.globl	_ZN7rocprim17ROCPRIM_400000_NS6detail17trampoline_kernelINS0_14default_configENS1_25transform_config_selectorIxLb0EEEZNS1_14transform_implILb0ES3_S5_NS0_18transform_iteratorINS0_17counting_iteratorImlEEZNS1_24adjacent_difference_implIS3_Lb1ELb0EPKxPxN6thrust23THRUST_200600_302600_NS4plusIxEEEE10hipError_tPvRmT2_T3_mT4_P12ihipStream_tbEUlmE_xEESD_NS0_8identityIvEEEESI_SL_SM_mSN_SP_bEUlT_E_NS1_11comp_targetILNS1_3genE5ELNS1_11target_archE942ELNS1_3gpuE9ELNS1_3repE0EEENS1_30default_config_static_selectorELNS0_4arch9wavefront6targetE0EEEvT1_
	.p2align	8
	.type	_ZN7rocprim17ROCPRIM_400000_NS6detail17trampoline_kernelINS0_14default_configENS1_25transform_config_selectorIxLb0EEEZNS1_14transform_implILb0ES3_S5_NS0_18transform_iteratorINS0_17counting_iteratorImlEEZNS1_24adjacent_difference_implIS3_Lb1ELb0EPKxPxN6thrust23THRUST_200600_302600_NS4plusIxEEEE10hipError_tPvRmT2_T3_mT4_P12ihipStream_tbEUlmE_xEESD_NS0_8identityIvEEEESI_SL_SM_mSN_SP_bEUlT_E_NS1_11comp_targetILNS1_3genE5ELNS1_11target_archE942ELNS1_3gpuE9ELNS1_3repE0EEENS1_30default_config_static_selectorELNS0_4arch9wavefront6targetE0EEEvT1_,@function
_ZN7rocprim17ROCPRIM_400000_NS6detail17trampoline_kernelINS0_14default_configENS1_25transform_config_selectorIxLb0EEEZNS1_14transform_implILb0ES3_S5_NS0_18transform_iteratorINS0_17counting_iteratorImlEEZNS1_24adjacent_difference_implIS3_Lb1ELb0EPKxPxN6thrust23THRUST_200600_302600_NS4plusIxEEEE10hipError_tPvRmT2_T3_mT4_P12ihipStream_tbEUlmE_xEESD_NS0_8identityIvEEEESI_SL_SM_mSN_SP_bEUlT_E_NS1_11comp_targetILNS1_3genE5ELNS1_11target_archE942ELNS1_3gpuE9ELNS1_3repE0EEENS1_30default_config_static_selectorELNS0_4arch9wavefront6targetE0EEEvT1_: ; @_ZN7rocprim17ROCPRIM_400000_NS6detail17trampoline_kernelINS0_14default_configENS1_25transform_config_selectorIxLb0EEEZNS1_14transform_implILb0ES3_S5_NS0_18transform_iteratorINS0_17counting_iteratorImlEEZNS1_24adjacent_difference_implIS3_Lb1ELb0EPKxPxN6thrust23THRUST_200600_302600_NS4plusIxEEEE10hipError_tPvRmT2_T3_mT4_P12ihipStream_tbEUlmE_xEESD_NS0_8identityIvEEEESI_SL_SM_mSN_SP_bEUlT_E_NS1_11comp_targetILNS1_3genE5ELNS1_11target_archE942ELNS1_3gpuE9ELNS1_3repE0EEENS1_30default_config_static_selectorELNS0_4arch9wavefront6targetE0EEEvT1_
; %bb.0:
	.section	.rodata,"a",@progbits
	.p2align	6, 0x0
	.amdhsa_kernel _ZN7rocprim17ROCPRIM_400000_NS6detail17trampoline_kernelINS0_14default_configENS1_25transform_config_selectorIxLb0EEEZNS1_14transform_implILb0ES3_S5_NS0_18transform_iteratorINS0_17counting_iteratorImlEEZNS1_24adjacent_difference_implIS3_Lb1ELb0EPKxPxN6thrust23THRUST_200600_302600_NS4plusIxEEEE10hipError_tPvRmT2_T3_mT4_P12ihipStream_tbEUlmE_xEESD_NS0_8identityIvEEEESI_SL_SM_mSN_SP_bEUlT_E_NS1_11comp_targetILNS1_3genE5ELNS1_11target_archE942ELNS1_3gpuE9ELNS1_3repE0EEENS1_30default_config_static_selectorELNS0_4arch9wavefront6targetE0EEEvT1_
		.amdhsa_group_segment_fixed_size 0
		.amdhsa_private_segment_fixed_size 0
		.amdhsa_kernarg_size 56
		.amdhsa_user_sgpr_count 15
		.amdhsa_user_sgpr_dispatch_ptr 0
		.amdhsa_user_sgpr_queue_ptr 0
		.amdhsa_user_sgpr_kernarg_segment_ptr 1
		.amdhsa_user_sgpr_dispatch_id 0
		.amdhsa_user_sgpr_private_segment_size 0
		.amdhsa_wavefront_size32 1
		.amdhsa_uses_dynamic_stack 0
		.amdhsa_enable_private_segment 0
		.amdhsa_system_sgpr_workgroup_id_x 1
		.amdhsa_system_sgpr_workgroup_id_y 0
		.amdhsa_system_sgpr_workgroup_id_z 0
		.amdhsa_system_sgpr_workgroup_info 0
		.amdhsa_system_vgpr_workitem_id 0
		.amdhsa_next_free_vgpr 1
		.amdhsa_next_free_sgpr 1
		.amdhsa_reserve_vcc 0
		.amdhsa_float_round_mode_32 0
		.amdhsa_float_round_mode_16_64 0
		.amdhsa_float_denorm_mode_32 3
		.amdhsa_float_denorm_mode_16_64 3
		.amdhsa_dx10_clamp 1
		.amdhsa_ieee_mode 1
		.amdhsa_fp16_overflow 0
		.amdhsa_workgroup_processor_mode 1
		.amdhsa_memory_ordered 1
		.amdhsa_forward_progress 0
		.amdhsa_shared_vgpr_count 0
		.amdhsa_exception_fp_ieee_invalid_op 0
		.amdhsa_exception_fp_denorm_src 0
		.amdhsa_exception_fp_ieee_div_zero 0
		.amdhsa_exception_fp_ieee_overflow 0
		.amdhsa_exception_fp_ieee_underflow 0
		.amdhsa_exception_fp_ieee_inexact 0
		.amdhsa_exception_int_div_zero 0
	.end_amdhsa_kernel
	.section	.text._ZN7rocprim17ROCPRIM_400000_NS6detail17trampoline_kernelINS0_14default_configENS1_25transform_config_selectorIxLb0EEEZNS1_14transform_implILb0ES3_S5_NS0_18transform_iteratorINS0_17counting_iteratorImlEEZNS1_24adjacent_difference_implIS3_Lb1ELb0EPKxPxN6thrust23THRUST_200600_302600_NS4plusIxEEEE10hipError_tPvRmT2_T3_mT4_P12ihipStream_tbEUlmE_xEESD_NS0_8identityIvEEEESI_SL_SM_mSN_SP_bEUlT_E_NS1_11comp_targetILNS1_3genE5ELNS1_11target_archE942ELNS1_3gpuE9ELNS1_3repE0EEENS1_30default_config_static_selectorELNS0_4arch9wavefront6targetE0EEEvT1_,"axG",@progbits,_ZN7rocprim17ROCPRIM_400000_NS6detail17trampoline_kernelINS0_14default_configENS1_25transform_config_selectorIxLb0EEEZNS1_14transform_implILb0ES3_S5_NS0_18transform_iteratorINS0_17counting_iteratorImlEEZNS1_24adjacent_difference_implIS3_Lb1ELb0EPKxPxN6thrust23THRUST_200600_302600_NS4plusIxEEEE10hipError_tPvRmT2_T3_mT4_P12ihipStream_tbEUlmE_xEESD_NS0_8identityIvEEEESI_SL_SM_mSN_SP_bEUlT_E_NS1_11comp_targetILNS1_3genE5ELNS1_11target_archE942ELNS1_3gpuE9ELNS1_3repE0EEENS1_30default_config_static_selectorELNS0_4arch9wavefront6targetE0EEEvT1_,comdat
.Lfunc_end707:
	.size	_ZN7rocprim17ROCPRIM_400000_NS6detail17trampoline_kernelINS0_14default_configENS1_25transform_config_selectorIxLb0EEEZNS1_14transform_implILb0ES3_S5_NS0_18transform_iteratorINS0_17counting_iteratorImlEEZNS1_24adjacent_difference_implIS3_Lb1ELb0EPKxPxN6thrust23THRUST_200600_302600_NS4plusIxEEEE10hipError_tPvRmT2_T3_mT4_P12ihipStream_tbEUlmE_xEESD_NS0_8identityIvEEEESI_SL_SM_mSN_SP_bEUlT_E_NS1_11comp_targetILNS1_3genE5ELNS1_11target_archE942ELNS1_3gpuE9ELNS1_3repE0EEENS1_30default_config_static_selectorELNS0_4arch9wavefront6targetE0EEEvT1_, .Lfunc_end707-_ZN7rocprim17ROCPRIM_400000_NS6detail17trampoline_kernelINS0_14default_configENS1_25transform_config_selectorIxLb0EEEZNS1_14transform_implILb0ES3_S5_NS0_18transform_iteratorINS0_17counting_iteratorImlEEZNS1_24adjacent_difference_implIS3_Lb1ELb0EPKxPxN6thrust23THRUST_200600_302600_NS4plusIxEEEE10hipError_tPvRmT2_T3_mT4_P12ihipStream_tbEUlmE_xEESD_NS0_8identityIvEEEESI_SL_SM_mSN_SP_bEUlT_E_NS1_11comp_targetILNS1_3genE5ELNS1_11target_archE942ELNS1_3gpuE9ELNS1_3repE0EEENS1_30default_config_static_selectorELNS0_4arch9wavefront6targetE0EEEvT1_
                                        ; -- End function
	.section	.AMDGPU.csdata,"",@progbits
; Kernel info:
; codeLenInByte = 0
; NumSgprs: 0
; NumVgprs: 0
; ScratchSize: 0
; MemoryBound: 0
; FloatMode: 240
; IeeeMode: 1
; LDSByteSize: 0 bytes/workgroup (compile time only)
; SGPRBlocks: 0
; VGPRBlocks: 0
; NumSGPRsForWavesPerEU: 1
; NumVGPRsForWavesPerEU: 1
; Occupancy: 16
; WaveLimiterHint : 0
; COMPUTE_PGM_RSRC2:SCRATCH_EN: 0
; COMPUTE_PGM_RSRC2:USER_SGPR: 15
; COMPUTE_PGM_RSRC2:TRAP_HANDLER: 0
; COMPUTE_PGM_RSRC2:TGID_X_EN: 1
; COMPUTE_PGM_RSRC2:TGID_Y_EN: 0
; COMPUTE_PGM_RSRC2:TGID_Z_EN: 0
; COMPUTE_PGM_RSRC2:TIDIG_COMP_CNT: 0
	.section	.text._ZN7rocprim17ROCPRIM_400000_NS6detail17trampoline_kernelINS0_14default_configENS1_25transform_config_selectorIxLb0EEEZNS1_14transform_implILb0ES3_S5_NS0_18transform_iteratorINS0_17counting_iteratorImlEEZNS1_24adjacent_difference_implIS3_Lb1ELb0EPKxPxN6thrust23THRUST_200600_302600_NS4plusIxEEEE10hipError_tPvRmT2_T3_mT4_P12ihipStream_tbEUlmE_xEESD_NS0_8identityIvEEEESI_SL_SM_mSN_SP_bEUlT_E_NS1_11comp_targetILNS1_3genE4ELNS1_11target_archE910ELNS1_3gpuE8ELNS1_3repE0EEENS1_30default_config_static_selectorELNS0_4arch9wavefront6targetE0EEEvT1_,"axG",@progbits,_ZN7rocprim17ROCPRIM_400000_NS6detail17trampoline_kernelINS0_14default_configENS1_25transform_config_selectorIxLb0EEEZNS1_14transform_implILb0ES3_S5_NS0_18transform_iteratorINS0_17counting_iteratorImlEEZNS1_24adjacent_difference_implIS3_Lb1ELb0EPKxPxN6thrust23THRUST_200600_302600_NS4plusIxEEEE10hipError_tPvRmT2_T3_mT4_P12ihipStream_tbEUlmE_xEESD_NS0_8identityIvEEEESI_SL_SM_mSN_SP_bEUlT_E_NS1_11comp_targetILNS1_3genE4ELNS1_11target_archE910ELNS1_3gpuE8ELNS1_3repE0EEENS1_30default_config_static_selectorELNS0_4arch9wavefront6targetE0EEEvT1_,comdat
	.protected	_ZN7rocprim17ROCPRIM_400000_NS6detail17trampoline_kernelINS0_14default_configENS1_25transform_config_selectorIxLb0EEEZNS1_14transform_implILb0ES3_S5_NS0_18transform_iteratorINS0_17counting_iteratorImlEEZNS1_24adjacent_difference_implIS3_Lb1ELb0EPKxPxN6thrust23THRUST_200600_302600_NS4plusIxEEEE10hipError_tPvRmT2_T3_mT4_P12ihipStream_tbEUlmE_xEESD_NS0_8identityIvEEEESI_SL_SM_mSN_SP_bEUlT_E_NS1_11comp_targetILNS1_3genE4ELNS1_11target_archE910ELNS1_3gpuE8ELNS1_3repE0EEENS1_30default_config_static_selectorELNS0_4arch9wavefront6targetE0EEEvT1_ ; -- Begin function _ZN7rocprim17ROCPRIM_400000_NS6detail17trampoline_kernelINS0_14default_configENS1_25transform_config_selectorIxLb0EEEZNS1_14transform_implILb0ES3_S5_NS0_18transform_iteratorINS0_17counting_iteratorImlEEZNS1_24adjacent_difference_implIS3_Lb1ELb0EPKxPxN6thrust23THRUST_200600_302600_NS4plusIxEEEE10hipError_tPvRmT2_T3_mT4_P12ihipStream_tbEUlmE_xEESD_NS0_8identityIvEEEESI_SL_SM_mSN_SP_bEUlT_E_NS1_11comp_targetILNS1_3genE4ELNS1_11target_archE910ELNS1_3gpuE8ELNS1_3repE0EEENS1_30default_config_static_selectorELNS0_4arch9wavefront6targetE0EEEvT1_
	.globl	_ZN7rocprim17ROCPRIM_400000_NS6detail17trampoline_kernelINS0_14default_configENS1_25transform_config_selectorIxLb0EEEZNS1_14transform_implILb0ES3_S5_NS0_18transform_iteratorINS0_17counting_iteratorImlEEZNS1_24adjacent_difference_implIS3_Lb1ELb0EPKxPxN6thrust23THRUST_200600_302600_NS4plusIxEEEE10hipError_tPvRmT2_T3_mT4_P12ihipStream_tbEUlmE_xEESD_NS0_8identityIvEEEESI_SL_SM_mSN_SP_bEUlT_E_NS1_11comp_targetILNS1_3genE4ELNS1_11target_archE910ELNS1_3gpuE8ELNS1_3repE0EEENS1_30default_config_static_selectorELNS0_4arch9wavefront6targetE0EEEvT1_
	.p2align	8
	.type	_ZN7rocprim17ROCPRIM_400000_NS6detail17trampoline_kernelINS0_14default_configENS1_25transform_config_selectorIxLb0EEEZNS1_14transform_implILb0ES3_S5_NS0_18transform_iteratorINS0_17counting_iteratorImlEEZNS1_24adjacent_difference_implIS3_Lb1ELb0EPKxPxN6thrust23THRUST_200600_302600_NS4plusIxEEEE10hipError_tPvRmT2_T3_mT4_P12ihipStream_tbEUlmE_xEESD_NS0_8identityIvEEEESI_SL_SM_mSN_SP_bEUlT_E_NS1_11comp_targetILNS1_3genE4ELNS1_11target_archE910ELNS1_3gpuE8ELNS1_3repE0EEENS1_30default_config_static_selectorELNS0_4arch9wavefront6targetE0EEEvT1_,@function
_ZN7rocprim17ROCPRIM_400000_NS6detail17trampoline_kernelINS0_14default_configENS1_25transform_config_selectorIxLb0EEEZNS1_14transform_implILb0ES3_S5_NS0_18transform_iteratorINS0_17counting_iteratorImlEEZNS1_24adjacent_difference_implIS3_Lb1ELb0EPKxPxN6thrust23THRUST_200600_302600_NS4plusIxEEEE10hipError_tPvRmT2_T3_mT4_P12ihipStream_tbEUlmE_xEESD_NS0_8identityIvEEEESI_SL_SM_mSN_SP_bEUlT_E_NS1_11comp_targetILNS1_3genE4ELNS1_11target_archE910ELNS1_3gpuE8ELNS1_3repE0EEENS1_30default_config_static_selectorELNS0_4arch9wavefront6targetE0EEEvT1_: ; @_ZN7rocprim17ROCPRIM_400000_NS6detail17trampoline_kernelINS0_14default_configENS1_25transform_config_selectorIxLb0EEEZNS1_14transform_implILb0ES3_S5_NS0_18transform_iteratorINS0_17counting_iteratorImlEEZNS1_24adjacent_difference_implIS3_Lb1ELb0EPKxPxN6thrust23THRUST_200600_302600_NS4plusIxEEEE10hipError_tPvRmT2_T3_mT4_P12ihipStream_tbEUlmE_xEESD_NS0_8identityIvEEEESI_SL_SM_mSN_SP_bEUlT_E_NS1_11comp_targetILNS1_3genE4ELNS1_11target_archE910ELNS1_3gpuE8ELNS1_3repE0EEENS1_30default_config_static_selectorELNS0_4arch9wavefront6targetE0EEEvT1_
; %bb.0:
	.section	.rodata,"a",@progbits
	.p2align	6, 0x0
	.amdhsa_kernel _ZN7rocprim17ROCPRIM_400000_NS6detail17trampoline_kernelINS0_14default_configENS1_25transform_config_selectorIxLb0EEEZNS1_14transform_implILb0ES3_S5_NS0_18transform_iteratorINS0_17counting_iteratorImlEEZNS1_24adjacent_difference_implIS3_Lb1ELb0EPKxPxN6thrust23THRUST_200600_302600_NS4plusIxEEEE10hipError_tPvRmT2_T3_mT4_P12ihipStream_tbEUlmE_xEESD_NS0_8identityIvEEEESI_SL_SM_mSN_SP_bEUlT_E_NS1_11comp_targetILNS1_3genE4ELNS1_11target_archE910ELNS1_3gpuE8ELNS1_3repE0EEENS1_30default_config_static_selectorELNS0_4arch9wavefront6targetE0EEEvT1_
		.amdhsa_group_segment_fixed_size 0
		.amdhsa_private_segment_fixed_size 0
		.amdhsa_kernarg_size 56
		.amdhsa_user_sgpr_count 15
		.amdhsa_user_sgpr_dispatch_ptr 0
		.amdhsa_user_sgpr_queue_ptr 0
		.amdhsa_user_sgpr_kernarg_segment_ptr 1
		.amdhsa_user_sgpr_dispatch_id 0
		.amdhsa_user_sgpr_private_segment_size 0
		.amdhsa_wavefront_size32 1
		.amdhsa_uses_dynamic_stack 0
		.amdhsa_enable_private_segment 0
		.amdhsa_system_sgpr_workgroup_id_x 1
		.amdhsa_system_sgpr_workgroup_id_y 0
		.amdhsa_system_sgpr_workgroup_id_z 0
		.amdhsa_system_sgpr_workgroup_info 0
		.amdhsa_system_vgpr_workitem_id 0
		.amdhsa_next_free_vgpr 1
		.amdhsa_next_free_sgpr 1
		.amdhsa_reserve_vcc 0
		.amdhsa_float_round_mode_32 0
		.amdhsa_float_round_mode_16_64 0
		.amdhsa_float_denorm_mode_32 3
		.amdhsa_float_denorm_mode_16_64 3
		.amdhsa_dx10_clamp 1
		.amdhsa_ieee_mode 1
		.amdhsa_fp16_overflow 0
		.amdhsa_workgroup_processor_mode 1
		.amdhsa_memory_ordered 1
		.amdhsa_forward_progress 0
		.amdhsa_shared_vgpr_count 0
		.amdhsa_exception_fp_ieee_invalid_op 0
		.amdhsa_exception_fp_denorm_src 0
		.amdhsa_exception_fp_ieee_div_zero 0
		.amdhsa_exception_fp_ieee_overflow 0
		.amdhsa_exception_fp_ieee_underflow 0
		.amdhsa_exception_fp_ieee_inexact 0
		.amdhsa_exception_int_div_zero 0
	.end_amdhsa_kernel
	.section	.text._ZN7rocprim17ROCPRIM_400000_NS6detail17trampoline_kernelINS0_14default_configENS1_25transform_config_selectorIxLb0EEEZNS1_14transform_implILb0ES3_S5_NS0_18transform_iteratorINS0_17counting_iteratorImlEEZNS1_24adjacent_difference_implIS3_Lb1ELb0EPKxPxN6thrust23THRUST_200600_302600_NS4plusIxEEEE10hipError_tPvRmT2_T3_mT4_P12ihipStream_tbEUlmE_xEESD_NS0_8identityIvEEEESI_SL_SM_mSN_SP_bEUlT_E_NS1_11comp_targetILNS1_3genE4ELNS1_11target_archE910ELNS1_3gpuE8ELNS1_3repE0EEENS1_30default_config_static_selectorELNS0_4arch9wavefront6targetE0EEEvT1_,"axG",@progbits,_ZN7rocprim17ROCPRIM_400000_NS6detail17trampoline_kernelINS0_14default_configENS1_25transform_config_selectorIxLb0EEEZNS1_14transform_implILb0ES3_S5_NS0_18transform_iteratorINS0_17counting_iteratorImlEEZNS1_24adjacent_difference_implIS3_Lb1ELb0EPKxPxN6thrust23THRUST_200600_302600_NS4plusIxEEEE10hipError_tPvRmT2_T3_mT4_P12ihipStream_tbEUlmE_xEESD_NS0_8identityIvEEEESI_SL_SM_mSN_SP_bEUlT_E_NS1_11comp_targetILNS1_3genE4ELNS1_11target_archE910ELNS1_3gpuE8ELNS1_3repE0EEENS1_30default_config_static_selectorELNS0_4arch9wavefront6targetE0EEEvT1_,comdat
.Lfunc_end708:
	.size	_ZN7rocprim17ROCPRIM_400000_NS6detail17trampoline_kernelINS0_14default_configENS1_25transform_config_selectorIxLb0EEEZNS1_14transform_implILb0ES3_S5_NS0_18transform_iteratorINS0_17counting_iteratorImlEEZNS1_24adjacent_difference_implIS3_Lb1ELb0EPKxPxN6thrust23THRUST_200600_302600_NS4plusIxEEEE10hipError_tPvRmT2_T3_mT4_P12ihipStream_tbEUlmE_xEESD_NS0_8identityIvEEEESI_SL_SM_mSN_SP_bEUlT_E_NS1_11comp_targetILNS1_3genE4ELNS1_11target_archE910ELNS1_3gpuE8ELNS1_3repE0EEENS1_30default_config_static_selectorELNS0_4arch9wavefront6targetE0EEEvT1_, .Lfunc_end708-_ZN7rocprim17ROCPRIM_400000_NS6detail17trampoline_kernelINS0_14default_configENS1_25transform_config_selectorIxLb0EEEZNS1_14transform_implILb0ES3_S5_NS0_18transform_iteratorINS0_17counting_iteratorImlEEZNS1_24adjacent_difference_implIS3_Lb1ELb0EPKxPxN6thrust23THRUST_200600_302600_NS4plusIxEEEE10hipError_tPvRmT2_T3_mT4_P12ihipStream_tbEUlmE_xEESD_NS0_8identityIvEEEESI_SL_SM_mSN_SP_bEUlT_E_NS1_11comp_targetILNS1_3genE4ELNS1_11target_archE910ELNS1_3gpuE8ELNS1_3repE0EEENS1_30default_config_static_selectorELNS0_4arch9wavefront6targetE0EEEvT1_
                                        ; -- End function
	.section	.AMDGPU.csdata,"",@progbits
; Kernel info:
; codeLenInByte = 0
; NumSgprs: 0
; NumVgprs: 0
; ScratchSize: 0
; MemoryBound: 0
; FloatMode: 240
; IeeeMode: 1
; LDSByteSize: 0 bytes/workgroup (compile time only)
; SGPRBlocks: 0
; VGPRBlocks: 0
; NumSGPRsForWavesPerEU: 1
; NumVGPRsForWavesPerEU: 1
; Occupancy: 16
; WaveLimiterHint : 0
; COMPUTE_PGM_RSRC2:SCRATCH_EN: 0
; COMPUTE_PGM_RSRC2:USER_SGPR: 15
; COMPUTE_PGM_RSRC2:TRAP_HANDLER: 0
; COMPUTE_PGM_RSRC2:TGID_X_EN: 1
; COMPUTE_PGM_RSRC2:TGID_Y_EN: 0
; COMPUTE_PGM_RSRC2:TGID_Z_EN: 0
; COMPUTE_PGM_RSRC2:TIDIG_COMP_CNT: 0
	.section	.text._ZN7rocprim17ROCPRIM_400000_NS6detail17trampoline_kernelINS0_14default_configENS1_25transform_config_selectorIxLb0EEEZNS1_14transform_implILb0ES3_S5_NS0_18transform_iteratorINS0_17counting_iteratorImlEEZNS1_24adjacent_difference_implIS3_Lb1ELb0EPKxPxN6thrust23THRUST_200600_302600_NS4plusIxEEEE10hipError_tPvRmT2_T3_mT4_P12ihipStream_tbEUlmE_xEESD_NS0_8identityIvEEEESI_SL_SM_mSN_SP_bEUlT_E_NS1_11comp_targetILNS1_3genE3ELNS1_11target_archE908ELNS1_3gpuE7ELNS1_3repE0EEENS1_30default_config_static_selectorELNS0_4arch9wavefront6targetE0EEEvT1_,"axG",@progbits,_ZN7rocprim17ROCPRIM_400000_NS6detail17trampoline_kernelINS0_14default_configENS1_25transform_config_selectorIxLb0EEEZNS1_14transform_implILb0ES3_S5_NS0_18transform_iteratorINS0_17counting_iteratorImlEEZNS1_24adjacent_difference_implIS3_Lb1ELb0EPKxPxN6thrust23THRUST_200600_302600_NS4plusIxEEEE10hipError_tPvRmT2_T3_mT4_P12ihipStream_tbEUlmE_xEESD_NS0_8identityIvEEEESI_SL_SM_mSN_SP_bEUlT_E_NS1_11comp_targetILNS1_3genE3ELNS1_11target_archE908ELNS1_3gpuE7ELNS1_3repE0EEENS1_30default_config_static_selectorELNS0_4arch9wavefront6targetE0EEEvT1_,comdat
	.protected	_ZN7rocprim17ROCPRIM_400000_NS6detail17trampoline_kernelINS0_14default_configENS1_25transform_config_selectorIxLb0EEEZNS1_14transform_implILb0ES3_S5_NS0_18transform_iteratorINS0_17counting_iteratorImlEEZNS1_24adjacent_difference_implIS3_Lb1ELb0EPKxPxN6thrust23THRUST_200600_302600_NS4plusIxEEEE10hipError_tPvRmT2_T3_mT4_P12ihipStream_tbEUlmE_xEESD_NS0_8identityIvEEEESI_SL_SM_mSN_SP_bEUlT_E_NS1_11comp_targetILNS1_3genE3ELNS1_11target_archE908ELNS1_3gpuE7ELNS1_3repE0EEENS1_30default_config_static_selectorELNS0_4arch9wavefront6targetE0EEEvT1_ ; -- Begin function _ZN7rocprim17ROCPRIM_400000_NS6detail17trampoline_kernelINS0_14default_configENS1_25transform_config_selectorIxLb0EEEZNS1_14transform_implILb0ES3_S5_NS0_18transform_iteratorINS0_17counting_iteratorImlEEZNS1_24adjacent_difference_implIS3_Lb1ELb0EPKxPxN6thrust23THRUST_200600_302600_NS4plusIxEEEE10hipError_tPvRmT2_T3_mT4_P12ihipStream_tbEUlmE_xEESD_NS0_8identityIvEEEESI_SL_SM_mSN_SP_bEUlT_E_NS1_11comp_targetILNS1_3genE3ELNS1_11target_archE908ELNS1_3gpuE7ELNS1_3repE0EEENS1_30default_config_static_selectorELNS0_4arch9wavefront6targetE0EEEvT1_
	.globl	_ZN7rocprim17ROCPRIM_400000_NS6detail17trampoline_kernelINS0_14default_configENS1_25transform_config_selectorIxLb0EEEZNS1_14transform_implILb0ES3_S5_NS0_18transform_iteratorINS0_17counting_iteratorImlEEZNS1_24adjacent_difference_implIS3_Lb1ELb0EPKxPxN6thrust23THRUST_200600_302600_NS4plusIxEEEE10hipError_tPvRmT2_T3_mT4_P12ihipStream_tbEUlmE_xEESD_NS0_8identityIvEEEESI_SL_SM_mSN_SP_bEUlT_E_NS1_11comp_targetILNS1_3genE3ELNS1_11target_archE908ELNS1_3gpuE7ELNS1_3repE0EEENS1_30default_config_static_selectorELNS0_4arch9wavefront6targetE0EEEvT1_
	.p2align	8
	.type	_ZN7rocprim17ROCPRIM_400000_NS6detail17trampoline_kernelINS0_14default_configENS1_25transform_config_selectorIxLb0EEEZNS1_14transform_implILb0ES3_S5_NS0_18transform_iteratorINS0_17counting_iteratorImlEEZNS1_24adjacent_difference_implIS3_Lb1ELb0EPKxPxN6thrust23THRUST_200600_302600_NS4plusIxEEEE10hipError_tPvRmT2_T3_mT4_P12ihipStream_tbEUlmE_xEESD_NS0_8identityIvEEEESI_SL_SM_mSN_SP_bEUlT_E_NS1_11comp_targetILNS1_3genE3ELNS1_11target_archE908ELNS1_3gpuE7ELNS1_3repE0EEENS1_30default_config_static_selectorELNS0_4arch9wavefront6targetE0EEEvT1_,@function
_ZN7rocprim17ROCPRIM_400000_NS6detail17trampoline_kernelINS0_14default_configENS1_25transform_config_selectorIxLb0EEEZNS1_14transform_implILb0ES3_S5_NS0_18transform_iteratorINS0_17counting_iteratorImlEEZNS1_24adjacent_difference_implIS3_Lb1ELb0EPKxPxN6thrust23THRUST_200600_302600_NS4plusIxEEEE10hipError_tPvRmT2_T3_mT4_P12ihipStream_tbEUlmE_xEESD_NS0_8identityIvEEEESI_SL_SM_mSN_SP_bEUlT_E_NS1_11comp_targetILNS1_3genE3ELNS1_11target_archE908ELNS1_3gpuE7ELNS1_3repE0EEENS1_30default_config_static_selectorELNS0_4arch9wavefront6targetE0EEEvT1_: ; @_ZN7rocprim17ROCPRIM_400000_NS6detail17trampoline_kernelINS0_14default_configENS1_25transform_config_selectorIxLb0EEEZNS1_14transform_implILb0ES3_S5_NS0_18transform_iteratorINS0_17counting_iteratorImlEEZNS1_24adjacent_difference_implIS3_Lb1ELb0EPKxPxN6thrust23THRUST_200600_302600_NS4plusIxEEEE10hipError_tPvRmT2_T3_mT4_P12ihipStream_tbEUlmE_xEESD_NS0_8identityIvEEEESI_SL_SM_mSN_SP_bEUlT_E_NS1_11comp_targetILNS1_3genE3ELNS1_11target_archE908ELNS1_3gpuE7ELNS1_3repE0EEENS1_30default_config_static_selectorELNS0_4arch9wavefront6targetE0EEEvT1_
; %bb.0:
	.section	.rodata,"a",@progbits
	.p2align	6, 0x0
	.amdhsa_kernel _ZN7rocprim17ROCPRIM_400000_NS6detail17trampoline_kernelINS0_14default_configENS1_25transform_config_selectorIxLb0EEEZNS1_14transform_implILb0ES3_S5_NS0_18transform_iteratorINS0_17counting_iteratorImlEEZNS1_24adjacent_difference_implIS3_Lb1ELb0EPKxPxN6thrust23THRUST_200600_302600_NS4plusIxEEEE10hipError_tPvRmT2_T3_mT4_P12ihipStream_tbEUlmE_xEESD_NS0_8identityIvEEEESI_SL_SM_mSN_SP_bEUlT_E_NS1_11comp_targetILNS1_3genE3ELNS1_11target_archE908ELNS1_3gpuE7ELNS1_3repE0EEENS1_30default_config_static_selectorELNS0_4arch9wavefront6targetE0EEEvT1_
		.amdhsa_group_segment_fixed_size 0
		.amdhsa_private_segment_fixed_size 0
		.amdhsa_kernarg_size 56
		.amdhsa_user_sgpr_count 15
		.amdhsa_user_sgpr_dispatch_ptr 0
		.amdhsa_user_sgpr_queue_ptr 0
		.amdhsa_user_sgpr_kernarg_segment_ptr 1
		.amdhsa_user_sgpr_dispatch_id 0
		.amdhsa_user_sgpr_private_segment_size 0
		.amdhsa_wavefront_size32 1
		.amdhsa_uses_dynamic_stack 0
		.amdhsa_enable_private_segment 0
		.amdhsa_system_sgpr_workgroup_id_x 1
		.amdhsa_system_sgpr_workgroup_id_y 0
		.amdhsa_system_sgpr_workgroup_id_z 0
		.amdhsa_system_sgpr_workgroup_info 0
		.amdhsa_system_vgpr_workitem_id 0
		.amdhsa_next_free_vgpr 1
		.amdhsa_next_free_sgpr 1
		.amdhsa_reserve_vcc 0
		.amdhsa_float_round_mode_32 0
		.amdhsa_float_round_mode_16_64 0
		.amdhsa_float_denorm_mode_32 3
		.amdhsa_float_denorm_mode_16_64 3
		.amdhsa_dx10_clamp 1
		.amdhsa_ieee_mode 1
		.amdhsa_fp16_overflow 0
		.amdhsa_workgroup_processor_mode 1
		.amdhsa_memory_ordered 1
		.amdhsa_forward_progress 0
		.amdhsa_shared_vgpr_count 0
		.amdhsa_exception_fp_ieee_invalid_op 0
		.amdhsa_exception_fp_denorm_src 0
		.amdhsa_exception_fp_ieee_div_zero 0
		.amdhsa_exception_fp_ieee_overflow 0
		.amdhsa_exception_fp_ieee_underflow 0
		.amdhsa_exception_fp_ieee_inexact 0
		.amdhsa_exception_int_div_zero 0
	.end_amdhsa_kernel
	.section	.text._ZN7rocprim17ROCPRIM_400000_NS6detail17trampoline_kernelINS0_14default_configENS1_25transform_config_selectorIxLb0EEEZNS1_14transform_implILb0ES3_S5_NS0_18transform_iteratorINS0_17counting_iteratorImlEEZNS1_24adjacent_difference_implIS3_Lb1ELb0EPKxPxN6thrust23THRUST_200600_302600_NS4plusIxEEEE10hipError_tPvRmT2_T3_mT4_P12ihipStream_tbEUlmE_xEESD_NS0_8identityIvEEEESI_SL_SM_mSN_SP_bEUlT_E_NS1_11comp_targetILNS1_3genE3ELNS1_11target_archE908ELNS1_3gpuE7ELNS1_3repE0EEENS1_30default_config_static_selectorELNS0_4arch9wavefront6targetE0EEEvT1_,"axG",@progbits,_ZN7rocprim17ROCPRIM_400000_NS6detail17trampoline_kernelINS0_14default_configENS1_25transform_config_selectorIxLb0EEEZNS1_14transform_implILb0ES3_S5_NS0_18transform_iteratorINS0_17counting_iteratorImlEEZNS1_24adjacent_difference_implIS3_Lb1ELb0EPKxPxN6thrust23THRUST_200600_302600_NS4plusIxEEEE10hipError_tPvRmT2_T3_mT4_P12ihipStream_tbEUlmE_xEESD_NS0_8identityIvEEEESI_SL_SM_mSN_SP_bEUlT_E_NS1_11comp_targetILNS1_3genE3ELNS1_11target_archE908ELNS1_3gpuE7ELNS1_3repE0EEENS1_30default_config_static_selectorELNS0_4arch9wavefront6targetE0EEEvT1_,comdat
.Lfunc_end709:
	.size	_ZN7rocprim17ROCPRIM_400000_NS6detail17trampoline_kernelINS0_14default_configENS1_25transform_config_selectorIxLb0EEEZNS1_14transform_implILb0ES3_S5_NS0_18transform_iteratorINS0_17counting_iteratorImlEEZNS1_24adjacent_difference_implIS3_Lb1ELb0EPKxPxN6thrust23THRUST_200600_302600_NS4plusIxEEEE10hipError_tPvRmT2_T3_mT4_P12ihipStream_tbEUlmE_xEESD_NS0_8identityIvEEEESI_SL_SM_mSN_SP_bEUlT_E_NS1_11comp_targetILNS1_3genE3ELNS1_11target_archE908ELNS1_3gpuE7ELNS1_3repE0EEENS1_30default_config_static_selectorELNS0_4arch9wavefront6targetE0EEEvT1_, .Lfunc_end709-_ZN7rocprim17ROCPRIM_400000_NS6detail17trampoline_kernelINS0_14default_configENS1_25transform_config_selectorIxLb0EEEZNS1_14transform_implILb0ES3_S5_NS0_18transform_iteratorINS0_17counting_iteratorImlEEZNS1_24adjacent_difference_implIS3_Lb1ELb0EPKxPxN6thrust23THRUST_200600_302600_NS4plusIxEEEE10hipError_tPvRmT2_T3_mT4_P12ihipStream_tbEUlmE_xEESD_NS0_8identityIvEEEESI_SL_SM_mSN_SP_bEUlT_E_NS1_11comp_targetILNS1_3genE3ELNS1_11target_archE908ELNS1_3gpuE7ELNS1_3repE0EEENS1_30default_config_static_selectorELNS0_4arch9wavefront6targetE0EEEvT1_
                                        ; -- End function
	.section	.AMDGPU.csdata,"",@progbits
; Kernel info:
; codeLenInByte = 0
; NumSgprs: 0
; NumVgprs: 0
; ScratchSize: 0
; MemoryBound: 0
; FloatMode: 240
; IeeeMode: 1
; LDSByteSize: 0 bytes/workgroup (compile time only)
; SGPRBlocks: 0
; VGPRBlocks: 0
; NumSGPRsForWavesPerEU: 1
; NumVGPRsForWavesPerEU: 1
; Occupancy: 16
; WaveLimiterHint : 0
; COMPUTE_PGM_RSRC2:SCRATCH_EN: 0
; COMPUTE_PGM_RSRC2:USER_SGPR: 15
; COMPUTE_PGM_RSRC2:TRAP_HANDLER: 0
; COMPUTE_PGM_RSRC2:TGID_X_EN: 1
; COMPUTE_PGM_RSRC2:TGID_Y_EN: 0
; COMPUTE_PGM_RSRC2:TGID_Z_EN: 0
; COMPUTE_PGM_RSRC2:TIDIG_COMP_CNT: 0
	.section	.text._ZN7rocprim17ROCPRIM_400000_NS6detail17trampoline_kernelINS0_14default_configENS1_25transform_config_selectorIxLb0EEEZNS1_14transform_implILb0ES3_S5_NS0_18transform_iteratorINS0_17counting_iteratorImlEEZNS1_24adjacent_difference_implIS3_Lb1ELb0EPKxPxN6thrust23THRUST_200600_302600_NS4plusIxEEEE10hipError_tPvRmT2_T3_mT4_P12ihipStream_tbEUlmE_xEESD_NS0_8identityIvEEEESI_SL_SM_mSN_SP_bEUlT_E_NS1_11comp_targetILNS1_3genE2ELNS1_11target_archE906ELNS1_3gpuE6ELNS1_3repE0EEENS1_30default_config_static_selectorELNS0_4arch9wavefront6targetE0EEEvT1_,"axG",@progbits,_ZN7rocprim17ROCPRIM_400000_NS6detail17trampoline_kernelINS0_14default_configENS1_25transform_config_selectorIxLb0EEEZNS1_14transform_implILb0ES3_S5_NS0_18transform_iteratorINS0_17counting_iteratorImlEEZNS1_24adjacent_difference_implIS3_Lb1ELb0EPKxPxN6thrust23THRUST_200600_302600_NS4plusIxEEEE10hipError_tPvRmT2_T3_mT4_P12ihipStream_tbEUlmE_xEESD_NS0_8identityIvEEEESI_SL_SM_mSN_SP_bEUlT_E_NS1_11comp_targetILNS1_3genE2ELNS1_11target_archE906ELNS1_3gpuE6ELNS1_3repE0EEENS1_30default_config_static_selectorELNS0_4arch9wavefront6targetE0EEEvT1_,comdat
	.protected	_ZN7rocprim17ROCPRIM_400000_NS6detail17trampoline_kernelINS0_14default_configENS1_25transform_config_selectorIxLb0EEEZNS1_14transform_implILb0ES3_S5_NS0_18transform_iteratorINS0_17counting_iteratorImlEEZNS1_24adjacent_difference_implIS3_Lb1ELb0EPKxPxN6thrust23THRUST_200600_302600_NS4plusIxEEEE10hipError_tPvRmT2_T3_mT4_P12ihipStream_tbEUlmE_xEESD_NS0_8identityIvEEEESI_SL_SM_mSN_SP_bEUlT_E_NS1_11comp_targetILNS1_3genE2ELNS1_11target_archE906ELNS1_3gpuE6ELNS1_3repE0EEENS1_30default_config_static_selectorELNS0_4arch9wavefront6targetE0EEEvT1_ ; -- Begin function _ZN7rocprim17ROCPRIM_400000_NS6detail17trampoline_kernelINS0_14default_configENS1_25transform_config_selectorIxLb0EEEZNS1_14transform_implILb0ES3_S5_NS0_18transform_iteratorINS0_17counting_iteratorImlEEZNS1_24adjacent_difference_implIS3_Lb1ELb0EPKxPxN6thrust23THRUST_200600_302600_NS4plusIxEEEE10hipError_tPvRmT2_T3_mT4_P12ihipStream_tbEUlmE_xEESD_NS0_8identityIvEEEESI_SL_SM_mSN_SP_bEUlT_E_NS1_11comp_targetILNS1_3genE2ELNS1_11target_archE906ELNS1_3gpuE6ELNS1_3repE0EEENS1_30default_config_static_selectorELNS0_4arch9wavefront6targetE0EEEvT1_
	.globl	_ZN7rocprim17ROCPRIM_400000_NS6detail17trampoline_kernelINS0_14default_configENS1_25transform_config_selectorIxLb0EEEZNS1_14transform_implILb0ES3_S5_NS0_18transform_iteratorINS0_17counting_iteratorImlEEZNS1_24adjacent_difference_implIS3_Lb1ELb0EPKxPxN6thrust23THRUST_200600_302600_NS4plusIxEEEE10hipError_tPvRmT2_T3_mT4_P12ihipStream_tbEUlmE_xEESD_NS0_8identityIvEEEESI_SL_SM_mSN_SP_bEUlT_E_NS1_11comp_targetILNS1_3genE2ELNS1_11target_archE906ELNS1_3gpuE6ELNS1_3repE0EEENS1_30default_config_static_selectorELNS0_4arch9wavefront6targetE0EEEvT1_
	.p2align	8
	.type	_ZN7rocprim17ROCPRIM_400000_NS6detail17trampoline_kernelINS0_14default_configENS1_25transform_config_selectorIxLb0EEEZNS1_14transform_implILb0ES3_S5_NS0_18transform_iteratorINS0_17counting_iteratorImlEEZNS1_24adjacent_difference_implIS3_Lb1ELb0EPKxPxN6thrust23THRUST_200600_302600_NS4plusIxEEEE10hipError_tPvRmT2_T3_mT4_P12ihipStream_tbEUlmE_xEESD_NS0_8identityIvEEEESI_SL_SM_mSN_SP_bEUlT_E_NS1_11comp_targetILNS1_3genE2ELNS1_11target_archE906ELNS1_3gpuE6ELNS1_3repE0EEENS1_30default_config_static_selectorELNS0_4arch9wavefront6targetE0EEEvT1_,@function
_ZN7rocprim17ROCPRIM_400000_NS6detail17trampoline_kernelINS0_14default_configENS1_25transform_config_selectorIxLb0EEEZNS1_14transform_implILb0ES3_S5_NS0_18transform_iteratorINS0_17counting_iteratorImlEEZNS1_24adjacent_difference_implIS3_Lb1ELb0EPKxPxN6thrust23THRUST_200600_302600_NS4plusIxEEEE10hipError_tPvRmT2_T3_mT4_P12ihipStream_tbEUlmE_xEESD_NS0_8identityIvEEEESI_SL_SM_mSN_SP_bEUlT_E_NS1_11comp_targetILNS1_3genE2ELNS1_11target_archE906ELNS1_3gpuE6ELNS1_3repE0EEENS1_30default_config_static_selectorELNS0_4arch9wavefront6targetE0EEEvT1_: ; @_ZN7rocprim17ROCPRIM_400000_NS6detail17trampoline_kernelINS0_14default_configENS1_25transform_config_selectorIxLb0EEEZNS1_14transform_implILb0ES3_S5_NS0_18transform_iteratorINS0_17counting_iteratorImlEEZNS1_24adjacent_difference_implIS3_Lb1ELb0EPKxPxN6thrust23THRUST_200600_302600_NS4plusIxEEEE10hipError_tPvRmT2_T3_mT4_P12ihipStream_tbEUlmE_xEESD_NS0_8identityIvEEEESI_SL_SM_mSN_SP_bEUlT_E_NS1_11comp_targetILNS1_3genE2ELNS1_11target_archE906ELNS1_3gpuE6ELNS1_3repE0EEENS1_30default_config_static_selectorELNS0_4arch9wavefront6targetE0EEEvT1_
; %bb.0:
	.section	.rodata,"a",@progbits
	.p2align	6, 0x0
	.amdhsa_kernel _ZN7rocprim17ROCPRIM_400000_NS6detail17trampoline_kernelINS0_14default_configENS1_25transform_config_selectorIxLb0EEEZNS1_14transform_implILb0ES3_S5_NS0_18transform_iteratorINS0_17counting_iteratorImlEEZNS1_24adjacent_difference_implIS3_Lb1ELb0EPKxPxN6thrust23THRUST_200600_302600_NS4plusIxEEEE10hipError_tPvRmT2_T3_mT4_P12ihipStream_tbEUlmE_xEESD_NS0_8identityIvEEEESI_SL_SM_mSN_SP_bEUlT_E_NS1_11comp_targetILNS1_3genE2ELNS1_11target_archE906ELNS1_3gpuE6ELNS1_3repE0EEENS1_30default_config_static_selectorELNS0_4arch9wavefront6targetE0EEEvT1_
		.amdhsa_group_segment_fixed_size 0
		.amdhsa_private_segment_fixed_size 0
		.amdhsa_kernarg_size 56
		.amdhsa_user_sgpr_count 15
		.amdhsa_user_sgpr_dispatch_ptr 0
		.amdhsa_user_sgpr_queue_ptr 0
		.amdhsa_user_sgpr_kernarg_segment_ptr 1
		.amdhsa_user_sgpr_dispatch_id 0
		.amdhsa_user_sgpr_private_segment_size 0
		.amdhsa_wavefront_size32 1
		.amdhsa_uses_dynamic_stack 0
		.amdhsa_enable_private_segment 0
		.amdhsa_system_sgpr_workgroup_id_x 1
		.amdhsa_system_sgpr_workgroup_id_y 0
		.amdhsa_system_sgpr_workgroup_id_z 0
		.amdhsa_system_sgpr_workgroup_info 0
		.amdhsa_system_vgpr_workitem_id 0
		.amdhsa_next_free_vgpr 1
		.amdhsa_next_free_sgpr 1
		.amdhsa_reserve_vcc 0
		.amdhsa_float_round_mode_32 0
		.amdhsa_float_round_mode_16_64 0
		.amdhsa_float_denorm_mode_32 3
		.amdhsa_float_denorm_mode_16_64 3
		.amdhsa_dx10_clamp 1
		.amdhsa_ieee_mode 1
		.amdhsa_fp16_overflow 0
		.amdhsa_workgroup_processor_mode 1
		.amdhsa_memory_ordered 1
		.amdhsa_forward_progress 0
		.amdhsa_shared_vgpr_count 0
		.amdhsa_exception_fp_ieee_invalid_op 0
		.amdhsa_exception_fp_denorm_src 0
		.amdhsa_exception_fp_ieee_div_zero 0
		.amdhsa_exception_fp_ieee_overflow 0
		.amdhsa_exception_fp_ieee_underflow 0
		.amdhsa_exception_fp_ieee_inexact 0
		.amdhsa_exception_int_div_zero 0
	.end_amdhsa_kernel
	.section	.text._ZN7rocprim17ROCPRIM_400000_NS6detail17trampoline_kernelINS0_14default_configENS1_25transform_config_selectorIxLb0EEEZNS1_14transform_implILb0ES3_S5_NS0_18transform_iteratorINS0_17counting_iteratorImlEEZNS1_24adjacent_difference_implIS3_Lb1ELb0EPKxPxN6thrust23THRUST_200600_302600_NS4plusIxEEEE10hipError_tPvRmT2_T3_mT4_P12ihipStream_tbEUlmE_xEESD_NS0_8identityIvEEEESI_SL_SM_mSN_SP_bEUlT_E_NS1_11comp_targetILNS1_3genE2ELNS1_11target_archE906ELNS1_3gpuE6ELNS1_3repE0EEENS1_30default_config_static_selectorELNS0_4arch9wavefront6targetE0EEEvT1_,"axG",@progbits,_ZN7rocprim17ROCPRIM_400000_NS6detail17trampoline_kernelINS0_14default_configENS1_25transform_config_selectorIxLb0EEEZNS1_14transform_implILb0ES3_S5_NS0_18transform_iteratorINS0_17counting_iteratorImlEEZNS1_24adjacent_difference_implIS3_Lb1ELb0EPKxPxN6thrust23THRUST_200600_302600_NS4plusIxEEEE10hipError_tPvRmT2_T3_mT4_P12ihipStream_tbEUlmE_xEESD_NS0_8identityIvEEEESI_SL_SM_mSN_SP_bEUlT_E_NS1_11comp_targetILNS1_3genE2ELNS1_11target_archE906ELNS1_3gpuE6ELNS1_3repE0EEENS1_30default_config_static_selectorELNS0_4arch9wavefront6targetE0EEEvT1_,comdat
.Lfunc_end710:
	.size	_ZN7rocprim17ROCPRIM_400000_NS6detail17trampoline_kernelINS0_14default_configENS1_25transform_config_selectorIxLb0EEEZNS1_14transform_implILb0ES3_S5_NS0_18transform_iteratorINS0_17counting_iteratorImlEEZNS1_24adjacent_difference_implIS3_Lb1ELb0EPKxPxN6thrust23THRUST_200600_302600_NS4plusIxEEEE10hipError_tPvRmT2_T3_mT4_P12ihipStream_tbEUlmE_xEESD_NS0_8identityIvEEEESI_SL_SM_mSN_SP_bEUlT_E_NS1_11comp_targetILNS1_3genE2ELNS1_11target_archE906ELNS1_3gpuE6ELNS1_3repE0EEENS1_30default_config_static_selectorELNS0_4arch9wavefront6targetE0EEEvT1_, .Lfunc_end710-_ZN7rocprim17ROCPRIM_400000_NS6detail17trampoline_kernelINS0_14default_configENS1_25transform_config_selectorIxLb0EEEZNS1_14transform_implILb0ES3_S5_NS0_18transform_iteratorINS0_17counting_iteratorImlEEZNS1_24adjacent_difference_implIS3_Lb1ELb0EPKxPxN6thrust23THRUST_200600_302600_NS4plusIxEEEE10hipError_tPvRmT2_T3_mT4_P12ihipStream_tbEUlmE_xEESD_NS0_8identityIvEEEESI_SL_SM_mSN_SP_bEUlT_E_NS1_11comp_targetILNS1_3genE2ELNS1_11target_archE906ELNS1_3gpuE6ELNS1_3repE0EEENS1_30default_config_static_selectorELNS0_4arch9wavefront6targetE0EEEvT1_
                                        ; -- End function
	.section	.AMDGPU.csdata,"",@progbits
; Kernel info:
; codeLenInByte = 0
; NumSgprs: 0
; NumVgprs: 0
; ScratchSize: 0
; MemoryBound: 0
; FloatMode: 240
; IeeeMode: 1
; LDSByteSize: 0 bytes/workgroup (compile time only)
; SGPRBlocks: 0
; VGPRBlocks: 0
; NumSGPRsForWavesPerEU: 1
; NumVGPRsForWavesPerEU: 1
; Occupancy: 16
; WaveLimiterHint : 0
; COMPUTE_PGM_RSRC2:SCRATCH_EN: 0
; COMPUTE_PGM_RSRC2:USER_SGPR: 15
; COMPUTE_PGM_RSRC2:TRAP_HANDLER: 0
; COMPUTE_PGM_RSRC2:TGID_X_EN: 1
; COMPUTE_PGM_RSRC2:TGID_Y_EN: 0
; COMPUTE_PGM_RSRC2:TGID_Z_EN: 0
; COMPUTE_PGM_RSRC2:TIDIG_COMP_CNT: 0
	.section	.text._ZN7rocprim17ROCPRIM_400000_NS6detail17trampoline_kernelINS0_14default_configENS1_25transform_config_selectorIxLb0EEEZNS1_14transform_implILb0ES3_S5_NS0_18transform_iteratorINS0_17counting_iteratorImlEEZNS1_24adjacent_difference_implIS3_Lb1ELb0EPKxPxN6thrust23THRUST_200600_302600_NS4plusIxEEEE10hipError_tPvRmT2_T3_mT4_P12ihipStream_tbEUlmE_xEESD_NS0_8identityIvEEEESI_SL_SM_mSN_SP_bEUlT_E_NS1_11comp_targetILNS1_3genE10ELNS1_11target_archE1201ELNS1_3gpuE5ELNS1_3repE0EEENS1_30default_config_static_selectorELNS0_4arch9wavefront6targetE0EEEvT1_,"axG",@progbits,_ZN7rocprim17ROCPRIM_400000_NS6detail17trampoline_kernelINS0_14default_configENS1_25transform_config_selectorIxLb0EEEZNS1_14transform_implILb0ES3_S5_NS0_18transform_iteratorINS0_17counting_iteratorImlEEZNS1_24adjacent_difference_implIS3_Lb1ELb0EPKxPxN6thrust23THRUST_200600_302600_NS4plusIxEEEE10hipError_tPvRmT2_T3_mT4_P12ihipStream_tbEUlmE_xEESD_NS0_8identityIvEEEESI_SL_SM_mSN_SP_bEUlT_E_NS1_11comp_targetILNS1_3genE10ELNS1_11target_archE1201ELNS1_3gpuE5ELNS1_3repE0EEENS1_30default_config_static_selectorELNS0_4arch9wavefront6targetE0EEEvT1_,comdat
	.protected	_ZN7rocprim17ROCPRIM_400000_NS6detail17trampoline_kernelINS0_14default_configENS1_25transform_config_selectorIxLb0EEEZNS1_14transform_implILb0ES3_S5_NS0_18transform_iteratorINS0_17counting_iteratorImlEEZNS1_24adjacent_difference_implIS3_Lb1ELb0EPKxPxN6thrust23THRUST_200600_302600_NS4plusIxEEEE10hipError_tPvRmT2_T3_mT4_P12ihipStream_tbEUlmE_xEESD_NS0_8identityIvEEEESI_SL_SM_mSN_SP_bEUlT_E_NS1_11comp_targetILNS1_3genE10ELNS1_11target_archE1201ELNS1_3gpuE5ELNS1_3repE0EEENS1_30default_config_static_selectorELNS0_4arch9wavefront6targetE0EEEvT1_ ; -- Begin function _ZN7rocprim17ROCPRIM_400000_NS6detail17trampoline_kernelINS0_14default_configENS1_25transform_config_selectorIxLb0EEEZNS1_14transform_implILb0ES3_S5_NS0_18transform_iteratorINS0_17counting_iteratorImlEEZNS1_24adjacent_difference_implIS3_Lb1ELb0EPKxPxN6thrust23THRUST_200600_302600_NS4plusIxEEEE10hipError_tPvRmT2_T3_mT4_P12ihipStream_tbEUlmE_xEESD_NS0_8identityIvEEEESI_SL_SM_mSN_SP_bEUlT_E_NS1_11comp_targetILNS1_3genE10ELNS1_11target_archE1201ELNS1_3gpuE5ELNS1_3repE0EEENS1_30default_config_static_selectorELNS0_4arch9wavefront6targetE0EEEvT1_
	.globl	_ZN7rocprim17ROCPRIM_400000_NS6detail17trampoline_kernelINS0_14default_configENS1_25transform_config_selectorIxLb0EEEZNS1_14transform_implILb0ES3_S5_NS0_18transform_iteratorINS0_17counting_iteratorImlEEZNS1_24adjacent_difference_implIS3_Lb1ELb0EPKxPxN6thrust23THRUST_200600_302600_NS4plusIxEEEE10hipError_tPvRmT2_T3_mT4_P12ihipStream_tbEUlmE_xEESD_NS0_8identityIvEEEESI_SL_SM_mSN_SP_bEUlT_E_NS1_11comp_targetILNS1_3genE10ELNS1_11target_archE1201ELNS1_3gpuE5ELNS1_3repE0EEENS1_30default_config_static_selectorELNS0_4arch9wavefront6targetE0EEEvT1_
	.p2align	8
	.type	_ZN7rocprim17ROCPRIM_400000_NS6detail17trampoline_kernelINS0_14default_configENS1_25transform_config_selectorIxLb0EEEZNS1_14transform_implILb0ES3_S5_NS0_18transform_iteratorINS0_17counting_iteratorImlEEZNS1_24adjacent_difference_implIS3_Lb1ELb0EPKxPxN6thrust23THRUST_200600_302600_NS4plusIxEEEE10hipError_tPvRmT2_T3_mT4_P12ihipStream_tbEUlmE_xEESD_NS0_8identityIvEEEESI_SL_SM_mSN_SP_bEUlT_E_NS1_11comp_targetILNS1_3genE10ELNS1_11target_archE1201ELNS1_3gpuE5ELNS1_3repE0EEENS1_30default_config_static_selectorELNS0_4arch9wavefront6targetE0EEEvT1_,@function
_ZN7rocprim17ROCPRIM_400000_NS6detail17trampoline_kernelINS0_14default_configENS1_25transform_config_selectorIxLb0EEEZNS1_14transform_implILb0ES3_S5_NS0_18transform_iteratorINS0_17counting_iteratorImlEEZNS1_24adjacent_difference_implIS3_Lb1ELb0EPKxPxN6thrust23THRUST_200600_302600_NS4plusIxEEEE10hipError_tPvRmT2_T3_mT4_P12ihipStream_tbEUlmE_xEESD_NS0_8identityIvEEEESI_SL_SM_mSN_SP_bEUlT_E_NS1_11comp_targetILNS1_3genE10ELNS1_11target_archE1201ELNS1_3gpuE5ELNS1_3repE0EEENS1_30default_config_static_selectorELNS0_4arch9wavefront6targetE0EEEvT1_: ; @_ZN7rocprim17ROCPRIM_400000_NS6detail17trampoline_kernelINS0_14default_configENS1_25transform_config_selectorIxLb0EEEZNS1_14transform_implILb0ES3_S5_NS0_18transform_iteratorINS0_17counting_iteratorImlEEZNS1_24adjacent_difference_implIS3_Lb1ELb0EPKxPxN6thrust23THRUST_200600_302600_NS4plusIxEEEE10hipError_tPvRmT2_T3_mT4_P12ihipStream_tbEUlmE_xEESD_NS0_8identityIvEEEESI_SL_SM_mSN_SP_bEUlT_E_NS1_11comp_targetILNS1_3genE10ELNS1_11target_archE1201ELNS1_3gpuE5ELNS1_3repE0EEENS1_30default_config_static_selectorELNS0_4arch9wavefront6targetE0EEEvT1_
; %bb.0:
	.section	.rodata,"a",@progbits
	.p2align	6, 0x0
	.amdhsa_kernel _ZN7rocprim17ROCPRIM_400000_NS6detail17trampoline_kernelINS0_14default_configENS1_25transform_config_selectorIxLb0EEEZNS1_14transform_implILb0ES3_S5_NS0_18transform_iteratorINS0_17counting_iteratorImlEEZNS1_24adjacent_difference_implIS3_Lb1ELb0EPKxPxN6thrust23THRUST_200600_302600_NS4plusIxEEEE10hipError_tPvRmT2_T3_mT4_P12ihipStream_tbEUlmE_xEESD_NS0_8identityIvEEEESI_SL_SM_mSN_SP_bEUlT_E_NS1_11comp_targetILNS1_3genE10ELNS1_11target_archE1201ELNS1_3gpuE5ELNS1_3repE0EEENS1_30default_config_static_selectorELNS0_4arch9wavefront6targetE0EEEvT1_
		.amdhsa_group_segment_fixed_size 0
		.amdhsa_private_segment_fixed_size 0
		.amdhsa_kernarg_size 56
		.amdhsa_user_sgpr_count 15
		.amdhsa_user_sgpr_dispatch_ptr 0
		.amdhsa_user_sgpr_queue_ptr 0
		.amdhsa_user_sgpr_kernarg_segment_ptr 1
		.amdhsa_user_sgpr_dispatch_id 0
		.amdhsa_user_sgpr_private_segment_size 0
		.amdhsa_wavefront_size32 1
		.amdhsa_uses_dynamic_stack 0
		.amdhsa_enable_private_segment 0
		.amdhsa_system_sgpr_workgroup_id_x 1
		.amdhsa_system_sgpr_workgroup_id_y 0
		.amdhsa_system_sgpr_workgroup_id_z 0
		.amdhsa_system_sgpr_workgroup_info 0
		.amdhsa_system_vgpr_workitem_id 0
		.amdhsa_next_free_vgpr 1
		.amdhsa_next_free_sgpr 1
		.amdhsa_reserve_vcc 0
		.amdhsa_float_round_mode_32 0
		.amdhsa_float_round_mode_16_64 0
		.amdhsa_float_denorm_mode_32 3
		.amdhsa_float_denorm_mode_16_64 3
		.amdhsa_dx10_clamp 1
		.amdhsa_ieee_mode 1
		.amdhsa_fp16_overflow 0
		.amdhsa_workgroup_processor_mode 1
		.amdhsa_memory_ordered 1
		.amdhsa_forward_progress 0
		.amdhsa_shared_vgpr_count 0
		.amdhsa_exception_fp_ieee_invalid_op 0
		.amdhsa_exception_fp_denorm_src 0
		.amdhsa_exception_fp_ieee_div_zero 0
		.amdhsa_exception_fp_ieee_overflow 0
		.amdhsa_exception_fp_ieee_underflow 0
		.amdhsa_exception_fp_ieee_inexact 0
		.amdhsa_exception_int_div_zero 0
	.end_amdhsa_kernel
	.section	.text._ZN7rocprim17ROCPRIM_400000_NS6detail17trampoline_kernelINS0_14default_configENS1_25transform_config_selectorIxLb0EEEZNS1_14transform_implILb0ES3_S5_NS0_18transform_iteratorINS0_17counting_iteratorImlEEZNS1_24adjacent_difference_implIS3_Lb1ELb0EPKxPxN6thrust23THRUST_200600_302600_NS4plusIxEEEE10hipError_tPvRmT2_T3_mT4_P12ihipStream_tbEUlmE_xEESD_NS0_8identityIvEEEESI_SL_SM_mSN_SP_bEUlT_E_NS1_11comp_targetILNS1_3genE10ELNS1_11target_archE1201ELNS1_3gpuE5ELNS1_3repE0EEENS1_30default_config_static_selectorELNS0_4arch9wavefront6targetE0EEEvT1_,"axG",@progbits,_ZN7rocprim17ROCPRIM_400000_NS6detail17trampoline_kernelINS0_14default_configENS1_25transform_config_selectorIxLb0EEEZNS1_14transform_implILb0ES3_S5_NS0_18transform_iteratorINS0_17counting_iteratorImlEEZNS1_24adjacent_difference_implIS3_Lb1ELb0EPKxPxN6thrust23THRUST_200600_302600_NS4plusIxEEEE10hipError_tPvRmT2_T3_mT4_P12ihipStream_tbEUlmE_xEESD_NS0_8identityIvEEEESI_SL_SM_mSN_SP_bEUlT_E_NS1_11comp_targetILNS1_3genE10ELNS1_11target_archE1201ELNS1_3gpuE5ELNS1_3repE0EEENS1_30default_config_static_selectorELNS0_4arch9wavefront6targetE0EEEvT1_,comdat
.Lfunc_end711:
	.size	_ZN7rocprim17ROCPRIM_400000_NS6detail17trampoline_kernelINS0_14default_configENS1_25transform_config_selectorIxLb0EEEZNS1_14transform_implILb0ES3_S5_NS0_18transform_iteratorINS0_17counting_iteratorImlEEZNS1_24adjacent_difference_implIS3_Lb1ELb0EPKxPxN6thrust23THRUST_200600_302600_NS4plusIxEEEE10hipError_tPvRmT2_T3_mT4_P12ihipStream_tbEUlmE_xEESD_NS0_8identityIvEEEESI_SL_SM_mSN_SP_bEUlT_E_NS1_11comp_targetILNS1_3genE10ELNS1_11target_archE1201ELNS1_3gpuE5ELNS1_3repE0EEENS1_30default_config_static_selectorELNS0_4arch9wavefront6targetE0EEEvT1_, .Lfunc_end711-_ZN7rocprim17ROCPRIM_400000_NS6detail17trampoline_kernelINS0_14default_configENS1_25transform_config_selectorIxLb0EEEZNS1_14transform_implILb0ES3_S5_NS0_18transform_iteratorINS0_17counting_iteratorImlEEZNS1_24adjacent_difference_implIS3_Lb1ELb0EPKxPxN6thrust23THRUST_200600_302600_NS4plusIxEEEE10hipError_tPvRmT2_T3_mT4_P12ihipStream_tbEUlmE_xEESD_NS0_8identityIvEEEESI_SL_SM_mSN_SP_bEUlT_E_NS1_11comp_targetILNS1_3genE10ELNS1_11target_archE1201ELNS1_3gpuE5ELNS1_3repE0EEENS1_30default_config_static_selectorELNS0_4arch9wavefront6targetE0EEEvT1_
                                        ; -- End function
	.section	.AMDGPU.csdata,"",@progbits
; Kernel info:
; codeLenInByte = 0
; NumSgprs: 0
; NumVgprs: 0
; ScratchSize: 0
; MemoryBound: 0
; FloatMode: 240
; IeeeMode: 1
; LDSByteSize: 0 bytes/workgroup (compile time only)
; SGPRBlocks: 0
; VGPRBlocks: 0
; NumSGPRsForWavesPerEU: 1
; NumVGPRsForWavesPerEU: 1
; Occupancy: 16
; WaveLimiterHint : 0
; COMPUTE_PGM_RSRC2:SCRATCH_EN: 0
; COMPUTE_PGM_RSRC2:USER_SGPR: 15
; COMPUTE_PGM_RSRC2:TRAP_HANDLER: 0
; COMPUTE_PGM_RSRC2:TGID_X_EN: 1
; COMPUTE_PGM_RSRC2:TGID_Y_EN: 0
; COMPUTE_PGM_RSRC2:TGID_Z_EN: 0
; COMPUTE_PGM_RSRC2:TIDIG_COMP_CNT: 0
	.section	.text._ZN7rocprim17ROCPRIM_400000_NS6detail17trampoline_kernelINS0_14default_configENS1_25transform_config_selectorIxLb0EEEZNS1_14transform_implILb0ES3_S5_NS0_18transform_iteratorINS0_17counting_iteratorImlEEZNS1_24adjacent_difference_implIS3_Lb1ELb0EPKxPxN6thrust23THRUST_200600_302600_NS4plusIxEEEE10hipError_tPvRmT2_T3_mT4_P12ihipStream_tbEUlmE_xEESD_NS0_8identityIvEEEESI_SL_SM_mSN_SP_bEUlT_E_NS1_11comp_targetILNS1_3genE10ELNS1_11target_archE1200ELNS1_3gpuE4ELNS1_3repE0EEENS1_30default_config_static_selectorELNS0_4arch9wavefront6targetE0EEEvT1_,"axG",@progbits,_ZN7rocprim17ROCPRIM_400000_NS6detail17trampoline_kernelINS0_14default_configENS1_25transform_config_selectorIxLb0EEEZNS1_14transform_implILb0ES3_S5_NS0_18transform_iteratorINS0_17counting_iteratorImlEEZNS1_24adjacent_difference_implIS3_Lb1ELb0EPKxPxN6thrust23THRUST_200600_302600_NS4plusIxEEEE10hipError_tPvRmT2_T3_mT4_P12ihipStream_tbEUlmE_xEESD_NS0_8identityIvEEEESI_SL_SM_mSN_SP_bEUlT_E_NS1_11comp_targetILNS1_3genE10ELNS1_11target_archE1200ELNS1_3gpuE4ELNS1_3repE0EEENS1_30default_config_static_selectorELNS0_4arch9wavefront6targetE0EEEvT1_,comdat
	.protected	_ZN7rocprim17ROCPRIM_400000_NS6detail17trampoline_kernelINS0_14default_configENS1_25transform_config_selectorIxLb0EEEZNS1_14transform_implILb0ES3_S5_NS0_18transform_iteratorINS0_17counting_iteratorImlEEZNS1_24adjacent_difference_implIS3_Lb1ELb0EPKxPxN6thrust23THRUST_200600_302600_NS4plusIxEEEE10hipError_tPvRmT2_T3_mT4_P12ihipStream_tbEUlmE_xEESD_NS0_8identityIvEEEESI_SL_SM_mSN_SP_bEUlT_E_NS1_11comp_targetILNS1_3genE10ELNS1_11target_archE1200ELNS1_3gpuE4ELNS1_3repE0EEENS1_30default_config_static_selectorELNS0_4arch9wavefront6targetE0EEEvT1_ ; -- Begin function _ZN7rocprim17ROCPRIM_400000_NS6detail17trampoline_kernelINS0_14default_configENS1_25transform_config_selectorIxLb0EEEZNS1_14transform_implILb0ES3_S5_NS0_18transform_iteratorINS0_17counting_iteratorImlEEZNS1_24adjacent_difference_implIS3_Lb1ELb0EPKxPxN6thrust23THRUST_200600_302600_NS4plusIxEEEE10hipError_tPvRmT2_T3_mT4_P12ihipStream_tbEUlmE_xEESD_NS0_8identityIvEEEESI_SL_SM_mSN_SP_bEUlT_E_NS1_11comp_targetILNS1_3genE10ELNS1_11target_archE1200ELNS1_3gpuE4ELNS1_3repE0EEENS1_30default_config_static_selectorELNS0_4arch9wavefront6targetE0EEEvT1_
	.globl	_ZN7rocprim17ROCPRIM_400000_NS6detail17trampoline_kernelINS0_14default_configENS1_25transform_config_selectorIxLb0EEEZNS1_14transform_implILb0ES3_S5_NS0_18transform_iteratorINS0_17counting_iteratorImlEEZNS1_24adjacent_difference_implIS3_Lb1ELb0EPKxPxN6thrust23THRUST_200600_302600_NS4plusIxEEEE10hipError_tPvRmT2_T3_mT4_P12ihipStream_tbEUlmE_xEESD_NS0_8identityIvEEEESI_SL_SM_mSN_SP_bEUlT_E_NS1_11comp_targetILNS1_3genE10ELNS1_11target_archE1200ELNS1_3gpuE4ELNS1_3repE0EEENS1_30default_config_static_selectorELNS0_4arch9wavefront6targetE0EEEvT1_
	.p2align	8
	.type	_ZN7rocprim17ROCPRIM_400000_NS6detail17trampoline_kernelINS0_14default_configENS1_25transform_config_selectorIxLb0EEEZNS1_14transform_implILb0ES3_S5_NS0_18transform_iteratorINS0_17counting_iteratorImlEEZNS1_24adjacent_difference_implIS3_Lb1ELb0EPKxPxN6thrust23THRUST_200600_302600_NS4plusIxEEEE10hipError_tPvRmT2_T3_mT4_P12ihipStream_tbEUlmE_xEESD_NS0_8identityIvEEEESI_SL_SM_mSN_SP_bEUlT_E_NS1_11comp_targetILNS1_3genE10ELNS1_11target_archE1200ELNS1_3gpuE4ELNS1_3repE0EEENS1_30default_config_static_selectorELNS0_4arch9wavefront6targetE0EEEvT1_,@function
_ZN7rocprim17ROCPRIM_400000_NS6detail17trampoline_kernelINS0_14default_configENS1_25transform_config_selectorIxLb0EEEZNS1_14transform_implILb0ES3_S5_NS0_18transform_iteratorINS0_17counting_iteratorImlEEZNS1_24adjacent_difference_implIS3_Lb1ELb0EPKxPxN6thrust23THRUST_200600_302600_NS4plusIxEEEE10hipError_tPvRmT2_T3_mT4_P12ihipStream_tbEUlmE_xEESD_NS0_8identityIvEEEESI_SL_SM_mSN_SP_bEUlT_E_NS1_11comp_targetILNS1_3genE10ELNS1_11target_archE1200ELNS1_3gpuE4ELNS1_3repE0EEENS1_30default_config_static_selectorELNS0_4arch9wavefront6targetE0EEEvT1_: ; @_ZN7rocprim17ROCPRIM_400000_NS6detail17trampoline_kernelINS0_14default_configENS1_25transform_config_selectorIxLb0EEEZNS1_14transform_implILb0ES3_S5_NS0_18transform_iteratorINS0_17counting_iteratorImlEEZNS1_24adjacent_difference_implIS3_Lb1ELb0EPKxPxN6thrust23THRUST_200600_302600_NS4plusIxEEEE10hipError_tPvRmT2_T3_mT4_P12ihipStream_tbEUlmE_xEESD_NS0_8identityIvEEEESI_SL_SM_mSN_SP_bEUlT_E_NS1_11comp_targetILNS1_3genE10ELNS1_11target_archE1200ELNS1_3gpuE4ELNS1_3repE0EEENS1_30default_config_static_selectorELNS0_4arch9wavefront6targetE0EEEvT1_
; %bb.0:
	.section	.rodata,"a",@progbits
	.p2align	6, 0x0
	.amdhsa_kernel _ZN7rocprim17ROCPRIM_400000_NS6detail17trampoline_kernelINS0_14default_configENS1_25transform_config_selectorIxLb0EEEZNS1_14transform_implILb0ES3_S5_NS0_18transform_iteratorINS0_17counting_iteratorImlEEZNS1_24adjacent_difference_implIS3_Lb1ELb0EPKxPxN6thrust23THRUST_200600_302600_NS4plusIxEEEE10hipError_tPvRmT2_T3_mT4_P12ihipStream_tbEUlmE_xEESD_NS0_8identityIvEEEESI_SL_SM_mSN_SP_bEUlT_E_NS1_11comp_targetILNS1_3genE10ELNS1_11target_archE1200ELNS1_3gpuE4ELNS1_3repE0EEENS1_30default_config_static_selectorELNS0_4arch9wavefront6targetE0EEEvT1_
		.amdhsa_group_segment_fixed_size 0
		.amdhsa_private_segment_fixed_size 0
		.amdhsa_kernarg_size 56
		.amdhsa_user_sgpr_count 15
		.amdhsa_user_sgpr_dispatch_ptr 0
		.amdhsa_user_sgpr_queue_ptr 0
		.amdhsa_user_sgpr_kernarg_segment_ptr 1
		.amdhsa_user_sgpr_dispatch_id 0
		.amdhsa_user_sgpr_private_segment_size 0
		.amdhsa_wavefront_size32 1
		.amdhsa_uses_dynamic_stack 0
		.amdhsa_enable_private_segment 0
		.amdhsa_system_sgpr_workgroup_id_x 1
		.amdhsa_system_sgpr_workgroup_id_y 0
		.amdhsa_system_sgpr_workgroup_id_z 0
		.amdhsa_system_sgpr_workgroup_info 0
		.amdhsa_system_vgpr_workitem_id 0
		.amdhsa_next_free_vgpr 1
		.amdhsa_next_free_sgpr 1
		.amdhsa_reserve_vcc 0
		.amdhsa_float_round_mode_32 0
		.amdhsa_float_round_mode_16_64 0
		.amdhsa_float_denorm_mode_32 3
		.amdhsa_float_denorm_mode_16_64 3
		.amdhsa_dx10_clamp 1
		.amdhsa_ieee_mode 1
		.amdhsa_fp16_overflow 0
		.amdhsa_workgroup_processor_mode 1
		.amdhsa_memory_ordered 1
		.amdhsa_forward_progress 0
		.amdhsa_shared_vgpr_count 0
		.amdhsa_exception_fp_ieee_invalid_op 0
		.amdhsa_exception_fp_denorm_src 0
		.amdhsa_exception_fp_ieee_div_zero 0
		.amdhsa_exception_fp_ieee_overflow 0
		.amdhsa_exception_fp_ieee_underflow 0
		.amdhsa_exception_fp_ieee_inexact 0
		.amdhsa_exception_int_div_zero 0
	.end_amdhsa_kernel
	.section	.text._ZN7rocprim17ROCPRIM_400000_NS6detail17trampoline_kernelINS0_14default_configENS1_25transform_config_selectorIxLb0EEEZNS1_14transform_implILb0ES3_S5_NS0_18transform_iteratorINS0_17counting_iteratorImlEEZNS1_24adjacent_difference_implIS3_Lb1ELb0EPKxPxN6thrust23THRUST_200600_302600_NS4plusIxEEEE10hipError_tPvRmT2_T3_mT4_P12ihipStream_tbEUlmE_xEESD_NS0_8identityIvEEEESI_SL_SM_mSN_SP_bEUlT_E_NS1_11comp_targetILNS1_3genE10ELNS1_11target_archE1200ELNS1_3gpuE4ELNS1_3repE0EEENS1_30default_config_static_selectorELNS0_4arch9wavefront6targetE0EEEvT1_,"axG",@progbits,_ZN7rocprim17ROCPRIM_400000_NS6detail17trampoline_kernelINS0_14default_configENS1_25transform_config_selectorIxLb0EEEZNS1_14transform_implILb0ES3_S5_NS0_18transform_iteratorINS0_17counting_iteratorImlEEZNS1_24adjacent_difference_implIS3_Lb1ELb0EPKxPxN6thrust23THRUST_200600_302600_NS4plusIxEEEE10hipError_tPvRmT2_T3_mT4_P12ihipStream_tbEUlmE_xEESD_NS0_8identityIvEEEESI_SL_SM_mSN_SP_bEUlT_E_NS1_11comp_targetILNS1_3genE10ELNS1_11target_archE1200ELNS1_3gpuE4ELNS1_3repE0EEENS1_30default_config_static_selectorELNS0_4arch9wavefront6targetE0EEEvT1_,comdat
.Lfunc_end712:
	.size	_ZN7rocprim17ROCPRIM_400000_NS6detail17trampoline_kernelINS0_14default_configENS1_25transform_config_selectorIxLb0EEEZNS1_14transform_implILb0ES3_S5_NS0_18transform_iteratorINS0_17counting_iteratorImlEEZNS1_24adjacent_difference_implIS3_Lb1ELb0EPKxPxN6thrust23THRUST_200600_302600_NS4plusIxEEEE10hipError_tPvRmT2_T3_mT4_P12ihipStream_tbEUlmE_xEESD_NS0_8identityIvEEEESI_SL_SM_mSN_SP_bEUlT_E_NS1_11comp_targetILNS1_3genE10ELNS1_11target_archE1200ELNS1_3gpuE4ELNS1_3repE0EEENS1_30default_config_static_selectorELNS0_4arch9wavefront6targetE0EEEvT1_, .Lfunc_end712-_ZN7rocprim17ROCPRIM_400000_NS6detail17trampoline_kernelINS0_14default_configENS1_25transform_config_selectorIxLb0EEEZNS1_14transform_implILb0ES3_S5_NS0_18transform_iteratorINS0_17counting_iteratorImlEEZNS1_24adjacent_difference_implIS3_Lb1ELb0EPKxPxN6thrust23THRUST_200600_302600_NS4plusIxEEEE10hipError_tPvRmT2_T3_mT4_P12ihipStream_tbEUlmE_xEESD_NS0_8identityIvEEEESI_SL_SM_mSN_SP_bEUlT_E_NS1_11comp_targetILNS1_3genE10ELNS1_11target_archE1200ELNS1_3gpuE4ELNS1_3repE0EEENS1_30default_config_static_selectorELNS0_4arch9wavefront6targetE0EEEvT1_
                                        ; -- End function
	.section	.AMDGPU.csdata,"",@progbits
; Kernel info:
; codeLenInByte = 0
; NumSgprs: 0
; NumVgprs: 0
; ScratchSize: 0
; MemoryBound: 0
; FloatMode: 240
; IeeeMode: 1
; LDSByteSize: 0 bytes/workgroup (compile time only)
; SGPRBlocks: 0
; VGPRBlocks: 0
; NumSGPRsForWavesPerEU: 1
; NumVGPRsForWavesPerEU: 1
; Occupancy: 16
; WaveLimiterHint : 0
; COMPUTE_PGM_RSRC2:SCRATCH_EN: 0
; COMPUTE_PGM_RSRC2:USER_SGPR: 15
; COMPUTE_PGM_RSRC2:TRAP_HANDLER: 0
; COMPUTE_PGM_RSRC2:TGID_X_EN: 1
; COMPUTE_PGM_RSRC2:TGID_Y_EN: 0
; COMPUTE_PGM_RSRC2:TGID_Z_EN: 0
; COMPUTE_PGM_RSRC2:TIDIG_COMP_CNT: 0
	.section	.text._ZN7rocprim17ROCPRIM_400000_NS6detail17trampoline_kernelINS0_14default_configENS1_25transform_config_selectorIxLb0EEEZNS1_14transform_implILb0ES3_S5_NS0_18transform_iteratorINS0_17counting_iteratorImlEEZNS1_24adjacent_difference_implIS3_Lb1ELb0EPKxPxN6thrust23THRUST_200600_302600_NS4plusIxEEEE10hipError_tPvRmT2_T3_mT4_P12ihipStream_tbEUlmE_xEESD_NS0_8identityIvEEEESI_SL_SM_mSN_SP_bEUlT_E_NS1_11comp_targetILNS1_3genE9ELNS1_11target_archE1100ELNS1_3gpuE3ELNS1_3repE0EEENS1_30default_config_static_selectorELNS0_4arch9wavefront6targetE0EEEvT1_,"axG",@progbits,_ZN7rocprim17ROCPRIM_400000_NS6detail17trampoline_kernelINS0_14default_configENS1_25transform_config_selectorIxLb0EEEZNS1_14transform_implILb0ES3_S5_NS0_18transform_iteratorINS0_17counting_iteratorImlEEZNS1_24adjacent_difference_implIS3_Lb1ELb0EPKxPxN6thrust23THRUST_200600_302600_NS4plusIxEEEE10hipError_tPvRmT2_T3_mT4_P12ihipStream_tbEUlmE_xEESD_NS0_8identityIvEEEESI_SL_SM_mSN_SP_bEUlT_E_NS1_11comp_targetILNS1_3genE9ELNS1_11target_archE1100ELNS1_3gpuE3ELNS1_3repE0EEENS1_30default_config_static_selectorELNS0_4arch9wavefront6targetE0EEEvT1_,comdat
	.protected	_ZN7rocprim17ROCPRIM_400000_NS6detail17trampoline_kernelINS0_14default_configENS1_25transform_config_selectorIxLb0EEEZNS1_14transform_implILb0ES3_S5_NS0_18transform_iteratorINS0_17counting_iteratorImlEEZNS1_24adjacent_difference_implIS3_Lb1ELb0EPKxPxN6thrust23THRUST_200600_302600_NS4plusIxEEEE10hipError_tPvRmT2_T3_mT4_P12ihipStream_tbEUlmE_xEESD_NS0_8identityIvEEEESI_SL_SM_mSN_SP_bEUlT_E_NS1_11comp_targetILNS1_3genE9ELNS1_11target_archE1100ELNS1_3gpuE3ELNS1_3repE0EEENS1_30default_config_static_selectorELNS0_4arch9wavefront6targetE0EEEvT1_ ; -- Begin function _ZN7rocprim17ROCPRIM_400000_NS6detail17trampoline_kernelINS0_14default_configENS1_25transform_config_selectorIxLb0EEEZNS1_14transform_implILb0ES3_S5_NS0_18transform_iteratorINS0_17counting_iteratorImlEEZNS1_24adjacent_difference_implIS3_Lb1ELb0EPKxPxN6thrust23THRUST_200600_302600_NS4plusIxEEEE10hipError_tPvRmT2_T3_mT4_P12ihipStream_tbEUlmE_xEESD_NS0_8identityIvEEEESI_SL_SM_mSN_SP_bEUlT_E_NS1_11comp_targetILNS1_3genE9ELNS1_11target_archE1100ELNS1_3gpuE3ELNS1_3repE0EEENS1_30default_config_static_selectorELNS0_4arch9wavefront6targetE0EEEvT1_
	.globl	_ZN7rocprim17ROCPRIM_400000_NS6detail17trampoline_kernelINS0_14default_configENS1_25transform_config_selectorIxLb0EEEZNS1_14transform_implILb0ES3_S5_NS0_18transform_iteratorINS0_17counting_iteratorImlEEZNS1_24adjacent_difference_implIS3_Lb1ELb0EPKxPxN6thrust23THRUST_200600_302600_NS4plusIxEEEE10hipError_tPvRmT2_T3_mT4_P12ihipStream_tbEUlmE_xEESD_NS0_8identityIvEEEESI_SL_SM_mSN_SP_bEUlT_E_NS1_11comp_targetILNS1_3genE9ELNS1_11target_archE1100ELNS1_3gpuE3ELNS1_3repE0EEENS1_30default_config_static_selectorELNS0_4arch9wavefront6targetE0EEEvT1_
	.p2align	8
	.type	_ZN7rocprim17ROCPRIM_400000_NS6detail17trampoline_kernelINS0_14default_configENS1_25transform_config_selectorIxLb0EEEZNS1_14transform_implILb0ES3_S5_NS0_18transform_iteratorINS0_17counting_iteratorImlEEZNS1_24adjacent_difference_implIS3_Lb1ELb0EPKxPxN6thrust23THRUST_200600_302600_NS4plusIxEEEE10hipError_tPvRmT2_T3_mT4_P12ihipStream_tbEUlmE_xEESD_NS0_8identityIvEEEESI_SL_SM_mSN_SP_bEUlT_E_NS1_11comp_targetILNS1_3genE9ELNS1_11target_archE1100ELNS1_3gpuE3ELNS1_3repE0EEENS1_30default_config_static_selectorELNS0_4arch9wavefront6targetE0EEEvT1_,@function
_ZN7rocprim17ROCPRIM_400000_NS6detail17trampoline_kernelINS0_14default_configENS1_25transform_config_selectorIxLb0EEEZNS1_14transform_implILb0ES3_S5_NS0_18transform_iteratorINS0_17counting_iteratorImlEEZNS1_24adjacent_difference_implIS3_Lb1ELb0EPKxPxN6thrust23THRUST_200600_302600_NS4plusIxEEEE10hipError_tPvRmT2_T3_mT4_P12ihipStream_tbEUlmE_xEESD_NS0_8identityIvEEEESI_SL_SM_mSN_SP_bEUlT_E_NS1_11comp_targetILNS1_3genE9ELNS1_11target_archE1100ELNS1_3gpuE3ELNS1_3repE0EEENS1_30default_config_static_selectorELNS0_4arch9wavefront6targetE0EEEvT1_: ; @_ZN7rocprim17ROCPRIM_400000_NS6detail17trampoline_kernelINS0_14default_configENS1_25transform_config_selectorIxLb0EEEZNS1_14transform_implILb0ES3_S5_NS0_18transform_iteratorINS0_17counting_iteratorImlEEZNS1_24adjacent_difference_implIS3_Lb1ELb0EPKxPxN6thrust23THRUST_200600_302600_NS4plusIxEEEE10hipError_tPvRmT2_T3_mT4_P12ihipStream_tbEUlmE_xEESD_NS0_8identityIvEEEESI_SL_SM_mSN_SP_bEUlT_E_NS1_11comp_targetILNS1_3genE9ELNS1_11target_archE1100ELNS1_3gpuE3ELNS1_3repE0EEENS1_30default_config_static_selectorELNS0_4arch9wavefront6targetE0EEEvT1_
; %bb.0:
	s_clause 0x4
	s_load_b128 s[4:7], s[0:1], 0x0
	s_load_b64 s[2:3], s[0:1], 0x18
	s_load_b64 s[12:13], s[0:1], 0x28
	s_load_b32 s11, s[0:1], 0x38
	s_load_b32 s8, s[0:1], 0x10
	s_waitcnt lgkmcnt(0)
	s_add_u32 s9, s2, s4
	s_addc_u32 s10, s3, s5
	s_lshl_b64 s[2:3], s[2:3], 3
	s_delay_alu instid0(SALU_CYCLE_1)
	s_add_u32 s4, s12, s2
	s_addc_u32 s5, s13, s3
	s_add_i32 s11, s11, -1
	s_lshl_b32 s2, s15, 9
	s_mov_b32 s3, 0
	s_cmp_lg_u32 s15, s11
	s_mov_b32 s11, -1
	s_cbranch_scc0 .LBB713_2
; %bb.1:
	s_add_u32 s11, s9, s2
	s_addc_u32 s12, s10, 0
	v_add_co_u32 v3, s11, s11, v0
	s_delay_alu instid0(VALU_DEP_1) | instskip(SKIP_1) | instid1(VALU_DEP_2)
	v_add_co_ci_u32_e64 v5, null, s12, 0, s11
	s_lshl_b64 s[12:13], s[2:3], 3
	v_mad_u64_u32 v[1:2], null, v3, s8, 0
	s_add_u32 s12, s4, s12
	s_addc_u32 s13, s5, s13
	s_mov_b32 s11, s3
	s_delay_alu instid0(VALU_DEP_1) | instskip(NEXT) | instid1(VALU_DEP_1)
	v_mad_u64_u32 v[3:4], null, v5, s8, v[2:3]
	v_dual_mov_b32 v2, v3 :: v_dual_lshlrev_b32 v3, 3, v0
	s_delay_alu instid0(VALU_DEP_1) | instskip(NEXT) | instid1(VALU_DEP_1)
	v_lshlrev_b64 v[1:2], 3, v[1:2]
	v_add_co_u32 v1, vcc_lo, s6, v1
	s_delay_alu instid0(VALU_DEP_2)
	v_add_co_ci_u32_e32 v2, vcc_lo, s7, v2, vcc_lo
	global_load_b64 v[1:2], v[1:2], off
	s_waitcnt vmcnt(0)
	global_store_b64 v3, v[1:2], s[12:13]
.LBB713_2:
	s_and_not1_b32 vcc_lo, exec_lo, s11
	s_cbranch_vccnz .LBB713_7
; %bb.3:
	s_load_b32 s0, s[0:1], 0x20
                                        ; implicit-def: $vgpr1_vgpr2
	s_waitcnt lgkmcnt(0)
	s_sub_i32 s0, s0, s2
	s_delay_alu instid0(SALU_CYCLE_1)
	v_cmp_gt_u32_e32 vcc_lo, s0, v0
	s_and_saveexec_b32 s1, vcc_lo
	s_cbranch_execz .LBB713_5
; %bb.4:
	s_add_u32 s0, s9, s2
	s_addc_u32 s9, s10, 0
	v_add_co_u32 v3, s0, s0, v0
	s_delay_alu instid0(VALU_DEP_1) | instskip(NEXT) | instid1(VALU_DEP_2)
	v_add_co_ci_u32_e64 v5, null, s9, 0, s0
	v_mad_u64_u32 v[1:2], null, v3, s8, 0
	s_delay_alu instid0(VALU_DEP_1) | instskip(NEXT) | instid1(VALU_DEP_1)
	v_mad_u64_u32 v[3:4], null, v5, s8, v[2:3]
	v_mov_b32_e32 v2, v3
	s_delay_alu instid0(VALU_DEP_1) | instskip(NEXT) | instid1(VALU_DEP_1)
	v_lshlrev_b64 v[1:2], 3, v[1:2]
	v_add_co_u32 v1, s0, s6, v1
	s_delay_alu instid0(VALU_DEP_1)
	v_add_co_ci_u32_e64 v2, s0, s7, v2, s0
	global_load_b64 v[1:2], v[1:2], off
.LBB713_5:
	s_or_b32 exec_lo, exec_lo, s1
	s_and_saveexec_b32 s0, vcc_lo
	s_cbranch_execz .LBB713_7
; %bb.6:
	s_lshl_b64 s[0:1], s[2:3], 3
	v_lshlrev_b32_e32 v0, 3, v0
	s_add_u32 s0, s4, s0
	s_addc_u32 s1, s5, s1
	s_waitcnt vmcnt(0)
	global_store_b64 v0, v[1:2], s[0:1]
.LBB713_7:
	s_nop 0
	s_sendmsg sendmsg(MSG_DEALLOC_VGPRS)
	s_endpgm
	.section	.rodata,"a",@progbits
	.p2align	6, 0x0
	.amdhsa_kernel _ZN7rocprim17ROCPRIM_400000_NS6detail17trampoline_kernelINS0_14default_configENS1_25transform_config_selectorIxLb0EEEZNS1_14transform_implILb0ES3_S5_NS0_18transform_iteratorINS0_17counting_iteratorImlEEZNS1_24adjacent_difference_implIS3_Lb1ELb0EPKxPxN6thrust23THRUST_200600_302600_NS4plusIxEEEE10hipError_tPvRmT2_T3_mT4_P12ihipStream_tbEUlmE_xEESD_NS0_8identityIvEEEESI_SL_SM_mSN_SP_bEUlT_E_NS1_11comp_targetILNS1_3genE9ELNS1_11target_archE1100ELNS1_3gpuE3ELNS1_3repE0EEENS1_30default_config_static_selectorELNS0_4arch9wavefront6targetE0EEEvT1_
		.amdhsa_group_segment_fixed_size 0
		.amdhsa_private_segment_fixed_size 0
		.amdhsa_kernarg_size 312
		.amdhsa_user_sgpr_count 15
		.amdhsa_user_sgpr_dispatch_ptr 0
		.amdhsa_user_sgpr_queue_ptr 0
		.amdhsa_user_sgpr_kernarg_segment_ptr 1
		.amdhsa_user_sgpr_dispatch_id 0
		.amdhsa_user_sgpr_private_segment_size 0
		.amdhsa_wavefront_size32 1
		.amdhsa_uses_dynamic_stack 0
		.amdhsa_enable_private_segment 0
		.amdhsa_system_sgpr_workgroup_id_x 1
		.amdhsa_system_sgpr_workgroup_id_y 0
		.amdhsa_system_sgpr_workgroup_id_z 0
		.amdhsa_system_sgpr_workgroup_info 0
		.amdhsa_system_vgpr_workitem_id 0
		.amdhsa_next_free_vgpr 6
		.amdhsa_next_free_sgpr 16
		.amdhsa_reserve_vcc 1
		.amdhsa_float_round_mode_32 0
		.amdhsa_float_round_mode_16_64 0
		.amdhsa_float_denorm_mode_32 3
		.amdhsa_float_denorm_mode_16_64 3
		.amdhsa_dx10_clamp 1
		.amdhsa_ieee_mode 1
		.amdhsa_fp16_overflow 0
		.amdhsa_workgroup_processor_mode 1
		.amdhsa_memory_ordered 1
		.amdhsa_forward_progress 0
		.amdhsa_shared_vgpr_count 0
		.amdhsa_exception_fp_ieee_invalid_op 0
		.amdhsa_exception_fp_denorm_src 0
		.amdhsa_exception_fp_ieee_div_zero 0
		.amdhsa_exception_fp_ieee_overflow 0
		.amdhsa_exception_fp_ieee_underflow 0
		.amdhsa_exception_fp_ieee_inexact 0
		.amdhsa_exception_int_div_zero 0
	.end_amdhsa_kernel
	.section	.text._ZN7rocprim17ROCPRIM_400000_NS6detail17trampoline_kernelINS0_14default_configENS1_25transform_config_selectorIxLb0EEEZNS1_14transform_implILb0ES3_S5_NS0_18transform_iteratorINS0_17counting_iteratorImlEEZNS1_24adjacent_difference_implIS3_Lb1ELb0EPKxPxN6thrust23THRUST_200600_302600_NS4plusIxEEEE10hipError_tPvRmT2_T3_mT4_P12ihipStream_tbEUlmE_xEESD_NS0_8identityIvEEEESI_SL_SM_mSN_SP_bEUlT_E_NS1_11comp_targetILNS1_3genE9ELNS1_11target_archE1100ELNS1_3gpuE3ELNS1_3repE0EEENS1_30default_config_static_selectorELNS0_4arch9wavefront6targetE0EEEvT1_,"axG",@progbits,_ZN7rocprim17ROCPRIM_400000_NS6detail17trampoline_kernelINS0_14default_configENS1_25transform_config_selectorIxLb0EEEZNS1_14transform_implILb0ES3_S5_NS0_18transform_iteratorINS0_17counting_iteratorImlEEZNS1_24adjacent_difference_implIS3_Lb1ELb0EPKxPxN6thrust23THRUST_200600_302600_NS4plusIxEEEE10hipError_tPvRmT2_T3_mT4_P12ihipStream_tbEUlmE_xEESD_NS0_8identityIvEEEESI_SL_SM_mSN_SP_bEUlT_E_NS1_11comp_targetILNS1_3genE9ELNS1_11target_archE1100ELNS1_3gpuE3ELNS1_3repE0EEENS1_30default_config_static_selectorELNS0_4arch9wavefront6targetE0EEEvT1_,comdat
.Lfunc_end713:
	.size	_ZN7rocprim17ROCPRIM_400000_NS6detail17trampoline_kernelINS0_14default_configENS1_25transform_config_selectorIxLb0EEEZNS1_14transform_implILb0ES3_S5_NS0_18transform_iteratorINS0_17counting_iteratorImlEEZNS1_24adjacent_difference_implIS3_Lb1ELb0EPKxPxN6thrust23THRUST_200600_302600_NS4plusIxEEEE10hipError_tPvRmT2_T3_mT4_P12ihipStream_tbEUlmE_xEESD_NS0_8identityIvEEEESI_SL_SM_mSN_SP_bEUlT_E_NS1_11comp_targetILNS1_3genE9ELNS1_11target_archE1100ELNS1_3gpuE3ELNS1_3repE0EEENS1_30default_config_static_selectorELNS0_4arch9wavefront6targetE0EEEvT1_, .Lfunc_end713-_ZN7rocprim17ROCPRIM_400000_NS6detail17trampoline_kernelINS0_14default_configENS1_25transform_config_selectorIxLb0EEEZNS1_14transform_implILb0ES3_S5_NS0_18transform_iteratorINS0_17counting_iteratorImlEEZNS1_24adjacent_difference_implIS3_Lb1ELb0EPKxPxN6thrust23THRUST_200600_302600_NS4plusIxEEEE10hipError_tPvRmT2_T3_mT4_P12ihipStream_tbEUlmE_xEESD_NS0_8identityIvEEEESI_SL_SM_mSN_SP_bEUlT_E_NS1_11comp_targetILNS1_3genE9ELNS1_11target_archE1100ELNS1_3gpuE3ELNS1_3repE0EEENS1_30default_config_static_selectorELNS0_4arch9wavefront6targetE0EEEvT1_
                                        ; -- End function
	.section	.AMDGPU.csdata,"",@progbits
; Kernel info:
; codeLenInByte = 400
; NumSgprs: 18
; NumVgprs: 6
; ScratchSize: 0
; MemoryBound: 0
; FloatMode: 240
; IeeeMode: 1
; LDSByteSize: 0 bytes/workgroup (compile time only)
; SGPRBlocks: 2
; VGPRBlocks: 0
; NumSGPRsForWavesPerEU: 18
; NumVGPRsForWavesPerEU: 6
; Occupancy: 16
; WaveLimiterHint : 0
; COMPUTE_PGM_RSRC2:SCRATCH_EN: 0
; COMPUTE_PGM_RSRC2:USER_SGPR: 15
; COMPUTE_PGM_RSRC2:TRAP_HANDLER: 0
; COMPUTE_PGM_RSRC2:TGID_X_EN: 1
; COMPUTE_PGM_RSRC2:TGID_Y_EN: 0
; COMPUTE_PGM_RSRC2:TGID_Z_EN: 0
; COMPUTE_PGM_RSRC2:TIDIG_COMP_CNT: 0
	.section	.text._ZN7rocprim17ROCPRIM_400000_NS6detail17trampoline_kernelINS0_14default_configENS1_25transform_config_selectorIxLb0EEEZNS1_14transform_implILb0ES3_S5_NS0_18transform_iteratorINS0_17counting_iteratorImlEEZNS1_24adjacent_difference_implIS3_Lb1ELb0EPKxPxN6thrust23THRUST_200600_302600_NS4plusIxEEEE10hipError_tPvRmT2_T3_mT4_P12ihipStream_tbEUlmE_xEESD_NS0_8identityIvEEEESI_SL_SM_mSN_SP_bEUlT_E_NS1_11comp_targetILNS1_3genE8ELNS1_11target_archE1030ELNS1_3gpuE2ELNS1_3repE0EEENS1_30default_config_static_selectorELNS0_4arch9wavefront6targetE0EEEvT1_,"axG",@progbits,_ZN7rocprim17ROCPRIM_400000_NS6detail17trampoline_kernelINS0_14default_configENS1_25transform_config_selectorIxLb0EEEZNS1_14transform_implILb0ES3_S5_NS0_18transform_iteratorINS0_17counting_iteratorImlEEZNS1_24adjacent_difference_implIS3_Lb1ELb0EPKxPxN6thrust23THRUST_200600_302600_NS4plusIxEEEE10hipError_tPvRmT2_T3_mT4_P12ihipStream_tbEUlmE_xEESD_NS0_8identityIvEEEESI_SL_SM_mSN_SP_bEUlT_E_NS1_11comp_targetILNS1_3genE8ELNS1_11target_archE1030ELNS1_3gpuE2ELNS1_3repE0EEENS1_30default_config_static_selectorELNS0_4arch9wavefront6targetE0EEEvT1_,comdat
	.protected	_ZN7rocprim17ROCPRIM_400000_NS6detail17trampoline_kernelINS0_14default_configENS1_25transform_config_selectorIxLb0EEEZNS1_14transform_implILb0ES3_S5_NS0_18transform_iteratorINS0_17counting_iteratorImlEEZNS1_24adjacent_difference_implIS3_Lb1ELb0EPKxPxN6thrust23THRUST_200600_302600_NS4plusIxEEEE10hipError_tPvRmT2_T3_mT4_P12ihipStream_tbEUlmE_xEESD_NS0_8identityIvEEEESI_SL_SM_mSN_SP_bEUlT_E_NS1_11comp_targetILNS1_3genE8ELNS1_11target_archE1030ELNS1_3gpuE2ELNS1_3repE0EEENS1_30default_config_static_selectorELNS0_4arch9wavefront6targetE0EEEvT1_ ; -- Begin function _ZN7rocprim17ROCPRIM_400000_NS6detail17trampoline_kernelINS0_14default_configENS1_25transform_config_selectorIxLb0EEEZNS1_14transform_implILb0ES3_S5_NS0_18transform_iteratorINS0_17counting_iteratorImlEEZNS1_24adjacent_difference_implIS3_Lb1ELb0EPKxPxN6thrust23THRUST_200600_302600_NS4plusIxEEEE10hipError_tPvRmT2_T3_mT4_P12ihipStream_tbEUlmE_xEESD_NS0_8identityIvEEEESI_SL_SM_mSN_SP_bEUlT_E_NS1_11comp_targetILNS1_3genE8ELNS1_11target_archE1030ELNS1_3gpuE2ELNS1_3repE0EEENS1_30default_config_static_selectorELNS0_4arch9wavefront6targetE0EEEvT1_
	.globl	_ZN7rocprim17ROCPRIM_400000_NS6detail17trampoline_kernelINS0_14default_configENS1_25transform_config_selectorIxLb0EEEZNS1_14transform_implILb0ES3_S5_NS0_18transform_iteratorINS0_17counting_iteratorImlEEZNS1_24adjacent_difference_implIS3_Lb1ELb0EPKxPxN6thrust23THRUST_200600_302600_NS4plusIxEEEE10hipError_tPvRmT2_T3_mT4_P12ihipStream_tbEUlmE_xEESD_NS0_8identityIvEEEESI_SL_SM_mSN_SP_bEUlT_E_NS1_11comp_targetILNS1_3genE8ELNS1_11target_archE1030ELNS1_3gpuE2ELNS1_3repE0EEENS1_30default_config_static_selectorELNS0_4arch9wavefront6targetE0EEEvT1_
	.p2align	8
	.type	_ZN7rocprim17ROCPRIM_400000_NS6detail17trampoline_kernelINS0_14default_configENS1_25transform_config_selectorIxLb0EEEZNS1_14transform_implILb0ES3_S5_NS0_18transform_iteratorINS0_17counting_iteratorImlEEZNS1_24adjacent_difference_implIS3_Lb1ELb0EPKxPxN6thrust23THRUST_200600_302600_NS4plusIxEEEE10hipError_tPvRmT2_T3_mT4_P12ihipStream_tbEUlmE_xEESD_NS0_8identityIvEEEESI_SL_SM_mSN_SP_bEUlT_E_NS1_11comp_targetILNS1_3genE8ELNS1_11target_archE1030ELNS1_3gpuE2ELNS1_3repE0EEENS1_30default_config_static_selectorELNS0_4arch9wavefront6targetE0EEEvT1_,@function
_ZN7rocprim17ROCPRIM_400000_NS6detail17trampoline_kernelINS0_14default_configENS1_25transform_config_selectorIxLb0EEEZNS1_14transform_implILb0ES3_S5_NS0_18transform_iteratorINS0_17counting_iteratorImlEEZNS1_24adjacent_difference_implIS3_Lb1ELb0EPKxPxN6thrust23THRUST_200600_302600_NS4plusIxEEEE10hipError_tPvRmT2_T3_mT4_P12ihipStream_tbEUlmE_xEESD_NS0_8identityIvEEEESI_SL_SM_mSN_SP_bEUlT_E_NS1_11comp_targetILNS1_3genE8ELNS1_11target_archE1030ELNS1_3gpuE2ELNS1_3repE0EEENS1_30default_config_static_selectorELNS0_4arch9wavefront6targetE0EEEvT1_: ; @_ZN7rocprim17ROCPRIM_400000_NS6detail17trampoline_kernelINS0_14default_configENS1_25transform_config_selectorIxLb0EEEZNS1_14transform_implILb0ES3_S5_NS0_18transform_iteratorINS0_17counting_iteratorImlEEZNS1_24adjacent_difference_implIS3_Lb1ELb0EPKxPxN6thrust23THRUST_200600_302600_NS4plusIxEEEE10hipError_tPvRmT2_T3_mT4_P12ihipStream_tbEUlmE_xEESD_NS0_8identityIvEEEESI_SL_SM_mSN_SP_bEUlT_E_NS1_11comp_targetILNS1_3genE8ELNS1_11target_archE1030ELNS1_3gpuE2ELNS1_3repE0EEENS1_30default_config_static_selectorELNS0_4arch9wavefront6targetE0EEEvT1_
; %bb.0:
	.section	.rodata,"a",@progbits
	.p2align	6, 0x0
	.amdhsa_kernel _ZN7rocprim17ROCPRIM_400000_NS6detail17trampoline_kernelINS0_14default_configENS1_25transform_config_selectorIxLb0EEEZNS1_14transform_implILb0ES3_S5_NS0_18transform_iteratorINS0_17counting_iteratorImlEEZNS1_24adjacent_difference_implIS3_Lb1ELb0EPKxPxN6thrust23THRUST_200600_302600_NS4plusIxEEEE10hipError_tPvRmT2_T3_mT4_P12ihipStream_tbEUlmE_xEESD_NS0_8identityIvEEEESI_SL_SM_mSN_SP_bEUlT_E_NS1_11comp_targetILNS1_3genE8ELNS1_11target_archE1030ELNS1_3gpuE2ELNS1_3repE0EEENS1_30default_config_static_selectorELNS0_4arch9wavefront6targetE0EEEvT1_
		.amdhsa_group_segment_fixed_size 0
		.amdhsa_private_segment_fixed_size 0
		.amdhsa_kernarg_size 56
		.amdhsa_user_sgpr_count 15
		.amdhsa_user_sgpr_dispatch_ptr 0
		.amdhsa_user_sgpr_queue_ptr 0
		.amdhsa_user_sgpr_kernarg_segment_ptr 1
		.amdhsa_user_sgpr_dispatch_id 0
		.amdhsa_user_sgpr_private_segment_size 0
		.amdhsa_wavefront_size32 1
		.amdhsa_uses_dynamic_stack 0
		.amdhsa_enable_private_segment 0
		.amdhsa_system_sgpr_workgroup_id_x 1
		.amdhsa_system_sgpr_workgroup_id_y 0
		.amdhsa_system_sgpr_workgroup_id_z 0
		.amdhsa_system_sgpr_workgroup_info 0
		.amdhsa_system_vgpr_workitem_id 0
		.amdhsa_next_free_vgpr 1
		.amdhsa_next_free_sgpr 1
		.amdhsa_reserve_vcc 0
		.amdhsa_float_round_mode_32 0
		.amdhsa_float_round_mode_16_64 0
		.amdhsa_float_denorm_mode_32 3
		.amdhsa_float_denorm_mode_16_64 3
		.amdhsa_dx10_clamp 1
		.amdhsa_ieee_mode 1
		.amdhsa_fp16_overflow 0
		.amdhsa_workgroup_processor_mode 1
		.amdhsa_memory_ordered 1
		.amdhsa_forward_progress 0
		.amdhsa_shared_vgpr_count 0
		.amdhsa_exception_fp_ieee_invalid_op 0
		.amdhsa_exception_fp_denorm_src 0
		.amdhsa_exception_fp_ieee_div_zero 0
		.amdhsa_exception_fp_ieee_overflow 0
		.amdhsa_exception_fp_ieee_underflow 0
		.amdhsa_exception_fp_ieee_inexact 0
		.amdhsa_exception_int_div_zero 0
	.end_amdhsa_kernel
	.section	.text._ZN7rocprim17ROCPRIM_400000_NS6detail17trampoline_kernelINS0_14default_configENS1_25transform_config_selectorIxLb0EEEZNS1_14transform_implILb0ES3_S5_NS0_18transform_iteratorINS0_17counting_iteratorImlEEZNS1_24adjacent_difference_implIS3_Lb1ELb0EPKxPxN6thrust23THRUST_200600_302600_NS4plusIxEEEE10hipError_tPvRmT2_T3_mT4_P12ihipStream_tbEUlmE_xEESD_NS0_8identityIvEEEESI_SL_SM_mSN_SP_bEUlT_E_NS1_11comp_targetILNS1_3genE8ELNS1_11target_archE1030ELNS1_3gpuE2ELNS1_3repE0EEENS1_30default_config_static_selectorELNS0_4arch9wavefront6targetE0EEEvT1_,"axG",@progbits,_ZN7rocprim17ROCPRIM_400000_NS6detail17trampoline_kernelINS0_14default_configENS1_25transform_config_selectorIxLb0EEEZNS1_14transform_implILb0ES3_S5_NS0_18transform_iteratorINS0_17counting_iteratorImlEEZNS1_24adjacent_difference_implIS3_Lb1ELb0EPKxPxN6thrust23THRUST_200600_302600_NS4plusIxEEEE10hipError_tPvRmT2_T3_mT4_P12ihipStream_tbEUlmE_xEESD_NS0_8identityIvEEEESI_SL_SM_mSN_SP_bEUlT_E_NS1_11comp_targetILNS1_3genE8ELNS1_11target_archE1030ELNS1_3gpuE2ELNS1_3repE0EEENS1_30default_config_static_selectorELNS0_4arch9wavefront6targetE0EEEvT1_,comdat
.Lfunc_end714:
	.size	_ZN7rocprim17ROCPRIM_400000_NS6detail17trampoline_kernelINS0_14default_configENS1_25transform_config_selectorIxLb0EEEZNS1_14transform_implILb0ES3_S5_NS0_18transform_iteratorINS0_17counting_iteratorImlEEZNS1_24adjacent_difference_implIS3_Lb1ELb0EPKxPxN6thrust23THRUST_200600_302600_NS4plusIxEEEE10hipError_tPvRmT2_T3_mT4_P12ihipStream_tbEUlmE_xEESD_NS0_8identityIvEEEESI_SL_SM_mSN_SP_bEUlT_E_NS1_11comp_targetILNS1_3genE8ELNS1_11target_archE1030ELNS1_3gpuE2ELNS1_3repE0EEENS1_30default_config_static_selectorELNS0_4arch9wavefront6targetE0EEEvT1_, .Lfunc_end714-_ZN7rocprim17ROCPRIM_400000_NS6detail17trampoline_kernelINS0_14default_configENS1_25transform_config_selectorIxLb0EEEZNS1_14transform_implILb0ES3_S5_NS0_18transform_iteratorINS0_17counting_iteratorImlEEZNS1_24adjacent_difference_implIS3_Lb1ELb0EPKxPxN6thrust23THRUST_200600_302600_NS4plusIxEEEE10hipError_tPvRmT2_T3_mT4_P12ihipStream_tbEUlmE_xEESD_NS0_8identityIvEEEESI_SL_SM_mSN_SP_bEUlT_E_NS1_11comp_targetILNS1_3genE8ELNS1_11target_archE1030ELNS1_3gpuE2ELNS1_3repE0EEENS1_30default_config_static_selectorELNS0_4arch9wavefront6targetE0EEEvT1_
                                        ; -- End function
	.section	.AMDGPU.csdata,"",@progbits
; Kernel info:
; codeLenInByte = 0
; NumSgprs: 0
; NumVgprs: 0
; ScratchSize: 0
; MemoryBound: 0
; FloatMode: 240
; IeeeMode: 1
; LDSByteSize: 0 bytes/workgroup (compile time only)
; SGPRBlocks: 0
; VGPRBlocks: 0
; NumSGPRsForWavesPerEU: 1
; NumVGPRsForWavesPerEU: 1
; Occupancy: 16
; WaveLimiterHint : 0
; COMPUTE_PGM_RSRC2:SCRATCH_EN: 0
; COMPUTE_PGM_RSRC2:USER_SGPR: 15
; COMPUTE_PGM_RSRC2:TRAP_HANDLER: 0
; COMPUTE_PGM_RSRC2:TGID_X_EN: 1
; COMPUTE_PGM_RSRC2:TGID_Y_EN: 0
; COMPUTE_PGM_RSRC2:TGID_Z_EN: 0
; COMPUTE_PGM_RSRC2:TIDIG_COMP_CNT: 0
	.section	.text._ZN7rocprim17ROCPRIM_400000_NS6detail17trampoline_kernelINS0_14default_configENS1_35adjacent_difference_config_selectorILb1ExEEZNS1_24adjacent_difference_implIS3_Lb1ELb0EPKxPxN6thrust23THRUST_200600_302600_NS4plusIxEEEE10hipError_tPvRmT2_T3_mT4_P12ihipStream_tbEUlT_E_NS1_11comp_targetILNS1_3genE0ELNS1_11target_archE4294967295ELNS1_3gpuE0ELNS1_3repE0EEENS1_30default_config_static_selectorELNS0_4arch9wavefront6targetE0EEEvT1_,"axG",@progbits,_ZN7rocprim17ROCPRIM_400000_NS6detail17trampoline_kernelINS0_14default_configENS1_35adjacent_difference_config_selectorILb1ExEEZNS1_24adjacent_difference_implIS3_Lb1ELb0EPKxPxN6thrust23THRUST_200600_302600_NS4plusIxEEEE10hipError_tPvRmT2_T3_mT4_P12ihipStream_tbEUlT_E_NS1_11comp_targetILNS1_3genE0ELNS1_11target_archE4294967295ELNS1_3gpuE0ELNS1_3repE0EEENS1_30default_config_static_selectorELNS0_4arch9wavefront6targetE0EEEvT1_,comdat
	.protected	_ZN7rocprim17ROCPRIM_400000_NS6detail17trampoline_kernelINS0_14default_configENS1_35adjacent_difference_config_selectorILb1ExEEZNS1_24adjacent_difference_implIS3_Lb1ELb0EPKxPxN6thrust23THRUST_200600_302600_NS4plusIxEEEE10hipError_tPvRmT2_T3_mT4_P12ihipStream_tbEUlT_E_NS1_11comp_targetILNS1_3genE0ELNS1_11target_archE4294967295ELNS1_3gpuE0ELNS1_3repE0EEENS1_30default_config_static_selectorELNS0_4arch9wavefront6targetE0EEEvT1_ ; -- Begin function _ZN7rocprim17ROCPRIM_400000_NS6detail17trampoline_kernelINS0_14default_configENS1_35adjacent_difference_config_selectorILb1ExEEZNS1_24adjacent_difference_implIS3_Lb1ELb0EPKxPxN6thrust23THRUST_200600_302600_NS4plusIxEEEE10hipError_tPvRmT2_T3_mT4_P12ihipStream_tbEUlT_E_NS1_11comp_targetILNS1_3genE0ELNS1_11target_archE4294967295ELNS1_3gpuE0ELNS1_3repE0EEENS1_30default_config_static_selectorELNS0_4arch9wavefront6targetE0EEEvT1_
	.globl	_ZN7rocprim17ROCPRIM_400000_NS6detail17trampoline_kernelINS0_14default_configENS1_35adjacent_difference_config_selectorILb1ExEEZNS1_24adjacent_difference_implIS3_Lb1ELb0EPKxPxN6thrust23THRUST_200600_302600_NS4plusIxEEEE10hipError_tPvRmT2_T3_mT4_P12ihipStream_tbEUlT_E_NS1_11comp_targetILNS1_3genE0ELNS1_11target_archE4294967295ELNS1_3gpuE0ELNS1_3repE0EEENS1_30default_config_static_selectorELNS0_4arch9wavefront6targetE0EEEvT1_
	.p2align	8
	.type	_ZN7rocprim17ROCPRIM_400000_NS6detail17trampoline_kernelINS0_14default_configENS1_35adjacent_difference_config_selectorILb1ExEEZNS1_24adjacent_difference_implIS3_Lb1ELb0EPKxPxN6thrust23THRUST_200600_302600_NS4plusIxEEEE10hipError_tPvRmT2_T3_mT4_P12ihipStream_tbEUlT_E_NS1_11comp_targetILNS1_3genE0ELNS1_11target_archE4294967295ELNS1_3gpuE0ELNS1_3repE0EEENS1_30default_config_static_selectorELNS0_4arch9wavefront6targetE0EEEvT1_,@function
_ZN7rocprim17ROCPRIM_400000_NS6detail17trampoline_kernelINS0_14default_configENS1_35adjacent_difference_config_selectorILb1ExEEZNS1_24adjacent_difference_implIS3_Lb1ELb0EPKxPxN6thrust23THRUST_200600_302600_NS4plusIxEEEE10hipError_tPvRmT2_T3_mT4_P12ihipStream_tbEUlT_E_NS1_11comp_targetILNS1_3genE0ELNS1_11target_archE4294967295ELNS1_3gpuE0ELNS1_3repE0EEENS1_30default_config_static_selectorELNS0_4arch9wavefront6targetE0EEEvT1_: ; @_ZN7rocprim17ROCPRIM_400000_NS6detail17trampoline_kernelINS0_14default_configENS1_35adjacent_difference_config_selectorILb1ExEEZNS1_24adjacent_difference_implIS3_Lb1ELb0EPKxPxN6thrust23THRUST_200600_302600_NS4plusIxEEEE10hipError_tPvRmT2_T3_mT4_P12ihipStream_tbEUlT_E_NS1_11comp_targetILNS1_3genE0ELNS1_11target_archE4294967295ELNS1_3gpuE0ELNS1_3repE0EEENS1_30default_config_static_selectorELNS0_4arch9wavefront6targetE0EEEvT1_
; %bb.0:
	.section	.rodata,"a",@progbits
	.p2align	6, 0x0
	.amdhsa_kernel _ZN7rocprim17ROCPRIM_400000_NS6detail17trampoline_kernelINS0_14default_configENS1_35adjacent_difference_config_selectorILb1ExEEZNS1_24adjacent_difference_implIS3_Lb1ELb0EPKxPxN6thrust23THRUST_200600_302600_NS4plusIxEEEE10hipError_tPvRmT2_T3_mT4_P12ihipStream_tbEUlT_E_NS1_11comp_targetILNS1_3genE0ELNS1_11target_archE4294967295ELNS1_3gpuE0ELNS1_3repE0EEENS1_30default_config_static_selectorELNS0_4arch9wavefront6targetE0EEEvT1_
		.amdhsa_group_segment_fixed_size 0
		.amdhsa_private_segment_fixed_size 0
		.amdhsa_kernarg_size 56
		.amdhsa_user_sgpr_count 15
		.amdhsa_user_sgpr_dispatch_ptr 0
		.amdhsa_user_sgpr_queue_ptr 0
		.amdhsa_user_sgpr_kernarg_segment_ptr 1
		.amdhsa_user_sgpr_dispatch_id 0
		.amdhsa_user_sgpr_private_segment_size 0
		.amdhsa_wavefront_size32 1
		.amdhsa_uses_dynamic_stack 0
		.amdhsa_enable_private_segment 0
		.amdhsa_system_sgpr_workgroup_id_x 1
		.amdhsa_system_sgpr_workgroup_id_y 0
		.amdhsa_system_sgpr_workgroup_id_z 0
		.amdhsa_system_sgpr_workgroup_info 0
		.amdhsa_system_vgpr_workitem_id 0
		.amdhsa_next_free_vgpr 1
		.amdhsa_next_free_sgpr 1
		.amdhsa_reserve_vcc 0
		.amdhsa_float_round_mode_32 0
		.amdhsa_float_round_mode_16_64 0
		.amdhsa_float_denorm_mode_32 3
		.amdhsa_float_denorm_mode_16_64 3
		.amdhsa_dx10_clamp 1
		.amdhsa_ieee_mode 1
		.amdhsa_fp16_overflow 0
		.amdhsa_workgroup_processor_mode 1
		.amdhsa_memory_ordered 1
		.amdhsa_forward_progress 0
		.amdhsa_shared_vgpr_count 0
		.amdhsa_exception_fp_ieee_invalid_op 0
		.amdhsa_exception_fp_denorm_src 0
		.amdhsa_exception_fp_ieee_div_zero 0
		.amdhsa_exception_fp_ieee_overflow 0
		.amdhsa_exception_fp_ieee_underflow 0
		.amdhsa_exception_fp_ieee_inexact 0
		.amdhsa_exception_int_div_zero 0
	.end_amdhsa_kernel
	.section	.text._ZN7rocprim17ROCPRIM_400000_NS6detail17trampoline_kernelINS0_14default_configENS1_35adjacent_difference_config_selectorILb1ExEEZNS1_24adjacent_difference_implIS3_Lb1ELb0EPKxPxN6thrust23THRUST_200600_302600_NS4plusIxEEEE10hipError_tPvRmT2_T3_mT4_P12ihipStream_tbEUlT_E_NS1_11comp_targetILNS1_3genE0ELNS1_11target_archE4294967295ELNS1_3gpuE0ELNS1_3repE0EEENS1_30default_config_static_selectorELNS0_4arch9wavefront6targetE0EEEvT1_,"axG",@progbits,_ZN7rocprim17ROCPRIM_400000_NS6detail17trampoline_kernelINS0_14default_configENS1_35adjacent_difference_config_selectorILb1ExEEZNS1_24adjacent_difference_implIS3_Lb1ELb0EPKxPxN6thrust23THRUST_200600_302600_NS4plusIxEEEE10hipError_tPvRmT2_T3_mT4_P12ihipStream_tbEUlT_E_NS1_11comp_targetILNS1_3genE0ELNS1_11target_archE4294967295ELNS1_3gpuE0ELNS1_3repE0EEENS1_30default_config_static_selectorELNS0_4arch9wavefront6targetE0EEEvT1_,comdat
.Lfunc_end715:
	.size	_ZN7rocprim17ROCPRIM_400000_NS6detail17trampoline_kernelINS0_14default_configENS1_35adjacent_difference_config_selectorILb1ExEEZNS1_24adjacent_difference_implIS3_Lb1ELb0EPKxPxN6thrust23THRUST_200600_302600_NS4plusIxEEEE10hipError_tPvRmT2_T3_mT4_P12ihipStream_tbEUlT_E_NS1_11comp_targetILNS1_3genE0ELNS1_11target_archE4294967295ELNS1_3gpuE0ELNS1_3repE0EEENS1_30default_config_static_selectorELNS0_4arch9wavefront6targetE0EEEvT1_, .Lfunc_end715-_ZN7rocprim17ROCPRIM_400000_NS6detail17trampoline_kernelINS0_14default_configENS1_35adjacent_difference_config_selectorILb1ExEEZNS1_24adjacent_difference_implIS3_Lb1ELb0EPKxPxN6thrust23THRUST_200600_302600_NS4plusIxEEEE10hipError_tPvRmT2_T3_mT4_P12ihipStream_tbEUlT_E_NS1_11comp_targetILNS1_3genE0ELNS1_11target_archE4294967295ELNS1_3gpuE0ELNS1_3repE0EEENS1_30default_config_static_selectorELNS0_4arch9wavefront6targetE0EEEvT1_
                                        ; -- End function
	.section	.AMDGPU.csdata,"",@progbits
; Kernel info:
; codeLenInByte = 0
; NumSgprs: 0
; NumVgprs: 0
; ScratchSize: 0
; MemoryBound: 0
; FloatMode: 240
; IeeeMode: 1
; LDSByteSize: 0 bytes/workgroup (compile time only)
; SGPRBlocks: 0
; VGPRBlocks: 0
; NumSGPRsForWavesPerEU: 1
; NumVGPRsForWavesPerEU: 1
; Occupancy: 16
; WaveLimiterHint : 0
; COMPUTE_PGM_RSRC2:SCRATCH_EN: 0
; COMPUTE_PGM_RSRC2:USER_SGPR: 15
; COMPUTE_PGM_RSRC2:TRAP_HANDLER: 0
; COMPUTE_PGM_RSRC2:TGID_X_EN: 1
; COMPUTE_PGM_RSRC2:TGID_Y_EN: 0
; COMPUTE_PGM_RSRC2:TGID_Z_EN: 0
; COMPUTE_PGM_RSRC2:TIDIG_COMP_CNT: 0
	.section	.text._ZN7rocprim17ROCPRIM_400000_NS6detail17trampoline_kernelINS0_14default_configENS1_35adjacent_difference_config_selectorILb1ExEEZNS1_24adjacent_difference_implIS3_Lb1ELb0EPKxPxN6thrust23THRUST_200600_302600_NS4plusIxEEEE10hipError_tPvRmT2_T3_mT4_P12ihipStream_tbEUlT_E_NS1_11comp_targetILNS1_3genE10ELNS1_11target_archE1201ELNS1_3gpuE5ELNS1_3repE0EEENS1_30default_config_static_selectorELNS0_4arch9wavefront6targetE0EEEvT1_,"axG",@progbits,_ZN7rocprim17ROCPRIM_400000_NS6detail17trampoline_kernelINS0_14default_configENS1_35adjacent_difference_config_selectorILb1ExEEZNS1_24adjacent_difference_implIS3_Lb1ELb0EPKxPxN6thrust23THRUST_200600_302600_NS4plusIxEEEE10hipError_tPvRmT2_T3_mT4_P12ihipStream_tbEUlT_E_NS1_11comp_targetILNS1_3genE10ELNS1_11target_archE1201ELNS1_3gpuE5ELNS1_3repE0EEENS1_30default_config_static_selectorELNS0_4arch9wavefront6targetE0EEEvT1_,comdat
	.protected	_ZN7rocprim17ROCPRIM_400000_NS6detail17trampoline_kernelINS0_14default_configENS1_35adjacent_difference_config_selectorILb1ExEEZNS1_24adjacent_difference_implIS3_Lb1ELb0EPKxPxN6thrust23THRUST_200600_302600_NS4plusIxEEEE10hipError_tPvRmT2_T3_mT4_P12ihipStream_tbEUlT_E_NS1_11comp_targetILNS1_3genE10ELNS1_11target_archE1201ELNS1_3gpuE5ELNS1_3repE0EEENS1_30default_config_static_selectorELNS0_4arch9wavefront6targetE0EEEvT1_ ; -- Begin function _ZN7rocprim17ROCPRIM_400000_NS6detail17trampoline_kernelINS0_14default_configENS1_35adjacent_difference_config_selectorILb1ExEEZNS1_24adjacent_difference_implIS3_Lb1ELb0EPKxPxN6thrust23THRUST_200600_302600_NS4plusIxEEEE10hipError_tPvRmT2_T3_mT4_P12ihipStream_tbEUlT_E_NS1_11comp_targetILNS1_3genE10ELNS1_11target_archE1201ELNS1_3gpuE5ELNS1_3repE0EEENS1_30default_config_static_selectorELNS0_4arch9wavefront6targetE0EEEvT1_
	.globl	_ZN7rocprim17ROCPRIM_400000_NS6detail17trampoline_kernelINS0_14default_configENS1_35adjacent_difference_config_selectorILb1ExEEZNS1_24adjacent_difference_implIS3_Lb1ELb0EPKxPxN6thrust23THRUST_200600_302600_NS4plusIxEEEE10hipError_tPvRmT2_T3_mT4_P12ihipStream_tbEUlT_E_NS1_11comp_targetILNS1_3genE10ELNS1_11target_archE1201ELNS1_3gpuE5ELNS1_3repE0EEENS1_30default_config_static_selectorELNS0_4arch9wavefront6targetE0EEEvT1_
	.p2align	8
	.type	_ZN7rocprim17ROCPRIM_400000_NS6detail17trampoline_kernelINS0_14default_configENS1_35adjacent_difference_config_selectorILb1ExEEZNS1_24adjacent_difference_implIS3_Lb1ELb0EPKxPxN6thrust23THRUST_200600_302600_NS4plusIxEEEE10hipError_tPvRmT2_T3_mT4_P12ihipStream_tbEUlT_E_NS1_11comp_targetILNS1_3genE10ELNS1_11target_archE1201ELNS1_3gpuE5ELNS1_3repE0EEENS1_30default_config_static_selectorELNS0_4arch9wavefront6targetE0EEEvT1_,@function
_ZN7rocprim17ROCPRIM_400000_NS6detail17trampoline_kernelINS0_14default_configENS1_35adjacent_difference_config_selectorILb1ExEEZNS1_24adjacent_difference_implIS3_Lb1ELb0EPKxPxN6thrust23THRUST_200600_302600_NS4plusIxEEEE10hipError_tPvRmT2_T3_mT4_P12ihipStream_tbEUlT_E_NS1_11comp_targetILNS1_3genE10ELNS1_11target_archE1201ELNS1_3gpuE5ELNS1_3repE0EEENS1_30default_config_static_selectorELNS0_4arch9wavefront6targetE0EEEvT1_: ; @_ZN7rocprim17ROCPRIM_400000_NS6detail17trampoline_kernelINS0_14default_configENS1_35adjacent_difference_config_selectorILb1ExEEZNS1_24adjacent_difference_implIS3_Lb1ELb0EPKxPxN6thrust23THRUST_200600_302600_NS4plusIxEEEE10hipError_tPvRmT2_T3_mT4_P12ihipStream_tbEUlT_E_NS1_11comp_targetILNS1_3genE10ELNS1_11target_archE1201ELNS1_3gpuE5ELNS1_3repE0EEENS1_30default_config_static_selectorELNS0_4arch9wavefront6targetE0EEEvT1_
; %bb.0:
	.section	.rodata,"a",@progbits
	.p2align	6, 0x0
	.amdhsa_kernel _ZN7rocprim17ROCPRIM_400000_NS6detail17trampoline_kernelINS0_14default_configENS1_35adjacent_difference_config_selectorILb1ExEEZNS1_24adjacent_difference_implIS3_Lb1ELb0EPKxPxN6thrust23THRUST_200600_302600_NS4plusIxEEEE10hipError_tPvRmT2_T3_mT4_P12ihipStream_tbEUlT_E_NS1_11comp_targetILNS1_3genE10ELNS1_11target_archE1201ELNS1_3gpuE5ELNS1_3repE0EEENS1_30default_config_static_selectorELNS0_4arch9wavefront6targetE0EEEvT1_
		.amdhsa_group_segment_fixed_size 0
		.amdhsa_private_segment_fixed_size 0
		.amdhsa_kernarg_size 56
		.amdhsa_user_sgpr_count 15
		.amdhsa_user_sgpr_dispatch_ptr 0
		.amdhsa_user_sgpr_queue_ptr 0
		.amdhsa_user_sgpr_kernarg_segment_ptr 1
		.amdhsa_user_sgpr_dispatch_id 0
		.amdhsa_user_sgpr_private_segment_size 0
		.amdhsa_wavefront_size32 1
		.amdhsa_uses_dynamic_stack 0
		.amdhsa_enable_private_segment 0
		.amdhsa_system_sgpr_workgroup_id_x 1
		.amdhsa_system_sgpr_workgroup_id_y 0
		.amdhsa_system_sgpr_workgroup_id_z 0
		.amdhsa_system_sgpr_workgroup_info 0
		.amdhsa_system_vgpr_workitem_id 0
		.amdhsa_next_free_vgpr 1
		.amdhsa_next_free_sgpr 1
		.amdhsa_reserve_vcc 0
		.amdhsa_float_round_mode_32 0
		.amdhsa_float_round_mode_16_64 0
		.amdhsa_float_denorm_mode_32 3
		.amdhsa_float_denorm_mode_16_64 3
		.amdhsa_dx10_clamp 1
		.amdhsa_ieee_mode 1
		.amdhsa_fp16_overflow 0
		.amdhsa_workgroup_processor_mode 1
		.amdhsa_memory_ordered 1
		.amdhsa_forward_progress 0
		.amdhsa_shared_vgpr_count 0
		.amdhsa_exception_fp_ieee_invalid_op 0
		.amdhsa_exception_fp_denorm_src 0
		.amdhsa_exception_fp_ieee_div_zero 0
		.amdhsa_exception_fp_ieee_overflow 0
		.amdhsa_exception_fp_ieee_underflow 0
		.amdhsa_exception_fp_ieee_inexact 0
		.amdhsa_exception_int_div_zero 0
	.end_amdhsa_kernel
	.section	.text._ZN7rocprim17ROCPRIM_400000_NS6detail17trampoline_kernelINS0_14default_configENS1_35adjacent_difference_config_selectorILb1ExEEZNS1_24adjacent_difference_implIS3_Lb1ELb0EPKxPxN6thrust23THRUST_200600_302600_NS4plusIxEEEE10hipError_tPvRmT2_T3_mT4_P12ihipStream_tbEUlT_E_NS1_11comp_targetILNS1_3genE10ELNS1_11target_archE1201ELNS1_3gpuE5ELNS1_3repE0EEENS1_30default_config_static_selectorELNS0_4arch9wavefront6targetE0EEEvT1_,"axG",@progbits,_ZN7rocprim17ROCPRIM_400000_NS6detail17trampoline_kernelINS0_14default_configENS1_35adjacent_difference_config_selectorILb1ExEEZNS1_24adjacent_difference_implIS3_Lb1ELb0EPKxPxN6thrust23THRUST_200600_302600_NS4plusIxEEEE10hipError_tPvRmT2_T3_mT4_P12ihipStream_tbEUlT_E_NS1_11comp_targetILNS1_3genE10ELNS1_11target_archE1201ELNS1_3gpuE5ELNS1_3repE0EEENS1_30default_config_static_selectorELNS0_4arch9wavefront6targetE0EEEvT1_,comdat
.Lfunc_end716:
	.size	_ZN7rocprim17ROCPRIM_400000_NS6detail17trampoline_kernelINS0_14default_configENS1_35adjacent_difference_config_selectorILb1ExEEZNS1_24adjacent_difference_implIS3_Lb1ELb0EPKxPxN6thrust23THRUST_200600_302600_NS4plusIxEEEE10hipError_tPvRmT2_T3_mT4_P12ihipStream_tbEUlT_E_NS1_11comp_targetILNS1_3genE10ELNS1_11target_archE1201ELNS1_3gpuE5ELNS1_3repE0EEENS1_30default_config_static_selectorELNS0_4arch9wavefront6targetE0EEEvT1_, .Lfunc_end716-_ZN7rocprim17ROCPRIM_400000_NS6detail17trampoline_kernelINS0_14default_configENS1_35adjacent_difference_config_selectorILb1ExEEZNS1_24adjacent_difference_implIS3_Lb1ELb0EPKxPxN6thrust23THRUST_200600_302600_NS4plusIxEEEE10hipError_tPvRmT2_T3_mT4_P12ihipStream_tbEUlT_E_NS1_11comp_targetILNS1_3genE10ELNS1_11target_archE1201ELNS1_3gpuE5ELNS1_3repE0EEENS1_30default_config_static_selectorELNS0_4arch9wavefront6targetE0EEEvT1_
                                        ; -- End function
	.section	.AMDGPU.csdata,"",@progbits
; Kernel info:
; codeLenInByte = 0
; NumSgprs: 0
; NumVgprs: 0
; ScratchSize: 0
; MemoryBound: 0
; FloatMode: 240
; IeeeMode: 1
; LDSByteSize: 0 bytes/workgroup (compile time only)
; SGPRBlocks: 0
; VGPRBlocks: 0
; NumSGPRsForWavesPerEU: 1
; NumVGPRsForWavesPerEU: 1
; Occupancy: 16
; WaveLimiterHint : 0
; COMPUTE_PGM_RSRC2:SCRATCH_EN: 0
; COMPUTE_PGM_RSRC2:USER_SGPR: 15
; COMPUTE_PGM_RSRC2:TRAP_HANDLER: 0
; COMPUTE_PGM_RSRC2:TGID_X_EN: 1
; COMPUTE_PGM_RSRC2:TGID_Y_EN: 0
; COMPUTE_PGM_RSRC2:TGID_Z_EN: 0
; COMPUTE_PGM_RSRC2:TIDIG_COMP_CNT: 0
	.section	.text._ZN7rocprim17ROCPRIM_400000_NS6detail17trampoline_kernelINS0_14default_configENS1_35adjacent_difference_config_selectorILb1ExEEZNS1_24adjacent_difference_implIS3_Lb1ELb0EPKxPxN6thrust23THRUST_200600_302600_NS4plusIxEEEE10hipError_tPvRmT2_T3_mT4_P12ihipStream_tbEUlT_E_NS1_11comp_targetILNS1_3genE5ELNS1_11target_archE942ELNS1_3gpuE9ELNS1_3repE0EEENS1_30default_config_static_selectorELNS0_4arch9wavefront6targetE0EEEvT1_,"axG",@progbits,_ZN7rocprim17ROCPRIM_400000_NS6detail17trampoline_kernelINS0_14default_configENS1_35adjacent_difference_config_selectorILb1ExEEZNS1_24adjacent_difference_implIS3_Lb1ELb0EPKxPxN6thrust23THRUST_200600_302600_NS4plusIxEEEE10hipError_tPvRmT2_T3_mT4_P12ihipStream_tbEUlT_E_NS1_11comp_targetILNS1_3genE5ELNS1_11target_archE942ELNS1_3gpuE9ELNS1_3repE0EEENS1_30default_config_static_selectorELNS0_4arch9wavefront6targetE0EEEvT1_,comdat
	.protected	_ZN7rocprim17ROCPRIM_400000_NS6detail17trampoline_kernelINS0_14default_configENS1_35adjacent_difference_config_selectorILb1ExEEZNS1_24adjacent_difference_implIS3_Lb1ELb0EPKxPxN6thrust23THRUST_200600_302600_NS4plusIxEEEE10hipError_tPvRmT2_T3_mT4_P12ihipStream_tbEUlT_E_NS1_11comp_targetILNS1_3genE5ELNS1_11target_archE942ELNS1_3gpuE9ELNS1_3repE0EEENS1_30default_config_static_selectorELNS0_4arch9wavefront6targetE0EEEvT1_ ; -- Begin function _ZN7rocprim17ROCPRIM_400000_NS6detail17trampoline_kernelINS0_14default_configENS1_35adjacent_difference_config_selectorILb1ExEEZNS1_24adjacent_difference_implIS3_Lb1ELb0EPKxPxN6thrust23THRUST_200600_302600_NS4plusIxEEEE10hipError_tPvRmT2_T3_mT4_P12ihipStream_tbEUlT_E_NS1_11comp_targetILNS1_3genE5ELNS1_11target_archE942ELNS1_3gpuE9ELNS1_3repE0EEENS1_30default_config_static_selectorELNS0_4arch9wavefront6targetE0EEEvT1_
	.globl	_ZN7rocprim17ROCPRIM_400000_NS6detail17trampoline_kernelINS0_14default_configENS1_35adjacent_difference_config_selectorILb1ExEEZNS1_24adjacent_difference_implIS3_Lb1ELb0EPKxPxN6thrust23THRUST_200600_302600_NS4plusIxEEEE10hipError_tPvRmT2_T3_mT4_P12ihipStream_tbEUlT_E_NS1_11comp_targetILNS1_3genE5ELNS1_11target_archE942ELNS1_3gpuE9ELNS1_3repE0EEENS1_30default_config_static_selectorELNS0_4arch9wavefront6targetE0EEEvT1_
	.p2align	8
	.type	_ZN7rocprim17ROCPRIM_400000_NS6detail17trampoline_kernelINS0_14default_configENS1_35adjacent_difference_config_selectorILb1ExEEZNS1_24adjacent_difference_implIS3_Lb1ELb0EPKxPxN6thrust23THRUST_200600_302600_NS4plusIxEEEE10hipError_tPvRmT2_T3_mT4_P12ihipStream_tbEUlT_E_NS1_11comp_targetILNS1_3genE5ELNS1_11target_archE942ELNS1_3gpuE9ELNS1_3repE0EEENS1_30default_config_static_selectorELNS0_4arch9wavefront6targetE0EEEvT1_,@function
_ZN7rocprim17ROCPRIM_400000_NS6detail17trampoline_kernelINS0_14default_configENS1_35adjacent_difference_config_selectorILb1ExEEZNS1_24adjacent_difference_implIS3_Lb1ELb0EPKxPxN6thrust23THRUST_200600_302600_NS4plusIxEEEE10hipError_tPvRmT2_T3_mT4_P12ihipStream_tbEUlT_E_NS1_11comp_targetILNS1_3genE5ELNS1_11target_archE942ELNS1_3gpuE9ELNS1_3repE0EEENS1_30default_config_static_selectorELNS0_4arch9wavefront6targetE0EEEvT1_: ; @_ZN7rocprim17ROCPRIM_400000_NS6detail17trampoline_kernelINS0_14default_configENS1_35adjacent_difference_config_selectorILb1ExEEZNS1_24adjacent_difference_implIS3_Lb1ELb0EPKxPxN6thrust23THRUST_200600_302600_NS4plusIxEEEE10hipError_tPvRmT2_T3_mT4_P12ihipStream_tbEUlT_E_NS1_11comp_targetILNS1_3genE5ELNS1_11target_archE942ELNS1_3gpuE9ELNS1_3repE0EEENS1_30default_config_static_selectorELNS0_4arch9wavefront6targetE0EEEvT1_
; %bb.0:
	.section	.rodata,"a",@progbits
	.p2align	6, 0x0
	.amdhsa_kernel _ZN7rocprim17ROCPRIM_400000_NS6detail17trampoline_kernelINS0_14default_configENS1_35adjacent_difference_config_selectorILb1ExEEZNS1_24adjacent_difference_implIS3_Lb1ELb0EPKxPxN6thrust23THRUST_200600_302600_NS4plusIxEEEE10hipError_tPvRmT2_T3_mT4_P12ihipStream_tbEUlT_E_NS1_11comp_targetILNS1_3genE5ELNS1_11target_archE942ELNS1_3gpuE9ELNS1_3repE0EEENS1_30default_config_static_selectorELNS0_4arch9wavefront6targetE0EEEvT1_
		.amdhsa_group_segment_fixed_size 0
		.amdhsa_private_segment_fixed_size 0
		.amdhsa_kernarg_size 56
		.amdhsa_user_sgpr_count 15
		.amdhsa_user_sgpr_dispatch_ptr 0
		.amdhsa_user_sgpr_queue_ptr 0
		.amdhsa_user_sgpr_kernarg_segment_ptr 1
		.amdhsa_user_sgpr_dispatch_id 0
		.amdhsa_user_sgpr_private_segment_size 0
		.amdhsa_wavefront_size32 1
		.amdhsa_uses_dynamic_stack 0
		.amdhsa_enable_private_segment 0
		.amdhsa_system_sgpr_workgroup_id_x 1
		.amdhsa_system_sgpr_workgroup_id_y 0
		.amdhsa_system_sgpr_workgroup_id_z 0
		.amdhsa_system_sgpr_workgroup_info 0
		.amdhsa_system_vgpr_workitem_id 0
		.amdhsa_next_free_vgpr 1
		.amdhsa_next_free_sgpr 1
		.amdhsa_reserve_vcc 0
		.amdhsa_float_round_mode_32 0
		.amdhsa_float_round_mode_16_64 0
		.amdhsa_float_denorm_mode_32 3
		.amdhsa_float_denorm_mode_16_64 3
		.amdhsa_dx10_clamp 1
		.amdhsa_ieee_mode 1
		.amdhsa_fp16_overflow 0
		.amdhsa_workgroup_processor_mode 1
		.amdhsa_memory_ordered 1
		.amdhsa_forward_progress 0
		.amdhsa_shared_vgpr_count 0
		.amdhsa_exception_fp_ieee_invalid_op 0
		.amdhsa_exception_fp_denorm_src 0
		.amdhsa_exception_fp_ieee_div_zero 0
		.amdhsa_exception_fp_ieee_overflow 0
		.amdhsa_exception_fp_ieee_underflow 0
		.amdhsa_exception_fp_ieee_inexact 0
		.amdhsa_exception_int_div_zero 0
	.end_amdhsa_kernel
	.section	.text._ZN7rocprim17ROCPRIM_400000_NS6detail17trampoline_kernelINS0_14default_configENS1_35adjacent_difference_config_selectorILb1ExEEZNS1_24adjacent_difference_implIS3_Lb1ELb0EPKxPxN6thrust23THRUST_200600_302600_NS4plusIxEEEE10hipError_tPvRmT2_T3_mT4_P12ihipStream_tbEUlT_E_NS1_11comp_targetILNS1_3genE5ELNS1_11target_archE942ELNS1_3gpuE9ELNS1_3repE0EEENS1_30default_config_static_selectorELNS0_4arch9wavefront6targetE0EEEvT1_,"axG",@progbits,_ZN7rocprim17ROCPRIM_400000_NS6detail17trampoline_kernelINS0_14default_configENS1_35adjacent_difference_config_selectorILb1ExEEZNS1_24adjacent_difference_implIS3_Lb1ELb0EPKxPxN6thrust23THRUST_200600_302600_NS4plusIxEEEE10hipError_tPvRmT2_T3_mT4_P12ihipStream_tbEUlT_E_NS1_11comp_targetILNS1_3genE5ELNS1_11target_archE942ELNS1_3gpuE9ELNS1_3repE0EEENS1_30default_config_static_selectorELNS0_4arch9wavefront6targetE0EEEvT1_,comdat
.Lfunc_end717:
	.size	_ZN7rocprim17ROCPRIM_400000_NS6detail17trampoline_kernelINS0_14default_configENS1_35adjacent_difference_config_selectorILb1ExEEZNS1_24adjacent_difference_implIS3_Lb1ELb0EPKxPxN6thrust23THRUST_200600_302600_NS4plusIxEEEE10hipError_tPvRmT2_T3_mT4_P12ihipStream_tbEUlT_E_NS1_11comp_targetILNS1_3genE5ELNS1_11target_archE942ELNS1_3gpuE9ELNS1_3repE0EEENS1_30default_config_static_selectorELNS0_4arch9wavefront6targetE0EEEvT1_, .Lfunc_end717-_ZN7rocprim17ROCPRIM_400000_NS6detail17trampoline_kernelINS0_14default_configENS1_35adjacent_difference_config_selectorILb1ExEEZNS1_24adjacent_difference_implIS3_Lb1ELb0EPKxPxN6thrust23THRUST_200600_302600_NS4plusIxEEEE10hipError_tPvRmT2_T3_mT4_P12ihipStream_tbEUlT_E_NS1_11comp_targetILNS1_3genE5ELNS1_11target_archE942ELNS1_3gpuE9ELNS1_3repE0EEENS1_30default_config_static_selectorELNS0_4arch9wavefront6targetE0EEEvT1_
                                        ; -- End function
	.section	.AMDGPU.csdata,"",@progbits
; Kernel info:
; codeLenInByte = 0
; NumSgprs: 0
; NumVgprs: 0
; ScratchSize: 0
; MemoryBound: 0
; FloatMode: 240
; IeeeMode: 1
; LDSByteSize: 0 bytes/workgroup (compile time only)
; SGPRBlocks: 0
; VGPRBlocks: 0
; NumSGPRsForWavesPerEU: 1
; NumVGPRsForWavesPerEU: 1
; Occupancy: 16
; WaveLimiterHint : 0
; COMPUTE_PGM_RSRC2:SCRATCH_EN: 0
; COMPUTE_PGM_RSRC2:USER_SGPR: 15
; COMPUTE_PGM_RSRC2:TRAP_HANDLER: 0
; COMPUTE_PGM_RSRC2:TGID_X_EN: 1
; COMPUTE_PGM_RSRC2:TGID_Y_EN: 0
; COMPUTE_PGM_RSRC2:TGID_Z_EN: 0
; COMPUTE_PGM_RSRC2:TIDIG_COMP_CNT: 0
	.section	.text._ZN7rocprim17ROCPRIM_400000_NS6detail17trampoline_kernelINS0_14default_configENS1_35adjacent_difference_config_selectorILb1ExEEZNS1_24adjacent_difference_implIS3_Lb1ELb0EPKxPxN6thrust23THRUST_200600_302600_NS4plusIxEEEE10hipError_tPvRmT2_T3_mT4_P12ihipStream_tbEUlT_E_NS1_11comp_targetILNS1_3genE4ELNS1_11target_archE910ELNS1_3gpuE8ELNS1_3repE0EEENS1_30default_config_static_selectorELNS0_4arch9wavefront6targetE0EEEvT1_,"axG",@progbits,_ZN7rocprim17ROCPRIM_400000_NS6detail17trampoline_kernelINS0_14default_configENS1_35adjacent_difference_config_selectorILb1ExEEZNS1_24adjacent_difference_implIS3_Lb1ELb0EPKxPxN6thrust23THRUST_200600_302600_NS4plusIxEEEE10hipError_tPvRmT2_T3_mT4_P12ihipStream_tbEUlT_E_NS1_11comp_targetILNS1_3genE4ELNS1_11target_archE910ELNS1_3gpuE8ELNS1_3repE0EEENS1_30default_config_static_selectorELNS0_4arch9wavefront6targetE0EEEvT1_,comdat
	.protected	_ZN7rocprim17ROCPRIM_400000_NS6detail17trampoline_kernelINS0_14default_configENS1_35adjacent_difference_config_selectorILb1ExEEZNS1_24adjacent_difference_implIS3_Lb1ELb0EPKxPxN6thrust23THRUST_200600_302600_NS4plusIxEEEE10hipError_tPvRmT2_T3_mT4_P12ihipStream_tbEUlT_E_NS1_11comp_targetILNS1_3genE4ELNS1_11target_archE910ELNS1_3gpuE8ELNS1_3repE0EEENS1_30default_config_static_selectorELNS0_4arch9wavefront6targetE0EEEvT1_ ; -- Begin function _ZN7rocprim17ROCPRIM_400000_NS6detail17trampoline_kernelINS0_14default_configENS1_35adjacent_difference_config_selectorILb1ExEEZNS1_24adjacent_difference_implIS3_Lb1ELb0EPKxPxN6thrust23THRUST_200600_302600_NS4plusIxEEEE10hipError_tPvRmT2_T3_mT4_P12ihipStream_tbEUlT_E_NS1_11comp_targetILNS1_3genE4ELNS1_11target_archE910ELNS1_3gpuE8ELNS1_3repE0EEENS1_30default_config_static_selectorELNS0_4arch9wavefront6targetE0EEEvT1_
	.globl	_ZN7rocprim17ROCPRIM_400000_NS6detail17trampoline_kernelINS0_14default_configENS1_35adjacent_difference_config_selectorILb1ExEEZNS1_24adjacent_difference_implIS3_Lb1ELb0EPKxPxN6thrust23THRUST_200600_302600_NS4plusIxEEEE10hipError_tPvRmT2_T3_mT4_P12ihipStream_tbEUlT_E_NS1_11comp_targetILNS1_3genE4ELNS1_11target_archE910ELNS1_3gpuE8ELNS1_3repE0EEENS1_30default_config_static_selectorELNS0_4arch9wavefront6targetE0EEEvT1_
	.p2align	8
	.type	_ZN7rocprim17ROCPRIM_400000_NS6detail17trampoline_kernelINS0_14default_configENS1_35adjacent_difference_config_selectorILb1ExEEZNS1_24adjacent_difference_implIS3_Lb1ELb0EPKxPxN6thrust23THRUST_200600_302600_NS4plusIxEEEE10hipError_tPvRmT2_T3_mT4_P12ihipStream_tbEUlT_E_NS1_11comp_targetILNS1_3genE4ELNS1_11target_archE910ELNS1_3gpuE8ELNS1_3repE0EEENS1_30default_config_static_selectorELNS0_4arch9wavefront6targetE0EEEvT1_,@function
_ZN7rocprim17ROCPRIM_400000_NS6detail17trampoline_kernelINS0_14default_configENS1_35adjacent_difference_config_selectorILb1ExEEZNS1_24adjacent_difference_implIS3_Lb1ELb0EPKxPxN6thrust23THRUST_200600_302600_NS4plusIxEEEE10hipError_tPvRmT2_T3_mT4_P12ihipStream_tbEUlT_E_NS1_11comp_targetILNS1_3genE4ELNS1_11target_archE910ELNS1_3gpuE8ELNS1_3repE0EEENS1_30default_config_static_selectorELNS0_4arch9wavefront6targetE0EEEvT1_: ; @_ZN7rocprim17ROCPRIM_400000_NS6detail17trampoline_kernelINS0_14default_configENS1_35adjacent_difference_config_selectorILb1ExEEZNS1_24adjacent_difference_implIS3_Lb1ELb0EPKxPxN6thrust23THRUST_200600_302600_NS4plusIxEEEE10hipError_tPvRmT2_T3_mT4_P12ihipStream_tbEUlT_E_NS1_11comp_targetILNS1_3genE4ELNS1_11target_archE910ELNS1_3gpuE8ELNS1_3repE0EEENS1_30default_config_static_selectorELNS0_4arch9wavefront6targetE0EEEvT1_
; %bb.0:
	.section	.rodata,"a",@progbits
	.p2align	6, 0x0
	.amdhsa_kernel _ZN7rocprim17ROCPRIM_400000_NS6detail17trampoline_kernelINS0_14default_configENS1_35adjacent_difference_config_selectorILb1ExEEZNS1_24adjacent_difference_implIS3_Lb1ELb0EPKxPxN6thrust23THRUST_200600_302600_NS4plusIxEEEE10hipError_tPvRmT2_T3_mT4_P12ihipStream_tbEUlT_E_NS1_11comp_targetILNS1_3genE4ELNS1_11target_archE910ELNS1_3gpuE8ELNS1_3repE0EEENS1_30default_config_static_selectorELNS0_4arch9wavefront6targetE0EEEvT1_
		.amdhsa_group_segment_fixed_size 0
		.amdhsa_private_segment_fixed_size 0
		.amdhsa_kernarg_size 56
		.amdhsa_user_sgpr_count 15
		.amdhsa_user_sgpr_dispatch_ptr 0
		.amdhsa_user_sgpr_queue_ptr 0
		.amdhsa_user_sgpr_kernarg_segment_ptr 1
		.amdhsa_user_sgpr_dispatch_id 0
		.amdhsa_user_sgpr_private_segment_size 0
		.amdhsa_wavefront_size32 1
		.amdhsa_uses_dynamic_stack 0
		.amdhsa_enable_private_segment 0
		.amdhsa_system_sgpr_workgroup_id_x 1
		.amdhsa_system_sgpr_workgroup_id_y 0
		.amdhsa_system_sgpr_workgroup_id_z 0
		.amdhsa_system_sgpr_workgroup_info 0
		.amdhsa_system_vgpr_workitem_id 0
		.amdhsa_next_free_vgpr 1
		.amdhsa_next_free_sgpr 1
		.amdhsa_reserve_vcc 0
		.amdhsa_float_round_mode_32 0
		.amdhsa_float_round_mode_16_64 0
		.amdhsa_float_denorm_mode_32 3
		.amdhsa_float_denorm_mode_16_64 3
		.amdhsa_dx10_clamp 1
		.amdhsa_ieee_mode 1
		.amdhsa_fp16_overflow 0
		.amdhsa_workgroup_processor_mode 1
		.amdhsa_memory_ordered 1
		.amdhsa_forward_progress 0
		.amdhsa_shared_vgpr_count 0
		.amdhsa_exception_fp_ieee_invalid_op 0
		.amdhsa_exception_fp_denorm_src 0
		.amdhsa_exception_fp_ieee_div_zero 0
		.amdhsa_exception_fp_ieee_overflow 0
		.amdhsa_exception_fp_ieee_underflow 0
		.amdhsa_exception_fp_ieee_inexact 0
		.amdhsa_exception_int_div_zero 0
	.end_amdhsa_kernel
	.section	.text._ZN7rocprim17ROCPRIM_400000_NS6detail17trampoline_kernelINS0_14default_configENS1_35adjacent_difference_config_selectorILb1ExEEZNS1_24adjacent_difference_implIS3_Lb1ELb0EPKxPxN6thrust23THRUST_200600_302600_NS4plusIxEEEE10hipError_tPvRmT2_T3_mT4_P12ihipStream_tbEUlT_E_NS1_11comp_targetILNS1_3genE4ELNS1_11target_archE910ELNS1_3gpuE8ELNS1_3repE0EEENS1_30default_config_static_selectorELNS0_4arch9wavefront6targetE0EEEvT1_,"axG",@progbits,_ZN7rocprim17ROCPRIM_400000_NS6detail17trampoline_kernelINS0_14default_configENS1_35adjacent_difference_config_selectorILb1ExEEZNS1_24adjacent_difference_implIS3_Lb1ELb0EPKxPxN6thrust23THRUST_200600_302600_NS4plusIxEEEE10hipError_tPvRmT2_T3_mT4_P12ihipStream_tbEUlT_E_NS1_11comp_targetILNS1_3genE4ELNS1_11target_archE910ELNS1_3gpuE8ELNS1_3repE0EEENS1_30default_config_static_selectorELNS0_4arch9wavefront6targetE0EEEvT1_,comdat
.Lfunc_end718:
	.size	_ZN7rocprim17ROCPRIM_400000_NS6detail17trampoline_kernelINS0_14default_configENS1_35adjacent_difference_config_selectorILb1ExEEZNS1_24adjacent_difference_implIS3_Lb1ELb0EPKxPxN6thrust23THRUST_200600_302600_NS4plusIxEEEE10hipError_tPvRmT2_T3_mT4_P12ihipStream_tbEUlT_E_NS1_11comp_targetILNS1_3genE4ELNS1_11target_archE910ELNS1_3gpuE8ELNS1_3repE0EEENS1_30default_config_static_selectorELNS0_4arch9wavefront6targetE0EEEvT1_, .Lfunc_end718-_ZN7rocprim17ROCPRIM_400000_NS6detail17trampoline_kernelINS0_14default_configENS1_35adjacent_difference_config_selectorILb1ExEEZNS1_24adjacent_difference_implIS3_Lb1ELb0EPKxPxN6thrust23THRUST_200600_302600_NS4plusIxEEEE10hipError_tPvRmT2_T3_mT4_P12ihipStream_tbEUlT_E_NS1_11comp_targetILNS1_3genE4ELNS1_11target_archE910ELNS1_3gpuE8ELNS1_3repE0EEENS1_30default_config_static_selectorELNS0_4arch9wavefront6targetE0EEEvT1_
                                        ; -- End function
	.section	.AMDGPU.csdata,"",@progbits
; Kernel info:
; codeLenInByte = 0
; NumSgprs: 0
; NumVgprs: 0
; ScratchSize: 0
; MemoryBound: 0
; FloatMode: 240
; IeeeMode: 1
; LDSByteSize: 0 bytes/workgroup (compile time only)
; SGPRBlocks: 0
; VGPRBlocks: 0
; NumSGPRsForWavesPerEU: 1
; NumVGPRsForWavesPerEU: 1
; Occupancy: 16
; WaveLimiterHint : 0
; COMPUTE_PGM_RSRC2:SCRATCH_EN: 0
; COMPUTE_PGM_RSRC2:USER_SGPR: 15
; COMPUTE_PGM_RSRC2:TRAP_HANDLER: 0
; COMPUTE_PGM_RSRC2:TGID_X_EN: 1
; COMPUTE_PGM_RSRC2:TGID_Y_EN: 0
; COMPUTE_PGM_RSRC2:TGID_Z_EN: 0
; COMPUTE_PGM_RSRC2:TIDIG_COMP_CNT: 0
	.section	.text._ZN7rocprim17ROCPRIM_400000_NS6detail17trampoline_kernelINS0_14default_configENS1_35adjacent_difference_config_selectorILb1ExEEZNS1_24adjacent_difference_implIS3_Lb1ELb0EPKxPxN6thrust23THRUST_200600_302600_NS4plusIxEEEE10hipError_tPvRmT2_T3_mT4_P12ihipStream_tbEUlT_E_NS1_11comp_targetILNS1_3genE3ELNS1_11target_archE908ELNS1_3gpuE7ELNS1_3repE0EEENS1_30default_config_static_selectorELNS0_4arch9wavefront6targetE0EEEvT1_,"axG",@progbits,_ZN7rocprim17ROCPRIM_400000_NS6detail17trampoline_kernelINS0_14default_configENS1_35adjacent_difference_config_selectorILb1ExEEZNS1_24adjacent_difference_implIS3_Lb1ELb0EPKxPxN6thrust23THRUST_200600_302600_NS4plusIxEEEE10hipError_tPvRmT2_T3_mT4_P12ihipStream_tbEUlT_E_NS1_11comp_targetILNS1_3genE3ELNS1_11target_archE908ELNS1_3gpuE7ELNS1_3repE0EEENS1_30default_config_static_selectorELNS0_4arch9wavefront6targetE0EEEvT1_,comdat
	.protected	_ZN7rocprim17ROCPRIM_400000_NS6detail17trampoline_kernelINS0_14default_configENS1_35adjacent_difference_config_selectorILb1ExEEZNS1_24adjacent_difference_implIS3_Lb1ELb0EPKxPxN6thrust23THRUST_200600_302600_NS4plusIxEEEE10hipError_tPvRmT2_T3_mT4_P12ihipStream_tbEUlT_E_NS1_11comp_targetILNS1_3genE3ELNS1_11target_archE908ELNS1_3gpuE7ELNS1_3repE0EEENS1_30default_config_static_selectorELNS0_4arch9wavefront6targetE0EEEvT1_ ; -- Begin function _ZN7rocprim17ROCPRIM_400000_NS6detail17trampoline_kernelINS0_14default_configENS1_35adjacent_difference_config_selectorILb1ExEEZNS1_24adjacent_difference_implIS3_Lb1ELb0EPKxPxN6thrust23THRUST_200600_302600_NS4plusIxEEEE10hipError_tPvRmT2_T3_mT4_P12ihipStream_tbEUlT_E_NS1_11comp_targetILNS1_3genE3ELNS1_11target_archE908ELNS1_3gpuE7ELNS1_3repE0EEENS1_30default_config_static_selectorELNS0_4arch9wavefront6targetE0EEEvT1_
	.globl	_ZN7rocprim17ROCPRIM_400000_NS6detail17trampoline_kernelINS0_14default_configENS1_35adjacent_difference_config_selectorILb1ExEEZNS1_24adjacent_difference_implIS3_Lb1ELb0EPKxPxN6thrust23THRUST_200600_302600_NS4plusIxEEEE10hipError_tPvRmT2_T3_mT4_P12ihipStream_tbEUlT_E_NS1_11comp_targetILNS1_3genE3ELNS1_11target_archE908ELNS1_3gpuE7ELNS1_3repE0EEENS1_30default_config_static_selectorELNS0_4arch9wavefront6targetE0EEEvT1_
	.p2align	8
	.type	_ZN7rocprim17ROCPRIM_400000_NS6detail17trampoline_kernelINS0_14default_configENS1_35adjacent_difference_config_selectorILb1ExEEZNS1_24adjacent_difference_implIS3_Lb1ELb0EPKxPxN6thrust23THRUST_200600_302600_NS4plusIxEEEE10hipError_tPvRmT2_T3_mT4_P12ihipStream_tbEUlT_E_NS1_11comp_targetILNS1_3genE3ELNS1_11target_archE908ELNS1_3gpuE7ELNS1_3repE0EEENS1_30default_config_static_selectorELNS0_4arch9wavefront6targetE0EEEvT1_,@function
_ZN7rocprim17ROCPRIM_400000_NS6detail17trampoline_kernelINS0_14default_configENS1_35adjacent_difference_config_selectorILb1ExEEZNS1_24adjacent_difference_implIS3_Lb1ELb0EPKxPxN6thrust23THRUST_200600_302600_NS4plusIxEEEE10hipError_tPvRmT2_T3_mT4_P12ihipStream_tbEUlT_E_NS1_11comp_targetILNS1_3genE3ELNS1_11target_archE908ELNS1_3gpuE7ELNS1_3repE0EEENS1_30default_config_static_selectorELNS0_4arch9wavefront6targetE0EEEvT1_: ; @_ZN7rocprim17ROCPRIM_400000_NS6detail17trampoline_kernelINS0_14default_configENS1_35adjacent_difference_config_selectorILb1ExEEZNS1_24adjacent_difference_implIS3_Lb1ELb0EPKxPxN6thrust23THRUST_200600_302600_NS4plusIxEEEE10hipError_tPvRmT2_T3_mT4_P12ihipStream_tbEUlT_E_NS1_11comp_targetILNS1_3genE3ELNS1_11target_archE908ELNS1_3gpuE7ELNS1_3repE0EEENS1_30default_config_static_selectorELNS0_4arch9wavefront6targetE0EEEvT1_
; %bb.0:
	.section	.rodata,"a",@progbits
	.p2align	6, 0x0
	.amdhsa_kernel _ZN7rocprim17ROCPRIM_400000_NS6detail17trampoline_kernelINS0_14default_configENS1_35adjacent_difference_config_selectorILb1ExEEZNS1_24adjacent_difference_implIS3_Lb1ELb0EPKxPxN6thrust23THRUST_200600_302600_NS4plusIxEEEE10hipError_tPvRmT2_T3_mT4_P12ihipStream_tbEUlT_E_NS1_11comp_targetILNS1_3genE3ELNS1_11target_archE908ELNS1_3gpuE7ELNS1_3repE0EEENS1_30default_config_static_selectorELNS0_4arch9wavefront6targetE0EEEvT1_
		.amdhsa_group_segment_fixed_size 0
		.amdhsa_private_segment_fixed_size 0
		.amdhsa_kernarg_size 56
		.amdhsa_user_sgpr_count 15
		.amdhsa_user_sgpr_dispatch_ptr 0
		.amdhsa_user_sgpr_queue_ptr 0
		.amdhsa_user_sgpr_kernarg_segment_ptr 1
		.amdhsa_user_sgpr_dispatch_id 0
		.amdhsa_user_sgpr_private_segment_size 0
		.amdhsa_wavefront_size32 1
		.amdhsa_uses_dynamic_stack 0
		.amdhsa_enable_private_segment 0
		.amdhsa_system_sgpr_workgroup_id_x 1
		.amdhsa_system_sgpr_workgroup_id_y 0
		.amdhsa_system_sgpr_workgroup_id_z 0
		.amdhsa_system_sgpr_workgroup_info 0
		.amdhsa_system_vgpr_workitem_id 0
		.amdhsa_next_free_vgpr 1
		.amdhsa_next_free_sgpr 1
		.amdhsa_reserve_vcc 0
		.amdhsa_float_round_mode_32 0
		.amdhsa_float_round_mode_16_64 0
		.amdhsa_float_denorm_mode_32 3
		.amdhsa_float_denorm_mode_16_64 3
		.amdhsa_dx10_clamp 1
		.amdhsa_ieee_mode 1
		.amdhsa_fp16_overflow 0
		.amdhsa_workgroup_processor_mode 1
		.amdhsa_memory_ordered 1
		.amdhsa_forward_progress 0
		.amdhsa_shared_vgpr_count 0
		.amdhsa_exception_fp_ieee_invalid_op 0
		.amdhsa_exception_fp_denorm_src 0
		.amdhsa_exception_fp_ieee_div_zero 0
		.amdhsa_exception_fp_ieee_overflow 0
		.amdhsa_exception_fp_ieee_underflow 0
		.amdhsa_exception_fp_ieee_inexact 0
		.amdhsa_exception_int_div_zero 0
	.end_amdhsa_kernel
	.section	.text._ZN7rocprim17ROCPRIM_400000_NS6detail17trampoline_kernelINS0_14default_configENS1_35adjacent_difference_config_selectorILb1ExEEZNS1_24adjacent_difference_implIS3_Lb1ELb0EPKxPxN6thrust23THRUST_200600_302600_NS4plusIxEEEE10hipError_tPvRmT2_T3_mT4_P12ihipStream_tbEUlT_E_NS1_11comp_targetILNS1_3genE3ELNS1_11target_archE908ELNS1_3gpuE7ELNS1_3repE0EEENS1_30default_config_static_selectorELNS0_4arch9wavefront6targetE0EEEvT1_,"axG",@progbits,_ZN7rocprim17ROCPRIM_400000_NS6detail17trampoline_kernelINS0_14default_configENS1_35adjacent_difference_config_selectorILb1ExEEZNS1_24adjacent_difference_implIS3_Lb1ELb0EPKxPxN6thrust23THRUST_200600_302600_NS4plusIxEEEE10hipError_tPvRmT2_T3_mT4_P12ihipStream_tbEUlT_E_NS1_11comp_targetILNS1_3genE3ELNS1_11target_archE908ELNS1_3gpuE7ELNS1_3repE0EEENS1_30default_config_static_selectorELNS0_4arch9wavefront6targetE0EEEvT1_,comdat
.Lfunc_end719:
	.size	_ZN7rocprim17ROCPRIM_400000_NS6detail17trampoline_kernelINS0_14default_configENS1_35adjacent_difference_config_selectorILb1ExEEZNS1_24adjacent_difference_implIS3_Lb1ELb0EPKxPxN6thrust23THRUST_200600_302600_NS4plusIxEEEE10hipError_tPvRmT2_T3_mT4_P12ihipStream_tbEUlT_E_NS1_11comp_targetILNS1_3genE3ELNS1_11target_archE908ELNS1_3gpuE7ELNS1_3repE0EEENS1_30default_config_static_selectorELNS0_4arch9wavefront6targetE0EEEvT1_, .Lfunc_end719-_ZN7rocprim17ROCPRIM_400000_NS6detail17trampoline_kernelINS0_14default_configENS1_35adjacent_difference_config_selectorILb1ExEEZNS1_24adjacent_difference_implIS3_Lb1ELb0EPKxPxN6thrust23THRUST_200600_302600_NS4plusIxEEEE10hipError_tPvRmT2_T3_mT4_P12ihipStream_tbEUlT_E_NS1_11comp_targetILNS1_3genE3ELNS1_11target_archE908ELNS1_3gpuE7ELNS1_3repE0EEENS1_30default_config_static_selectorELNS0_4arch9wavefront6targetE0EEEvT1_
                                        ; -- End function
	.section	.AMDGPU.csdata,"",@progbits
; Kernel info:
; codeLenInByte = 0
; NumSgprs: 0
; NumVgprs: 0
; ScratchSize: 0
; MemoryBound: 0
; FloatMode: 240
; IeeeMode: 1
; LDSByteSize: 0 bytes/workgroup (compile time only)
; SGPRBlocks: 0
; VGPRBlocks: 0
; NumSGPRsForWavesPerEU: 1
; NumVGPRsForWavesPerEU: 1
; Occupancy: 16
; WaveLimiterHint : 0
; COMPUTE_PGM_RSRC2:SCRATCH_EN: 0
; COMPUTE_PGM_RSRC2:USER_SGPR: 15
; COMPUTE_PGM_RSRC2:TRAP_HANDLER: 0
; COMPUTE_PGM_RSRC2:TGID_X_EN: 1
; COMPUTE_PGM_RSRC2:TGID_Y_EN: 0
; COMPUTE_PGM_RSRC2:TGID_Z_EN: 0
; COMPUTE_PGM_RSRC2:TIDIG_COMP_CNT: 0
	.section	.text._ZN7rocprim17ROCPRIM_400000_NS6detail17trampoline_kernelINS0_14default_configENS1_35adjacent_difference_config_selectorILb1ExEEZNS1_24adjacent_difference_implIS3_Lb1ELb0EPKxPxN6thrust23THRUST_200600_302600_NS4plusIxEEEE10hipError_tPvRmT2_T3_mT4_P12ihipStream_tbEUlT_E_NS1_11comp_targetILNS1_3genE2ELNS1_11target_archE906ELNS1_3gpuE6ELNS1_3repE0EEENS1_30default_config_static_selectorELNS0_4arch9wavefront6targetE0EEEvT1_,"axG",@progbits,_ZN7rocprim17ROCPRIM_400000_NS6detail17trampoline_kernelINS0_14default_configENS1_35adjacent_difference_config_selectorILb1ExEEZNS1_24adjacent_difference_implIS3_Lb1ELb0EPKxPxN6thrust23THRUST_200600_302600_NS4plusIxEEEE10hipError_tPvRmT2_T3_mT4_P12ihipStream_tbEUlT_E_NS1_11comp_targetILNS1_3genE2ELNS1_11target_archE906ELNS1_3gpuE6ELNS1_3repE0EEENS1_30default_config_static_selectorELNS0_4arch9wavefront6targetE0EEEvT1_,comdat
	.protected	_ZN7rocprim17ROCPRIM_400000_NS6detail17trampoline_kernelINS0_14default_configENS1_35adjacent_difference_config_selectorILb1ExEEZNS1_24adjacent_difference_implIS3_Lb1ELb0EPKxPxN6thrust23THRUST_200600_302600_NS4plusIxEEEE10hipError_tPvRmT2_T3_mT4_P12ihipStream_tbEUlT_E_NS1_11comp_targetILNS1_3genE2ELNS1_11target_archE906ELNS1_3gpuE6ELNS1_3repE0EEENS1_30default_config_static_selectorELNS0_4arch9wavefront6targetE0EEEvT1_ ; -- Begin function _ZN7rocprim17ROCPRIM_400000_NS6detail17trampoline_kernelINS0_14default_configENS1_35adjacent_difference_config_selectorILb1ExEEZNS1_24adjacent_difference_implIS3_Lb1ELb0EPKxPxN6thrust23THRUST_200600_302600_NS4plusIxEEEE10hipError_tPvRmT2_T3_mT4_P12ihipStream_tbEUlT_E_NS1_11comp_targetILNS1_3genE2ELNS1_11target_archE906ELNS1_3gpuE6ELNS1_3repE0EEENS1_30default_config_static_selectorELNS0_4arch9wavefront6targetE0EEEvT1_
	.globl	_ZN7rocprim17ROCPRIM_400000_NS6detail17trampoline_kernelINS0_14default_configENS1_35adjacent_difference_config_selectorILb1ExEEZNS1_24adjacent_difference_implIS3_Lb1ELb0EPKxPxN6thrust23THRUST_200600_302600_NS4plusIxEEEE10hipError_tPvRmT2_T3_mT4_P12ihipStream_tbEUlT_E_NS1_11comp_targetILNS1_3genE2ELNS1_11target_archE906ELNS1_3gpuE6ELNS1_3repE0EEENS1_30default_config_static_selectorELNS0_4arch9wavefront6targetE0EEEvT1_
	.p2align	8
	.type	_ZN7rocprim17ROCPRIM_400000_NS6detail17trampoline_kernelINS0_14default_configENS1_35adjacent_difference_config_selectorILb1ExEEZNS1_24adjacent_difference_implIS3_Lb1ELb0EPKxPxN6thrust23THRUST_200600_302600_NS4plusIxEEEE10hipError_tPvRmT2_T3_mT4_P12ihipStream_tbEUlT_E_NS1_11comp_targetILNS1_3genE2ELNS1_11target_archE906ELNS1_3gpuE6ELNS1_3repE0EEENS1_30default_config_static_selectorELNS0_4arch9wavefront6targetE0EEEvT1_,@function
_ZN7rocprim17ROCPRIM_400000_NS6detail17trampoline_kernelINS0_14default_configENS1_35adjacent_difference_config_selectorILb1ExEEZNS1_24adjacent_difference_implIS3_Lb1ELb0EPKxPxN6thrust23THRUST_200600_302600_NS4plusIxEEEE10hipError_tPvRmT2_T3_mT4_P12ihipStream_tbEUlT_E_NS1_11comp_targetILNS1_3genE2ELNS1_11target_archE906ELNS1_3gpuE6ELNS1_3repE0EEENS1_30default_config_static_selectorELNS0_4arch9wavefront6targetE0EEEvT1_: ; @_ZN7rocprim17ROCPRIM_400000_NS6detail17trampoline_kernelINS0_14default_configENS1_35adjacent_difference_config_selectorILb1ExEEZNS1_24adjacent_difference_implIS3_Lb1ELb0EPKxPxN6thrust23THRUST_200600_302600_NS4plusIxEEEE10hipError_tPvRmT2_T3_mT4_P12ihipStream_tbEUlT_E_NS1_11comp_targetILNS1_3genE2ELNS1_11target_archE906ELNS1_3gpuE6ELNS1_3repE0EEENS1_30default_config_static_selectorELNS0_4arch9wavefront6targetE0EEEvT1_
; %bb.0:
	.section	.rodata,"a",@progbits
	.p2align	6, 0x0
	.amdhsa_kernel _ZN7rocprim17ROCPRIM_400000_NS6detail17trampoline_kernelINS0_14default_configENS1_35adjacent_difference_config_selectorILb1ExEEZNS1_24adjacent_difference_implIS3_Lb1ELb0EPKxPxN6thrust23THRUST_200600_302600_NS4plusIxEEEE10hipError_tPvRmT2_T3_mT4_P12ihipStream_tbEUlT_E_NS1_11comp_targetILNS1_3genE2ELNS1_11target_archE906ELNS1_3gpuE6ELNS1_3repE0EEENS1_30default_config_static_selectorELNS0_4arch9wavefront6targetE0EEEvT1_
		.amdhsa_group_segment_fixed_size 0
		.amdhsa_private_segment_fixed_size 0
		.amdhsa_kernarg_size 56
		.amdhsa_user_sgpr_count 15
		.amdhsa_user_sgpr_dispatch_ptr 0
		.amdhsa_user_sgpr_queue_ptr 0
		.amdhsa_user_sgpr_kernarg_segment_ptr 1
		.amdhsa_user_sgpr_dispatch_id 0
		.amdhsa_user_sgpr_private_segment_size 0
		.amdhsa_wavefront_size32 1
		.amdhsa_uses_dynamic_stack 0
		.amdhsa_enable_private_segment 0
		.amdhsa_system_sgpr_workgroup_id_x 1
		.amdhsa_system_sgpr_workgroup_id_y 0
		.amdhsa_system_sgpr_workgroup_id_z 0
		.amdhsa_system_sgpr_workgroup_info 0
		.amdhsa_system_vgpr_workitem_id 0
		.amdhsa_next_free_vgpr 1
		.amdhsa_next_free_sgpr 1
		.amdhsa_reserve_vcc 0
		.amdhsa_float_round_mode_32 0
		.amdhsa_float_round_mode_16_64 0
		.amdhsa_float_denorm_mode_32 3
		.amdhsa_float_denorm_mode_16_64 3
		.amdhsa_dx10_clamp 1
		.amdhsa_ieee_mode 1
		.amdhsa_fp16_overflow 0
		.amdhsa_workgroup_processor_mode 1
		.amdhsa_memory_ordered 1
		.amdhsa_forward_progress 0
		.amdhsa_shared_vgpr_count 0
		.amdhsa_exception_fp_ieee_invalid_op 0
		.amdhsa_exception_fp_denorm_src 0
		.amdhsa_exception_fp_ieee_div_zero 0
		.amdhsa_exception_fp_ieee_overflow 0
		.amdhsa_exception_fp_ieee_underflow 0
		.amdhsa_exception_fp_ieee_inexact 0
		.amdhsa_exception_int_div_zero 0
	.end_amdhsa_kernel
	.section	.text._ZN7rocprim17ROCPRIM_400000_NS6detail17trampoline_kernelINS0_14default_configENS1_35adjacent_difference_config_selectorILb1ExEEZNS1_24adjacent_difference_implIS3_Lb1ELb0EPKxPxN6thrust23THRUST_200600_302600_NS4plusIxEEEE10hipError_tPvRmT2_T3_mT4_P12ihipStream_tbEUlT_E_NS1_11comp_targetILNS1_3genE2ELNS1_11target_archE906ELNS1_3gpuE6ELNS1_3repE0EEENS1_30default_config_static_selectorELNS0_4arch9wavefront6targetE0EEEvT1_,"axG",@progbits,_ZN7rocprim17ROCPRIM_400000_NS6detail17trampoline_kernelINS0_14default_configENS1_35adjacent_difference_config_selectorILb1ExEEZNS1_24adjacent_difference_implIS3_Lb1ELb0EPKxPxN6thrust23THRUST_200600_302600_NS4plusIxEEEE10hipError_tPvRmT2_T3_mT4_P12ihipStream_tbEUlT_E_NS1_11comp_targetILNS1_3genE2ELNS1_11target_archE906ELNS1_3gpuE6ELNS1_3repE0EEENS1_30default_config_static_selectorELNS0_4arch9wavefront6targetE0EEEvT1_,comdat
.Lfunc_end720:
	.size	_ZN7rocprim17ROCPRIM_400000_NS6detail17trampoline_kernelINS0_14default_configENS1_35adjacent_difference_config_selectorILb1ExEEZNS1_24adjacent_difference_implIS3_Lb1ELb0EPKxPxN6thrust23THRUST_200600_302600_NS4plusIxEEEE10hipError_tPvRmT2_T3_mT4_P12ihipStream_tbEUlT_E_NS1_11comp_targetILNS1_3genE2ELNS1_11target_archE906ELNS1_3gpuE6ELNS1_3repE0EEENS1_30default_config_static_selectorELNS0_4arch9wavefront6targetE0EEEvT1_, .Lfunc_end720-_ZN7rocprim17ROCPRIM_400000_NS6detail17trampoline_kernelINS0_14default_configENS1_35adjacent_difference_config_selectorILb1ExEEZNS1_24adjacent_difference_implIS3_Lb1ELb0EPKxPxN6thrust23THRUST_200600_302600_NS4plusIxEEEE10hipError_tPvRmT2_T3_mT4_P12ihipStream_tbEUlT_E_NS1_11comp_targetILNS1_3genE2ELNS1_11target_archE906ELNS1_3gpuE6ELNS1_3repE0EEENS1_30default_config_static_selectorELNS0_4arch9wavefront6targetE0EEEvT1_
                                        ; -- End function
	.section	.AMDGPU.csdata,"",@progbits
; Kernel info:
; codeLenInByte = 0
; NumSgprs: 0
; NumVgprs: 0
; ScratchSize: 0
; MemoryBound: 0
; FloatMode: 240
; IeeeMode: 1
; LDSByteSize: 0 bytes/workgroup (compile time only)
; SGPRBlocks: 0
; VGPRBlocks: 0
; NumSGPRsForWavesPerEU: 1
; NumVGPRsForWavesPerEU: 1
; Occupancy: 16
; WaveLimiterHint : 0
; COMPUTE_PGM_RSRC2:SCRATCH_EN: 0
; COMPUTE_PGM_RSRC2:USER_SGPR: 15
; COMPUTE_PGM_RSRC2:TRAP_HANDLER: 0
; COMPUTE_PGM_RSRC2:TGID_X_EN: 1
; COMPUTE_PGM_RSRC2:TGID_Y_EN: 0
; COMPUTE_PGM_RSRC2:TGID_Z_EN: 0
; COMPUTE_PGM_RSRC2:TIDIG_COMP_CNT: 0
	.section	.text._ZN7rocprim17ROCPRIM_400000_NS6detail17trampoline_kernelINS0_14default_configENS1_35adjacent_difference_config_selectorILb1ExEEZNS1_24adjacent_difference_implIS3_Lb1ELb0EPKxPxN6thrust23THRUST_200600_302600_NS4plusIxEEEE10hipError_tPvRmT2_T3_mT4_P12ihipStream_tbEUlT_E_NS1_11comp_targetILNS1_3genE9ELNS1_11target_archE1100ELNS1_3gpuE3ELNS1_3repE0EEENS1_30default_config_static_selectorELNS0_4arch9wavefront6targetE0EEEvT1_,"axG",@progbits,_ZN7rocprim17ROCPRIM_400000_NS6detail17trampoline_kernelINS0_14default_configENS1_35adjacent_difference_config_selectorILb1ExEEZNS1_24adjacent_difference_implIS3_Lb1ELb0EPKxPxN6thrust23THRUST_200600_302600_NS4plusIxEEEE10hipError_tPvRmT2_T3_mT4_P12ihipStream_tbEUlT_E_NS1_11comp_targetILNS1_3genE9ELNS1_11target_archE1100ELNS1_3gpuE3ELNS1_3repE0EEENS1_30default_config_static_selectorELNS0_4arch9wavefront6targetE0EEEvT1_,comdat
	.protected	_ZN7rocprim17ROCPRIM_400000_NS6detail17trampoline_kernelINS0_14default_configENS1_35adjacent_difference_config_selectorILb1ExEEZNS1_24adjacent_difference_implIS3_Lb1ELb0EPKxPxN6thrust23THRUST_200600_302600_NS4plusIxEEEE10hipError_tPvRmT2_T3_mT4_P12ihipStream_tbEUlT_E_NS1_11comp_targetILNS1_3genE9ELNS1_11target_archE1100ELNS1_3gpuE3ELNS1_3repE0EEENS1_30default_config_static_selectorELNS0_4arch9wavefront6targetE0EEEvT1_ ; -- Begin function _ZN7rocprim17ROCPRIM_400000_NS6detail17trampoline_kernelINS0_14default_configENS1_35adjacent_difference_config_selectorILb1ExEEZNS1_24adjacent_difference_implIS3_Lb1ELb0EPKxPxN6thrust23THRUST_200600_302600_NS4plusIxEEEE10hipError_tPvRmT2_T3_mT4_P12ihipStream_tbEUlT_E_NS1_11comp_targetILNS1_3genE9ELNS1_11target_archE1100ELNS1_3gpuE3ELNS1_3repE0EEENS1_30default_config_static_selectorELNS0_4arch9wavefront6targetE0EEEvT1_
	.globl	_ZN7rocprim17ROCPRIM_400000_NS6detail17trampoline_kernelINS0_14default_configENS1_35adjacent_difference_config_selectorILb1ExEEZNS1_24adjacent_difference_implIS3_Lb1ELb0EPKxPxN6thrust23THRUST_200600_302600_NS4plusIxEEEE10hipError_tPvRmT2_T3_mT4_P12ihipStream_tbEUlT_E_NS1_11comp_targetILNS1_3genE9ELNS1_11target_archE1100ELNS1_3gpuE3ELNS1_3repE0EEENS1_30default_config_static_selectorELNS0_4arch9wavefront6targetE0EEEvT1_
	.p2align	8
	.type	_ZN7rocprim17ROCPRIM_400000_NS6detail17trampoline_kernelINS0_14default_configENS1_35adjacent_difference_config_selectorILb1ExEEZNS1_24adjacent_difference_implIS3_Lb1ELb0EPKxPxN6thrust23THRUST_200600_302600_NS4plusIxEEEE10hipError_tPvRmT2_T3_mT4_P12ihipStream_tbEUlT_E_NS1_11comp_targetILNS1_3genE9ELNS1_11target_archE1100ELNS1_3gpuE3ELNS1_3repE0EEENS1_30default_config_static_selectorELNS0_4arch9wavefront6targetE0EEEvT1_,@function
_ZN7rocprim17ROCPRIM_400000_NS6detail17trampoline_kernelINS0_14default_configENS1_35adjacent_difference_config_selectorILb1ExEEZNS1_24adjacent_difference_implIS3_Lb1ELb0EPKxPxN6thrust23THRUST_200600_302600_NS4plusIxEEEE10hipError_tPvRmT2_T3_mT4_P12ihipStream_tbEUlT_E_NS1_11comp_targetILNS1_3genE9ELNS1_11target_archE1100ELNS1_3gpuE3ELNS1_3repE0EEENS1_30default_config_static_selectorELNS0_4arch9wavefront6targetE0EEEvT1_: ; @_ZN7rocprim17ROCPRIM_400000_NS6detail17trampoline_kernelINS0_14default_configENS1_35adjacent_difference_config_selectorILb1ExEEZNS1_24adjacent_difference_implIS3_Lb1ELb0EPKxPxN6thrust23THRUST_200600_302600_NS4plusIxEEEE10hipError_tPvRmT2_T3_mT4_P12ihipStream_tbEUlT_E_NS1_11comp_targetILNS1_3genE9ELNS1_11target_archE1100ELNS1_3gpuE3ELNS1_3repE0EEENS1_30default_config_static_selectorELNS0_4arch9wavefront6targetE0EEEvT1_
; %bb.0:
	s_load_b256 s[4:11], s[0:1], 0x0
	s_mov_b32 s2, 0x411a7a30
	s_mov_b32 s16, s15
	s_waitcnt lgkmcnt(0)
	s_lshl_b64 s[6:7], s[6:7], 3
	s_delay_alu instid0(SALU_CYCLE_1) | instskip(SKIP_4) | instid1(VALU_DEP_1)
	s_add_u32 s23, s4, s6
	s_addc_u32 s24, s5, s7
	s_add_u32 s2, 0x76, s2
	s_addc_u32 s3, 0, 0
	v_add_co_u32 v1, s2, 0x20000000, s2
	s_cmp_lg_u32 s2, 0
	s_addc_u32 s3, s3, 0x11a7b9
	s_delay_alu instid0(VALU_DEP_1) | instskip(SKIP_1) | instid1(VALU_DEP_1)
	v_readfirstlane_b32 s2, v1
	s_mul_i32 s4, s3, 0xfffff180
	s_mul_hi_u32 s5, s2, 0xfffff180
	s_mul_i32 s12, s2, 0xfffff180
	s_sub_i32 s5, s5, s2
	s_mul_hi_u32 s13, s2, s12
	s_add_i32 s5, s5, s4
	s_mul_hi_u32 s14, s3, s12
	s_mul_i32 s4, s3, s12
	s_mul_hi_u32 s12, s2, s5
	s_mul_i32 s2, s2, s5
	s_mul_hi_u32 s15, s3, s5
	s_add_u32 s2, s13, s2
	s_addc_u32 s12, 0, s12
	s_add_u32 s2, s2, s4
	s_mul_i32 s5, s3, s5
	s_addc_u32 s2, s12, s14
	s_addc_u32 s4, s15, 0
	s_add_u32 s2, s2, s5
	s_addc_u32 s4, 0, s4
	v_add_co_u32 v1, s2, v1, s2
	s_delay_alu instid0(VALU_DEP_1) | instskip(SKIP_1) | instid1(VALU_DEP_1)
	s_cmp_lg_u32 s2, 0
	s_addc_u32 s2, s3, s4
	v_readfirstlane_b32 s3, v1
	s_mul_i32 s5, s10, s2
	s_mul_hi_u32 s4, s10, s2
	s_mul_hi_u32 s12, s11, s2
	s_mul_i32 s2, s11, s2
	s_mul_hi_u32 s13, s10, s3
	s_mul_hi_u32 s14, s11, s3
	s_mul_i32 s3, s11, s3
	s_add_u32 s5, s13, s5
	s_addc_u32 s4, 0, s4
	s_add_u32 s3, s5, s3
	s_addc_u32 s3, s4, s14
	s_addc_u32 s4, s12, 0
	s_add_u32 s5, s3, s2
	s_addc_u32 s4, 0, s4
	s_mul_i32 s3, s5, 0xe80
	s_add_u32 s2, s5, 1
	v_sub_co_u32 v1, s3, s10, s3
	s_mul_hi_u32 s12, s5, 0xe80
	s_addc_u32 s13, s4, 0
	s_mul_i32 s14, s4, 0xe80
	s_delay_alu instid0(VALU_DEP_1)
	v_subrev_co_u32 v2, s15, 0xe80, v1
	s_add_u32 s17, s5, 2
	s_addc_u32 s18, s4, 0
	s_add_i32 s12, s12, s14
	s_cmp_lg_u32 s3, 0
	v_readfirstlane_b32 s3, v2
	s_subb_u32 s12, s11, s12
	s_cmp_lg_u32 s15, 0
	s_subb_u32 s14, s12, 0
	s_delay_alu instid0(VALU_DEP_1) | instskip(SKIP_4) | instid1(SALU_CYCLE_1)
	s_cmpk_gt_u32 s3, 0xe7f
	s_cselect_b32 s3, -1, 0
	s_cmp_eq_u32 s14, 0
	v_readfirstlane_b32 s14, v1
	s_cselect_b32 s3, s3, -1
	s_cmp_lg_u32 s3, 0
	s_cselect_b32 s15, s17, s2
	s_cselect_b32 s13, s18, s13
	s_cmpk_gt_u32 s14, 0xe7f
	s_mov_b32 s17, 0
	s_cselect_b32 s2, -1, 0
	s_cmp_eq_u32 s12, 0
	s_cselect_b32 s2, s2, -1
	s_delay_alu instid0(SALU_CYCLE_1)
	s_cmp_lg_u32 s2, 0
	s_load_b128 s[0:3], s[0:1], 0x28
	s_cselect_b32 s13, s13, s4
	s_cselect_b32 s12, s15, s5
	s_mul_i32 s4, s13, 0xe80
	s_mul_hi_u32 s5, s12, 0xe80
	s_mul_i32 s14, s12, 0xe80
	s_add_i32 s5, s5, s4
	s_sub_u32 s4, s10, s14
	s_subb_u32 s5, s11, s5
	s_delay_alu instid0(SALU_CYCLE_1) | instskip(SKIP_2) | instid1(SALU_CYCLE_1)
	s_cmp_lg_u64 s[4:5], 0
	s_mov_b32 s5, -1
	s_cselect_b32 s4, -1, 0
	v_cndmask_b32_e64 v1, 0, 1, s4
	s_delay_alu instid0(VALU_DEP_1) | instskip(NEXT) | instid1(VALU_DEP_1)
	v_readfirstlane_b32 s4, v1
	s_add_u32 s12, s12, s4
	s_addc_u32 s13, s13, 0
	s_waitcnt lgkmcnt(0)
	s_add_u32 s14, s2, s16
	s_addc_u32 s15, s3, 0
	s_add_u32 s18, s12, -1
	s_addc_u32 s19, s13, -1
	s_mul_i32 s4, s16, 0xe80
	v_cmp_ge_u64_e64 s22, s[14:15], s[18:19]
	s_mul_i32 s11, s18, 0xfffff180
	s_delay_alu instid0(VALU_DEP_1)
	s_and_b32 vcc_lo, exec_lo, s22
	s_cbranch_vccz .LBB721_60
; %bb.1:
	s_mov_b32 s5, s17
	s_add_i32 s25, s11, s10
	s_lshl_b64 s[20:21], s[4:5], 3
	s_mov_b32 s5, exec_lo
	s_add_u32 s20, s23, s20
	s_addc_u32 s21, s24, s21
                                        ; implicit-def: $vgpr1_vgpr2
	v_cmpx_gt_u32_e64 s25, v0
	s_cbranch_execz .LBB721_3
; %bb.2:
	v_lshlrev_b32_e32 v1, 3, v0
	global_load_b64 v[1:2], v1, s[20:21]
.LBB721_3:
	s_or_b32 exec_lo, exec_lo, s5
	v_or_b32_e32 v3, 0x80, v0
	s_delay_alu instid0(VALU_DEP_1)
	v_cmp_gt_u32_e32 vcc_lo, s25, v3
                                        ; implicit-def: $vgpr3_vgpr4
	s_and_saveexec_b32 s5, vcc_lo
	s_cbranch_execz .LBB721_5
; %bb.4:
	v_lshlrev_b32_e32 v3, 3, v0
	global_load_b64 v[3:4], v3, s[20:21] offset:1024
.LBB721_5:
	s_or_b32 exec_lo, exec_lo, s5
	v_or_b32_e32 v5, 0x100, v0
	s_delay_alu instid0(VALU_DEP_1)
	v_cmp_gt_u32_e32 vcc_lo, s25, v5
                                        ; implicit-def: $vgpr5_vgpr6
	s_and_saveexec_b32 s5, vcc_lo
	s_cbranch_execz .LBB721_7
; %bb.6:
	v_lshlrev_b32_e32 v5, 3, v0
	global_load_b64 v[5:6], v5, s[20:21] offset:2048
.LBB721_7:
	s_or_b32 exec_lo, exec_lo, s5
	v_or_b32_e32 v7, 0x180, v0
	s_delay_alu instid0(VALU_DEP_1)
	v_cmp_gt_u32_e32 vcc_lo, s25, v7
                                        ; implicit-def: $vgpr7_vgpr8
	s_and_saveexec_b32 s5, vcc_lo
	s_cbranch_execz .LBB721_9
; %bb.8:
	v_lshlrev_b32_e32 v7, 3, v0
	global_load_b64 v[7:8], v7, s[20:21] offset:3072
.LBB721_9:
	s_or_b32 exec_lo, exec_lo, s5
	v_or_b32_e32 v11, 0x200, v0
	s_mov_b32 s5, exec_lo
                                        ; implicit-def: $vgpr9_vgpr10
	s_delay_alu instid0(VALU_DEP_1)
	v_cmpx_gt_u32_e64 s25, v11
	s_cbranch_execz .LBB721_11
; %bb.10:
	v_lshlrev_b32_e32 v9, 3, v11
	global_load_b64 v[9:10], v9, s[20:21]
.LBB721_11:
	s_or_b32 exec_lo, exec_lo, s5
	v_or_b32_e32 v13, 0x280, v0
	s_mov_b32 s5, exec_lo
                                        ; implicit-def: $vgpr11_vgpr12
	s_delay_alu instid0(VALU_DEP_1)
	v_cmpx_gt_u32_e64 s25, v13
	s_cbranch_execz .LBB721_13
; %bb.12:
	v_lshlrev_b32_e32 v11, 3, v13
	global_load_b64 v[11:12], v11, s[20:21]
.LBB721_13:
	s_or_b32 exec_lo, exec_lo, s5
	v_or_b32_e32 v15, 0x300, v0
	s_mov_b32 s5, exec_lo
                                        ; implicit-def: $vgpr13_vgpr14
	s_delay_alu instid0(VALU_DEP_1)
	v_cmpx_gt_u32_e64 s25, v15
	s_cbranch_execz .LBB721_15
; %bb.14:
	v_lshlrev_b32_e32 v13, 3, v15
	global_load_b64 v[13:14], v13, s[20:21]
.LBB721_15:
	s_or_b32 exec_lo, exec_lo, s5
	v_or_b32_e32 v17, 0x380, v0
	s_mov_b32 s5, exec_lo
                                        ; implicit-def: $vgpr15_vgpr16
	s_delay_alu instid0(VALU_DEP_1)
	v_cmpx_gt_u32_e64 s25, v17
	s_cbranch_execz .LBB721_17
; %bb.16:
	v_lshlrev_b32_e32 v15, 3, v17
	global_load_b64 v[15:16], v15, s[20:21]
.LBB721_17:
	s_or_b32 exec_lo, exec_lo, s5
	v_or_b32_e32 v19, 0x400, v0
	s_mov_b32 s5, exec_lo
                                        ; implicit-def: $vgpr17_vgpr18
	s_delay_alu instid0(VALU_DEP_1)
	v_cmpx_gt_u32_e64 s25, v19
	s_cbranch_execz .LBB721_19
; %bb.18:
	v_lshlrev_b32_e32 v17, 3, v19
	global_load_b64 v[17:18], v17, s[20:21]
.LBB721_19:
	s_or_b32 exec_lo, exec_lo, s5
	v_or_b32_e32 v21, 0x480, v0
	s_mov_b32 s5, exec_lo
                                        ; implicit-def: $vgpr19_vgpr20
	s_delay_alu instid0(VALU_DEP_1)
	v_cmpx_gt_u32_e64 s25, v21
	s_cbranch_execz .LBB721_21
; %bb.20:
	v_lshlrev_b32_e32 v19, 3, v21
	global_load_b64 v[19:20], v19, s[20:21]
.LBB721_21:
	s_or_b32 exec_lo, exec_lo, s5
	v_or_b32_e32 v23, 0x500, v0
	s_mov_b32 s5, exec_lo
                                        ; implicit-def: $vgpr21_vgpr22
	s_delay_alu instid0(VALU_DEP_1)
	v_cmpx_gt_u32_e64 s25, v23
	s_cbranch_execz .LBB721_23
; %bb.22:
	v_lshlrev_b32_e32 v21, 3, v23
	global_load_b64 v[21:22], v21, s[20:21]
.LBB721_23:
	s_or_b32 exec_lo, exec_lo, s5
	v_or_b32_e32 v25, 0x580, v0
	s_mov_b32 s5, exec_lo
                                        ; implicit-def: $vgpr23_vgpr24
	s_delay_alu instid0(VALU_DEP_1)
	v_cmpx_gt_u32_e64 s25, v25
	s_cbranch_execz .LBB721_25
; %bb.24:
	v_lshlrev_b32_e32 v23, 3, v25
	global_load_b64 v[23:24], v23, s[20:21]
.LBB721_25:
	s_or_b32 exec_lo, exec_lo, s5
	v_or_b32_e32 v27, 0x600, v0
	s_mov_b32 s5, exec_lo
                                        ; implicit-def: $vgpr25_vgpr26
	s_delay_alu instid0(VALU_DEP_1)
	v_cmpx_gt_u32_e64 s25, v27
	s_cbranch_execz .LBB721_27
; %bb.26:
	v_lshlrev_b32_e32 v25, 3, v27
	global_load_b64 v[25:26], v25, s[20:21]
.LBB721_27:
	s_or_b32 exec_lo, exec_lo, s5
	v_or_b32_e32 v29, 0x680, v0
	s_mov_b32 s5, exec_lo
                                        ; implicit-def: $vgpr27_vgpr28
	s_delay_alu instid0(VALU_DEP_1)
	v_cmpx_gt_u32_e64 s25, v29
	s_cbranch_execz .LBB721_29
; %bb.28:
	v_lshlrev_b32_e32 v27, 3, v29
	global_load_b64 v[27:28], v27, s[20:21]
.LBB721_29:
	s_or_b32 exec_lo, exec_lo, s5
	v_or_b32_e32 v31, 0x700, v0
	s_mov_b32 s5, exec_lo
                                        ; implicit-def: $vgpr29_vgpr30
	s_delay_alu instid0(VALU_DEP_1)
	v_cmpx_gt_u32_e64 s25, v31
	s_cbranch_execz .LBB721_31
; %bb.30:
	v_lshlrev_b32_e32 v29, 3, v31
	global_load_b64 v[29:30], v29, s[20:21]
.LBB721_31:
	s_or_b32 exec_lo, exec_lo, s5
	v_or_b32_e32 v33, 0x780, v0
	s_mov_b32 s5, exec_lo
                                        ; implicit-def: $vgpr31_vgpr32
	s_delay_alu instid0(VALU_DEP_1)
	v_cmpx_gt_u32_e64 s25, v33
	s_cbranch_execz .LBB721_33
; %bb.32:
	v_lshlrev_b32_e32 v31, 3, v33
	global_load_b64 v[31:32], v31, s[20:21]
.LBB721_33:
	s_or_b32 exec_lo, exec_lo, s5
	v_or_b32_e32 v35, 0x800, v0
	s_mov_b32 s5, exec_lo
                                        ; implicit-def: $vgpr33_vgpr34
	s_delay_alu instid0(VALU_DEP_1)
	v_cmpx_gt_u32_e64 s25, v35
	s_cbranch_execz .LBB721_35
; %bb.34:
	v_lshlrev_b32_e32 v33, 3, v35
	global_load_b64 v[33:34], v33, s[20:21]
.LBB721_35:
	s_or_b32 exec_lo, exec_lo, s5
	v_or_b32_e32 v37, 0x880, v0
	s_mov_b32 s5, exec_lo
                                        ; implicit-def: $vgpr35_vgpr36
	s_delay_alu instid0(VALU_DEP_1)
	v_cmpx_gt_u32_e64 s25, v37
	s_cbranch_execz .LBB721_37
; %bb.36:
	v_lshlrev_b32_e32 v35, 3, v37
	global_load_b64 v[35:36], v35, s[20:21]
.LBB721_37:
	s_or_b32 exec_lo, exec_lo, s5
	v_or_b32_e32 v39, 0x900, v0
	s_mov_b32 s5, exec_lo
                                        ; implicit-def: $vgpr37_vgpr38
	s_delay_alu instid0(VALU_DEP_1)
	v_cmpx_gt_u32_e64 s25, v39
	s_cbranch_execz .LBB721_39
; %bb.38:
	v_lshlrev_b32_e32 v37, 3, v39
	global_load_b64 v[37:38], v37, s[20:21]
.LBB721_39:
	s_or_b32 exec_lo, exec_lo, s5
	v_or_b32_e32 v41, 0x980, v0
	s_mov_b32 s5, exec_lo
                                        ; implicit-def: $vgpr39_vgpr40
	s_delay_alu instid0(VALU_DEP_1)
	v_cmpx_gt_u32_e64 s25, v41
	s_cbranch_execz .LBB721_41
; %bb.40:
	v_lshlrev_b32_e32 v39, 3, v41
	global_load_b64 v[39:40], v39, s[20:21]
.LBB721_41:
	s_or_b32 exec_lo, exec_lo, s5
	v_or_b32_e32 v43, 0xa00, v0
	s_mov_b32 s5, exec_lo
                                        ; implicit-def: $vgpr41_vgpr42
	s_delay_alu instid0(VALU_DEP_1)
	v_cmpx_gt_u32_e64 s25, v43
	s_cbranch_execz .LBB721_43
; %bb.42:
	v_lshlrev_b32_e32 v41, 3, v43
	global_load_b64 v[41:42], v41, s[20:21]
.LBB721_43:
	s_or_b32 exec_lo, exec_lo, s5
	v_or_b32_e32 v45, 0xa80, v0
	s_mov_b32 s5, exec_lo
                                        ; implicit-def: $vgpr43_vgpr44
	s_delay_alu instid0(VALU_DEP_1)
	v_cmpx_gt_u32_e64 s25, v45
	s_cbranch_execz .LBB721_45
; %bb.44:
	v_lshlrev_b32_e32 v43, 3, v45
	global_load_b64 v[43:44], v43, s[20:21]
.LBB721_45:
	s_or_b32 exec_lo, exec_lo, s5
	v_or_b32_e32 v47, 0xb00, v0
	s_mov_b32 s5, exec_lo
                                        ; implicit-def: $vgpr45_vgpr46
	s_delay_alu instid0(VALU_DEP_1)
	v_cmpx_gt_u32_e64 s25, v47
	s_cbranch_execz .LBB721_47
; %bb.46:
	v_lshlrev_b32_e32 v45, 3, v47
	global_load_b64 v[45:46], v45, s[20:21]
.LBB721_47:
	s_or_b32 exec_lo, exec_lo, s5
	v_or_b32_e32 v49, 0xb80, v0
	s_mov_b32 s5, exec_lo
                                        ; implicit-def: $vgpr47_vgpr48
	s_delay_alu instid0(VALU_DEP_1)
	v_cmpx_gt_u32_e64 s25, v49
	s_cbranch_execz .LBB721_49
; %bb.48:
	v_lshlrev_b32_e32 v47, 3, v49
	global_load_b64 v[47:48], v47, s[20:21]
.LBB721_49:
	s_or_b32 exec_lo, exec_lo, s5
	v_or_b32_e32 v51, 0xc00, v0
	s_mov_b32 s5, exec_lo
                                        ; implicit-def: $vgpr49_vgpr50
	s_delay_alu instid0(VALU_DEP_1)
	v_cmpx_gt_u32_e64 s25, v51
	s_cbranch_execz .LBB721_51
; %bb.50:
	v_lshlrev_b32_e32 v49, 3, v51
	global_load_b64 v[49:50], v49, s[20:21]
.LBB721_51:
	s_or_b32 exec_lo, exec_lo, s5
	v_or_b32_e32 v53, 0xc80, v0
	s_mov_b32 s5, exec_lo
                                        ; implicit-def: $vgpr51_vgpr52
	s_delay_alu instid0(VALU_DEP_1)
	v_cmpx_gt_u32_e64 s25, v53
	s_cbranch_execz .LBB721_53
; %bb.52:
	v_lshlrev_b32_e32 v51, 3, v53
	global_load_b64 v[51:52], v51, s[20:21]
.LBB721_53:
	s_or_b32 exec_lo, exec_lo, s5
	v_or_b32_e32 v55, 0xd00, v0
	s_mov_b32 s5, exec_lo
                                        ; implicit-def: $vgpr53_vgpr54
	s_delay_alu instid0(VALU_DEP_1)
	v_cmpx_gt_u32_e64 s25, v55
	s_cbranch_execz .LBB721_55
; %bb.54:
	v_lshlrev_b32_e32 v53, 3, v55
	global_load_b64 v[53:54], v53, s[20:21]
.LBB721_55:
	s_or_b32 exec_lo, exec_lo, s5
	v_or_b32_e32 v57, 0xd80, v0
	s_mov_b32 s5, exec_lo
                                        ; implicit-def: $vgpr55_vgpr56
	s_delay_alu instid0(VALU_DEP_1)
	v_cmpx_gt_u32_e64 s25, v57
	s_cbranch_execz .LBB721_57
; %bb.56:
	v_lshlrev_b32_e32 v55, 3, v57
	global_load_b64 v[55:56], v55, s[20:21]
.LBB721_57:
	s_or_b32 exec_lo, exec_lo, s5
	v_or_b32_e32 v59, 0xe00, v0
	s_mov_b32 s5, exec_lo
                                        ; implicit-def: $vgpr57_vgpr58
	s_delay_alu instid0(VALU_DEP_1)
	v_cmpx_gt_u32_e64 s25, v59
	s_cbranch_execz .LBB721_59
; %bb.58:
	v_lshlrev_b32_e32 v57, 3, v59
	global_load_b64 v[57:58], v57, s[20:21]
.LBB721_59:
	s_or_b32 exec_lo, exec_lo, s5
	v_lshlrev_b32_e32 v59, 3, v0
	s_mov_b32 s5, 0
	s_waitcnt vmcnt(0)
	ds_store_2addr_stride64_b64 v59, v[1:2], v[3:4] offset1:2
	ds_store_2addr_stride64_b64 v59, v[5:6], v[7:8] offset0:4 offset1:6
	ds_store_2addr_stride64_b64 v59, v[9:10], v[11:12] offset0:8 offset1:10
	;; [unrolled: 1-line block ×13, first 2 shown]
	ds_store_b64 v59, v[57:58] offset:28672
	s_waitcnt lgkmcnt(0)
	s_barrier
.LBB721_60:
	v_lshlrev_b32_e32 v117, 3, v0
	s_and_b32 vcc_lo, exec_lo, s5
	s_cbranch_vccz .LBB721_62
; %bb.61:
	s_mov_b32 s5, 0
	s_delay_alu instid0(SALU_CYCLE_1) | instskip(NEXT) | instid1(SALU_CYCLE_1)
	s_lshl_b64 s[20:21], s[4:5], 3
	s_add_u32 s20, s23, s20
	s_addc_u32 s21, s24, s21
	v_add_co_u32 v49, s5, s20, v117
	s_delay_alu instid0(VALU_DEP_1)
	v_add_co_ci_u32_e64 v50, null, s21, 0, s5
	s_clause 0x3
	global_load_b64 v[1:2], v117, s[20:21]
	global_load_b64 v[3:4], v117, s[20:21] offset:1024
	global_load_b64 v[5:6], v117, s[20:21] offset:2048
	;; [unrolled: 1-line block ×3, first 2 shown]
	v_add_co_u32 v9, vcc_lo, 0x1000, v49
	v_add_co_ci_u32_e32 v10, vcc_lo, 0, v50, vcc_lo
	v_add_co_u32 v11, vcc_lo, v49, 0x2000
	v_add_co_ci_u32_e32 v12, vcc_lo, 0, v50, vcc_lo
	;; [unrolled: 2-line block ×10, first 2 shown]
	s_clause 0x18
	global_load_b64 v[15:16], v[11:12], off offset:-4096
	global_load_b64 v[17:18], v[9:10], off offset:1024
	global_load_b64 v[19:20], v[9:10], off offset:2048
	;; [unrolled: 1-line block ×12, first 2 shown]
	global_load_b64 v[11:12], v[11:12], off
	global_load_b64 v[43:44], v[25:26], off offset:-4096
	global_load_b64 v[25:26], v[25:26], off
	global_load_b64 v[45:46], v[39:40], off offset:-4096
	global_load_b64 v[39:40], v[39:40], off
	global_load_b64 v[51:52], v[41:42], off offset:1024
	global_load_b64 v[53:54], v[41:42], off offset:2048
	;; [unrolled: 1-line block ×6, first 2 shown]
	global_load_b64 v[49:50], v[49:50], off
	s_waitcnt vmcnt(27)
	ds_store_2addr_stride64_b64 v117, v[1:2], v[3:4] offset1:2
	s_waitcnt vmcnt(25)
	ds_store_2addr_stride64_b64 v117, v[5:6], v[7:8] offset0:4 offset1:6
	s_waitcnt vmcnt(23)
	ds_store_2addr_stride64_b64 v117, v[15:16], v[17:18] offset0:8 offset1:10
	s_waitcnt vmcnt(21)
	ds_store_2addr_stride64_b64 v117, v[19:20], v[9:10] offset0:12 offset1:14
	s_waitcnt vmcnt(11)
	ds_store_2addr_stride64_b64 v117, v[11:12], v[21:22] offset0:16 offset1:18
	ds_store_2addr_stride64_b64 v117, v[29:30], v[13:14] offset0:20 offset1:22
	s_waitcnt vmcnt(10)
	ds_store_2addr_stride64_b64 v117, v[43:44], v[31:32] offset0:24 offset1:26
	ds_store_2addr_stride64_b64 v117, v[33:34], v[23:24] offset0:28 offset1:30
	s_waitcnt vmcnt(9)
	ds_store_2addr_stride64_b64 v117, v[25:26], v[35:36] offset0:32 offset1:34
	;; [unrolled: 3-line block ×3, first 2 shown]
	s_waitcnt vmcnt(4)
	ds_store_2addr_stride64_b64 v117, v[53:54], v[41:42] offset0:44 offset1:46
	s_waitcnt vmcnt(3)
	ds_store_2addr_stride64_b64 v117, v[39:40], v[55:56] offset0:48 offset1:50
	;; [unrolled: 2-line block ×3, first 2 shown]
	s_waitcnt vmcnt(0)
	ds_store_b64 v117, v[49:50] offset:28672
	s_waitcnt lgkmcnt(0)
	s_barrier
.LBB721_62:
	v_mul_u32_u24_e32 v1, 29, v0
	buffer_gl0_inv
	s_cmp_eq_u64 s[14:15], 0
	v_lshlrev_b32_e32 v53, 3, v1
	ds_load_b64 v[57:58], v53 offset:224
	ds_load_2addr_b64 v[1:4], v53 offset0:26 offset1:27
	ds_load_2addr_b64 v[5:8], v53 offset0:24 offset1:25
	ds_load_2addr_b64 v[9:12], v53 offset1:1
	ds_load_2addr_b64 v[13:16], v53 offset0:2 offset1:3
	ds_load_2addr_b64 v[17:20], v53 offset0:4 offset1:5
	;; [unrolled: 1-line block ×11, first 2 shown]
	s_waitcnt lgkmcnt(0)
	s_barrier
	buffer_gl0_inv
	s_cbranch_scc1 .LBB721_67
; %bb.63:
	s_lshl_b64 s[2:3], s[2:3], 3
	s_delay_alu instid0(SALU_CYCLE_1) | instskip(SKIP_2) | instid1(SALU_CYCLE_1)
	s_add_u32 s2, s0, s2
	s_addc_u32 s3, s1, s3
	s_lshl_b64 s[0:1], s[16:17], 3
	s_add_u32 s0, s2, s0
	s_addc_u32 s1, s3, s1
	s_add_u32 s0, s0, -8
	s_addc_u32 s1, s1, -1
	s_cmp_eq_u64 s[14:15], s[18:19]
	s_load_b64 s[0:1], s[0:1], 0x0
	s_cbranch_scc1 .LBB721_68
; %bb.64:
	s_waitcnt lgkmcnt(0)
	v_dual_mov_b32 v60, s1 :: v_dual_mov_b32 v59, s0
	s_mov_b32 s2, 0
	s_mov_b32 s3, exec_lo
	ds_store_b64 v117, v[57:58]
	s_waitcnt lgkmcnt(0)
	s_barrier
	buffer_gl0_inv
	v_cmpx_ne_u32_e32 0, v0
	s_cbranch_execz .LBB721_66
; %bb.65:
	v_add_nc_u32_e32 v59, -8, v117
	ds_load_b64 v[59:60], v59
.LBB721_66:
	s_or_b32 exec_lo, exec_lo, s3
	s_waitcnt lgkmcnt(0)
	v_add_co_u32 v59, vcc_lo, v59, v9
	v_add_co_ci_u32_e32 v60, vcc_lo, v60, v10, vcc_lo
	s_branch .LBB721_69
.LBB721_67:
                                        ; implicit-def: $vgpr59_vgpr60
                                        ; implicit-def: $vgpr115_vgpr116
                                        ; implicit-def: $vgpr109_vgpr110
                                        ; implicit-def: $vgpr113_vgpr114
                                        ; implicit-def: $vgpr103_vgpr104
                                        ; implicit-def: $vgpr111_vgpr112
                                        ; implicit-def: $vgpr99_vgpr100
                                        ; implicit-def: $vgpr107_vgpr108
                                        ; implicit-def: $vgpr97_vgpr98
                                        ; implicit-def: $vgpr105_vgpr106
                                        ; implicit-def: $vgpr95_vgpr96
                                        ; implicit-def: $vgpr101_vgpr102
                                        ; implicit-def: $vgpr93_vgpr94
                                        ; implicit-def: $vgpr91_vgpr92
                                        ; implicit-def: $vgpr89_vgpr90
                                        ; implicit-def: $vgpr87_vgpr88
                                        ; implicit-def: $vgpr85_vgpr86
                                        ; implicit-def: $vgpr83_vgpr84
                                        ; implicit-def: $vgpr81_vgpr82
                                        ; implicit-def: $vgpr79_vgpr80
                                        ; implicit-def: $vgpr77_vgpr78
                                        ; implicit-def: $vgpr75_vgpr76
                                        ; implicit-def: $vgpr73_vgpr74
                                        ; implicit-def: $vgpr69_vgpr70
                                        ; implicit-def: $vgpr67_vgpr68
                                        ; implicit-def: $vgpr65_vgpr66
                                        ; implicit-def: $vgpr63_vgpr64
                                        ; implicit-def: $vgpr61_vgpr62
                                        ; implicit-def: $vgpr71_vgpr72
	s_branch .LBB721_74
.LBB721_68:
	s_mov_b32 s2, -1
                                        ; implicit-def: $vgpr59_vgpr60
.LBB721_69:
	v_dual_mov_b32 v116, v10 :: v_dual_mov_b32 v115, v9
	v_dual_mov_b32 v110, v12 :: v_dual_mov_b32 v109, v11
	;; [unrolled: 1-line block ×28, first 2 shown]
	s_and_b32 vcc_lo, exec_lo, s2
	s_cbranch_vccz .LBB721_73
; %bb.70:
	v_mul_u32_u24_e32 v109, 29, v0
	s_waitcnt lgkmcnt(0)
	v_dual_mov_b32 v60, s1 :: v_dual_mov_b32 v59, s0
	s_mov_b32 s0, exec_lo
	ds_store_b64 v117, v[57:58]
	s_waitcnt lgkmcnt(0)
	s_barrier
	buffer_gl0_inv
	v_cmpx_ne_u32_e32 0, v0
	s_cbranch_execz .LBB721_72
; %bb.71:
	v_add_nc_u32_e32 v59, -8, v117
	ds_load_b64 v[59:60], v59
.LBB721_72:
	s_or_b32 exec_lo, exec_lo, s0
	v_add_nc_u32_e32 v61, 28, v109
	s_mul_i32 s1, s14, 0xfffff180
	v_add_nc_u32_e32 v63, 26, v109
	s_add_i32 s1, s1, s10
	v_add_nc_u32_e32 v67, 24, v109
	v_cmp_gt_u32_e32 vcc_lo, s1, v61
	v_add_nc_u32_e32 v62, 27, v109
	v_add_nc_u32_e32 v73, 22, v109
	;; [unrolled: 1-line block ×3, first 2 shown]
	v_dual_cndmask_b32 v72, 0, v4 :: v_dual_add_nc_u32 v81, 18, v109
	v_cndmask_b32_e32 v71, 0, v3, vcc_lo
	v_cmp_gt_u32_e32 vcc_lo, s1, v63
	v_add_nc_u32_e32 v85, 16, v109
	v_cmp_gt_u32_e64 s0, s1, v62
	v_add_nc_u32_e32 v89, 14, v109
	v_dual_cndmask_b32 v64, 0, v8 :: v_dual_add_nc_u32 v93, 12, v109
	v_cndmask_b32_e32 v63, 0, v7, vcc_lo
	v_cmp_gt_u32_e32 vcc_lo, s1, v67
	v_add_nc_u32_e32 v65, 25, v109
	v_cndmask_b32_e64 v62, 0, v2, s0
	v_cndmask_b32_e64 v61, 0, v1, s0
	v_dual_cndmask_b32 v68, 0, v56 :: v_dual_add_nc_u32 v79, 19, v109
	v_cndmask_b32_e32 v67, 0, v55, vcc_lo
	v_cmp_gt_u32_e32 vcc_lo, s1, v73
	v_cmp_gt_u32_e64 s0, s1, v65
	v_add_nc_u32_e32 v83, 17, v109
	v_add_nc_u32_e32 v87, 15, v109
	v_dual_cndmask_b32 v74, 0, v52 :: v_dual_add_nc_u32 v91, 13, v109
	v_dual_cndmask_b32 v73, 0, v51 :: v_dual_add_nc_u32 v96, 10, v109
	v_cmp_gt_u32_e32 vcc_lo, s1, v77
	v_cndmask_b32_e64 v66, 0, v6, s0
	v_cndmask_b32_e64 v65, 0, v5, s0
	v_add_nc_u32_e32 v95, 11, v109
	v_dual_cndmask_b32 v78, 0, v48 :: v_dual_add_nc_u32 v97, 8, v109
	v_dual_cndmask_b32 v77, 0, v47 :: v_dual_add_nc_u32 v100, 6, v109
	v_cmp_gt_u32_e32 vcc_lo, s1, v81
	v_add_nc_u32_e32 v69, 23, v109
	v_add_nc_u32_e32 v99, 7, v109
	v_add_nc_u32_e32 v103, 4, v109
	v_add_nc_u32_e32 v110, 3, v109
	v_dual_cndmask_b32 v82, 0, v44 :: v_dual_cndmask_b32 v81, 0, v43
	v_cmp_gt_u32_e32 vcc_lo, s1, v85
	v_cmp_gt_u32_e64 s0, s1, v69
	v_dual_cndmask_b32 v86, 0, v40 :: v_dual_add_nc_u32 v115, 1, v109
	v_cndmask_b32_e32 v85, 0, v39, vcc_lo
	v_cmp_gt_u32_e32 vcc_lo, s1, v89
	s_delay_alu instid0(VALU_DEP_4) | instskip(SKIP_4) | instid1(VALU_DEP_1)
	v_cndmask_b32_e64 v70, 0, v54, s0
	v_cndmask_b32_e64 v69, 0, v53, s0
	v_dual_cndmask_b32 v90, 0, v36 :: v_dual_cndmask_b32 v89, 0, v35
	v_cmp_gt_u32_e32 vcc_lo, s1, v93
	v_dual_cndmask_b32 v94, 0, v32 :: v_dual_add_nc_u32 v75, 21, v109
	v_cmp_gt_u32_e64 s0, s1, v75
	v_cndmask_b32_e32 v93, 0, v31, vcc_lo
	v_cmp_gt_u32_e32 vcc_lo, s1, v96
	s_delay_alu instid0(VALU_DEP_3) | instskip(SKIP_3) | instid1(VALU_DEP_2)
	v_cndmask_b32_e64 v76, 0, v50, s0
	v_cndmask_b32_e64 v75, 0, v49, s0
	v_cmp_gt_u32_e64 s0, s1, v79
	v_cndmask_b32_e32 v96, 0, v28, vcc_lo
	v_cndmask_b32_e64 v80, 0, v46, s0
	v_cndmask_b32_e64 v79, 0, v45, s0
	v_cmp_gt_u32_e64 s0, s1, v83
	s_delay_alu instid0(VALU_DEP_1) | instskip(SKIP_2) | instid1(VALU_DEP_1)
	v_cndmask_b32_e64 v84, 0, v42, s0
	v_cndmask_b32_e64 v83, 0, v41, s0
	v_cmp_gt_u32_e64 s0, s1, v87
	v_cndmask_b32_e64 v88, 0, v38, s0
	v_cndmask_b32_e64 v87, 0, v37, s0
	v_cmp_gt_u32_e64 s0, s1, v91
	s_delay_alu instid0(VALU_DEP_1) | instskip(SKIP_3) | instid1(VALU_DEP_2)
	v_cndmask_b32_e64 v92, 0, v34, s0
	v_cndmask_b32_e64 v91, 0, v33, s0
	v_cmp_gt_u32_e64 s0, s1, v95
	v_add_nc_u32_e32 v95, 9, v109
	v_cndmask_b32_e64 v102, 0, v30, s0
	v_cndmask_b32_e64 v101, 0, v29, s0
	s_delay_alu instid0(VALU_DEP_3) | instskip(SKIP_2) | instid1(VALU_DEP_3)
	v_cmp_gt_u32_e64 s0, s1, v95
	v_cndmask_b32_e32 v95, 0, v27, vcc_lo
	v_cmp_gt_u32_e32 vcc_lo, s1, v97
	v_cndmask_b32_e64 v106, 0, v26, s0
	v_cndmask_b32_e64 v105, 0, v25, s0
	v_cndmask_b32_e32 v98, 0, v24, vcc_lo
	v_cmp_gt_u32_e64 s0, s1, v99
	v_cndmask_b32_e32 v97, 0, v23, vcc_lo
	v_add_nc_u32_e32 v99, 5, v109
	v_cmp_gt_u32_e32 vcc_lo, s1, v100
	s_delay_alu instid0(VALU_DEP_4) | instskip(SKIP_1) | instid1(VALU_DEP_4)
	v_cndmask_b32_e64 v108, 0, v22, s0
	v_cndmask_b32_e64 v107, 0, v21, s0
	v_cmp_gt_u32_e64 s0, s1, v99
	v_dual_cndmask_b32 v100, 0, v20 :: v_dual_cndmask_b32 v99, 0, v19
	v_cmp_gt_u32_e32 vcc_lo, s1, v103
	s_delay_alu instid0(VALU_DEP_3)
	v_cndmask_b32_e64 v112, 0, v18, s0
	v_cndmask_b32_e64 v111, 0, v17, s0
	v_cmp_gt_u32_e64 s0, s1, v110
	v_dual_cndmask_b32 v104, 0, v16 :: v_dual_cndmask_b32 v103, 0, v15
	v_cmp_gt_u32_e32 vcc_lo, s1, v109
	v_add_nc_u32_e32 v110, 2, v109
	s_delay_alu instid0(VALU_DEP_4)
	v_cndmask_b32_e64 v114, 0, v14, s0
	v_cndmask_b32_e64 v113, 0, v13, s0
	s_waitcnt lgkmcnt(0)
	v_cndmask_b32_e32 v59, 0, v59, vcc_lo
	v_cmp_gt_u32_e64 s0, s1, v110
	v_cmp_gt_u32_e64 s1, s1, v115
	v_cndmask_b32_e32 v60, 0, v60, vcc_lo
	s_delay_alu instid0(VALU_DEP_4) | instskip(NEXT) | instid1(VALU_DEP_4)
	v_add_co_u32 v59, vcc_lo, v59, v9
	v_cndmask_b32_e64 v110, 0, v12, s0
	v_cndmask_b32_e64 v109, 0, v11, s0
	;; [unrolled: 1-line block ×4, first 2 shown]
	v_add_co_ci_u32_e32 v60, vcc_lo, v60, v10, vcc_lo
.LBB721_73:
	s_waitcnt lgkmcnt(0)
	s_cbranch_execnz .LBB721_84
.LBB721_74:
	v_cmp_ne_u32_e32 vcc_lo, 0, v0
	s_cmp_eq_u64 s[12:13], 1
	s_cbranch_scc1 .LBB721_78
; %bb.75:
	v_dual_mov_b32 v60, v10 :: v_dual_mov_b32 v59, v9
	s_mov_b32 s0, 0
	ds_store_b64 v117, v[57:58]
	s_waitcnt lgkmcnt(0)
	s_barrier
	buffer_gl0_inv
	s_and_saveexec_b32 s1, vcc_lo
	s_cbranch_execz .LBB721_77
; %bb.76:
	v_add_nc_u32_e32 v59, -8, v117
	ds_load_b64 v[59:60], v59
	s_waitcnt lgkmcnt(0)
	v_add_co_u32 v59, vcc_lo, v59, v9
	v_add_co_ci_u32_e32 v60, vcc_lo, v60, v10, vcc_lo
.LBB721_77:
	s_or_b32 exec_lo, exec_lo, s1
	s_branch .LBB721_79
.LBB721_78:
	s_mov_b32 s0, -1
                                        ; implicit-def: $vgpr59_vgpr60
.LBB721_79:
	v_dual_mov_b32 v110, v12 :: v_dual_mov_b32 v109, v11
	v_dual_mov_b32 v114, v14 :: v_dual_mov_b32 v113, v13
	;; [unrolled: 1-line block ×27, first 2 shown]
	s_and_not1_b32 vcc_lo, exec_lo, s0
	s_cbranch_vccnz .LBB721_83
; %bb.80:
	v_mad_u32_u24 v59, v0, 29, 28
	v_mad_u32_u24 v60, v0, 29, 27
	;; [unrolled: 1-line block ×3, first 2 shown]
	v_mul_u32_u24_e32 v115, 29, v0
	ds_store_b64 v117, v[57:58]
	v_cmp_gt_u32_e32 vcc_lo, s10, v59
	v_mad_u32_u24 v59, v0, 29, 25
	v_cmp_gt_u32_e64 s0, s10, v60
	v_mad_u32_u24 v60, v0, 29, 24
	v_cmp_gt_u32_e64 s1, s10, v115
	v_dual_cndmask_b32 v72, 0, v4 :: v_dual_cndmask_b32 v71, 0, v3
	v_cmp_gt_u32_e32 vcc_lo, s10, v61
	v_cndmask_b32_e64 v62, 0, v2, s0
	v_cndmask_b32_e64 v61, 0, v1, s0
	v_cmp_gt_u32_e64 s0, s10, v59
	v_mad_u32_u24 v59, v0, 29, 23
	v_dual_cndmask_b32 v64, 0, v8 :: v_dual_cndmask_b32 v63, 0, v7
	v_cmp_gt_u32_e32 vcc_lo, s10, v60
	v_mad_u32_u24 v60, v0, 29, 22
	v_cndmask_b32_e64 v66, 0, v6, s0
	v_cndmask_b32_e64 v65, 0, v5, s0
	v_cmp_gt_u32_e64 s0, s10, v59
	v_mad_u32_u24 v59, v0, 29, 21
	v_dual_cndmask_b32 v68, 0, v56 :: v_dual_cndmask_b32 v67, 0, v55
	v_cmp_gt_u32_e32 vcc_lo, s10, v60
	v_mad_u32_u24 v60, v0, 29, 20
	;; [unrolled: 7-line block ×11, first 2 shown]
	v_cndmask_b32_e64 v112, 0, v18, s0
	v_cndmask_b32_e64 v111, 0, v17, s0
	v_cmp_gt_u32_e64 s0, s10, v59
	v_mad_u32_u24 v59, v0, 29, 1
	v_dual_cndmask_b32 v104, 0, v16 :: v_dual_cndmask_b32 v103, 0, v15
	v_cmp_gt_u32_e32 vcc_lo, s10, v60
	s_delay_alu instid0(VALU_DEP_4)
	v_cndmask_b32_e64 v114, 0, v14, s0
	v_cndmask_b32_e64 v113, 0, v13, s0
	v_cmp_gt_u32_e64 s0, s10, v59
	s_waitcnt lgkmcnt(0)
	v_dual_cndmask_b32 v110, 0, v12 :: v_dual_cndmask_b32 v109, 0, v11
	v_cmp_ne_u32_e32 vcc_lo, 0, v0
	s_delay_alu instid0(VALU_DEP_3) | instskip(SKIP_4) | instid1(SALU_CYCLE_1)
	v_cndmask_b32_e64 v116, 0, v10, s0
	v_cndmask_b32_e64 v115, 0, v9, s0
	s_barrier
	buffer_gl0_inv
	s_and_b32 s1, vcc_lo, s1
	s_and_saveexec_b32 s0, s1
	s_cbranch_execz .LBB721_82
; %bb.81:
	v_add_nc_u32_e32 v59, -8, v117
	ds_load_b64 v[59:60], v59
	s_waitcnt lgkmcnt(0)
	v_add_co_u32 v9, vcc_lo, v59, v9
	v_add_co_ci_u32_e32 v10, vcc_lo, v60, v10, vcc_lo
.LBB721_82:
	s_or_b32 exec_lo, exec_lo, s0
	s_delay_alu instid0(VALU_DEP_1)
	v_dual_mov_b32 v60, v10 :: v_dual_mov_b32 v59, v9
	v_dual_mov_b32 v9, v115 :: v_dual_mov_b32 v10, v116
.LBB721_83:
	s_delay_alu instid0(VALU_DEP_1)
	v_dual_mov_b32 v116, v10 :: v_dual_mov_b32 v115, v9
.LBB721_84:
	s_delay_alu instid0(VALU_DEP_2) | instskip(SKIP_1) | instid1(VALU_DEP_3)
	v_add_co_u32 v57, vcc_lo, v71, v57
	v_add_co_ci_u32_e32 v58, vcc_lo, v72, v58, vcc_lo
	v_add_co_u32 v115, vcc_lo, v115, v11
	s_delay_alu instid0(VALU_DEP_4)
	v_add_co_ci_u32_e32 v116, vcc_lo, v116, v12, vcc_lo
	v_add_co_u32 v109, vcc_lo, v109, v13
	v_add_co_ci_u32_e32 v110, vcc_lo, v110, v14, vcc_lo
	v_add_co_u32 v113, vcc_lo, v113, v15
	;; [unrolled: 2-line block ×26, first 2 shown]
	v_add_co_ci_u32_e32 v62, vcc_lo, v62, v4, vcc_lo
	v_mul_u32_u24_e32 v118, 0xe8, v0
	v_mul_i32_i24_e32 v119, 0xffffff20, v0
	s_add_u32 s1, s8, s6
	s_addc_u32 s0, s9, s7
	s_and_b32 vcc_lo, exec_lo, s22
	s_barrier
	buffer_gl0_inv
	s_cbranch_vccz .LBB721_142
; %bb.85:
	v_mad_u32_u24 v1, 0xe8, v0, v119
	ds_store_2addr_b64 v118, v[59:60], v[115:116] offset1:1
	ds_store_2addr_b64 v118, v[109:110], v[113:114] offset0:2 offset1:3
	ds_store_2addr_b64 v118, v[103:104], v[111:112] offset0:4 offset1:5
	;; [unrolled: 1-line block ×13, first 2 shown]
	ds_store_b64 v118, v[57:58] offset:224
	s_waitcnt lgkmcnt(0)
	s_barrier
	buffer_gl0_inv
	ds_load_2addr_stride64_b64 v[53:56], v1 offset0:2 offset1:4
	ds_load_2addr_stride64_b64 v[49:52], v1 offset0:6 offset1:8
	;; [unrolled: 1-line block ×14, first 2 shown]
	s_mov_b32 s5, 0
	s_add_i32 s11, s11, s10
	s_lshl_b64 s[2:3], s[4:5], 3
	s_delay_alu instid0(SALU_CYCLE_1) | instskip(SKIP_2) | instid1(VALU_DEP_1)
	s_add_u32 s2, s1, s2
	s_addc_u32 s3, s0, s3
	v_add_co_u32 v73, s2, s2, v117
	v_add_co_ci_u32_e64 v74, null, s3, 0, s2
	s_mov_b32 s2, exec_lo
	v_cmpx_gt_u32_e64 s11, v0
	s_cbranch_execz .LBB721_87
; %bb.86:
	v_add_nc_u32_e32 v120, v118, v119
	ds_load_b64 v[120:121], v120
	s_waitcnt lgkmcnt(0)
	global_store_b64 v[73:74], v[120:121], off
.LBB721_87:
	s_or_b32 exec_lo, exec_lo, s2
	v_or_b32_e32 v120, 0x80, v0
	s_mov_b32 s2, exec_lo
	s_delay_alu instid0(VALU_DEP_1)
	v_cmpx_gt_u32_e64 s11, v120
	s_cbranch_execz .LBB721_89
; %bb.88:
	s_waitcnt lgkmcnt(13)
	global_store_b64 v[73:74], v[53:54], off offset:1024
.LBB721_89:
	s_or_b32 exec_lo, exec_lo, s2
	s_waitcnt lgkmcnt(13)
	v_or_b32_e32 v53, 0x100, v0
	s_mov_b32 s2, exec_lo
	s_delay_alu instid0(VALU_DEP_1)
	v_cmpx_gt_u32_e64 s11, v53
	s_cbranch_execz .LBB721_91
; %bb.90:
	global_store_b64 v[73:74], v[55:56], off offset:2048
.LBB721_91:
	s_or_b32 exec_lo, exec_lo, s2
	v_or_b32_e32 v53, 0x180, v0
	s_mov_b32 s2, exec_lo
	s_delay_alu instid0(VALU_DEP_1)
	v_cmpx_gt_u32_e64 s11, v53
	s_cbranch_execz .LBB721_93
; %bb.92:
	s_waitcnt lgkmcnt(12)
	global_store_b64 v[73:74], v[49:50], off offset:3072
.LBB721_93:
	s_or_b32 exec_lo, exec_lo, s2
	s_waitcnt lgkmcnt(12)
	v_or_b32_e32 v49, 0x200, v0
	s_mov_b32 s2, exec_lo
	s_delay_alu instid0(VALU_DEP_1)
	v_cmpx_gt_u32_e64 s11, v49
	s_cbranch_execz .LBB721_95
; %bb.94:
	v_add_co_u32 v49, vcc_lo, 0x1000, v73
	v_add_co_ci_u32_e32 v50, vcc_lo, 0, v74, vcc_lo
	global_store_b64 v[49:50], v[51:52], off
.LBB721_95:
	s_or_b32 exec_lo, exec_lo, s2
	v_or_b32_e32 v49, 0x280, v0
	s_mov_b32 s2, exec_lo
	s_delay_alu instid0(VALU_DEP_1)
	v_cmpx_gt_u32_e64 s11, v49
	s_cbranch_execz .LBB721_97
; %bb.96:
	v_add_co_u32 v49, vcc_lo, 0x1000, v73
	v_add_co_ci_u32_e32 v50, vcc_lo, 0, v74, vcc_lo
	s_waitcnt lgkmcnt(11)
	global_store_b64 v[49:50], v[45:46], off offset:1024
.LBB721_97:
	s_or_b32 exec_lo, exec_lo, s2
	s_waitcnt lgkmcnt(11)
	v_or_b32_e32 v45, 0x300, v0
	s_mov_b32 s2, exec_lo
	s_delay_alu instid0(VALU_DEP_1)
	v_cmpx_gt_u32_e64 s11, v45
	s_cbranch_execz .LBB721_99
; %bb.98:
	v_add_co_u32 v45, vcc_lo, 0x1000, v73
	v_add_co_ci_u32_e32 v46, vcc_lo, 0, v74, vcc_lo
	global_store_b64 v[45:46], v[47:48], off offset:2048
.LBB721_99:
	s_or_b32 exec_lo, exec_lo, s2
	v_or_b32_e32 v45, 0x380, v0
	s_mov_b32 s2, exec_lo
	s_delay_alu instid0(VALU_DEP_1)
	v_cmpx_gt_u32_e64 s11, v45
	s_cbranch_execz .LBB721_101
; %bb.100:
	v_add_co_u32 v45, vcc_lo, 0x1000, v73
	v_add_co_ci_u32_e32 v46, vcc_lo, 0, v74, vcc_lo
	s_waitcnt lgkmcnt(10)
	global_store_b64 v[45:46], v[41:42], off offset:3072
.LBB721_101:
	s_or_b32 exec_lo, exec_lo, s2
	s_waitcnt lgkmcnt(10)
	v_or_b32_e32 v41, 0x400, v0
	s_mov_b32 s2, exec_lo
	s_delay_alu instid0(VALU_DEP_1)
	v_cmpx_gt_u32_e64 s11, v41
	s_cbranch_execz .LBB721_103
; %bb.102:
	v_add_co_u32 v41, vcc_lo, 0x2000, v73
	v_add_co_ci_u32_e32 v42, vcc_lo, 0, v74, vcc_lo
	global_store_b64 v[41:42], v[43:44], off
.LBB721_103:
	s_or_b32 exec_lo, exec_lo, s2
	v_or_b32_e32 v41, 0x480, v0
	s_mov_b32 s2, exec_lo
	s_delay_alu instid0(VALU_DEP_1)
	v_cmpx_gt_u32_e64 s11, v41
	s_cbranch_execz .LBB721_105
; %bb.104:
	v_add_co_u32 v41, vcc_lo, 0x2000, v73
	v_add_co_ci_u32_e32 v42, vcc_lo, 0, v74, vcc_lo
	s_waitcnt lgkmcnt(9)
	global_store_b64 v[41:42], v[37:38], off offset:1024
.LBB721_105:
	s_or_b32 exec_lo, exec_lo, s2
	s_waitcnt lgkmcnt(9)
	v_or_b32_e32 v37, 0x500, v0
	s_mov_b32 s2, exec_lo
	s_delay_alu instid0(VALU_DEP_1)
	v_cmpx_gt_u32_e64 s11, v37
	s_cbranch_execz .LBB721_107
; %bb.106:
	v_add_co_u32 v37, vcc_lo, 0x2000, v73
	v_add_co_ci_u32_e32 v38, vcc_lo, 0, v74, vcc_lo
	global_store_b64 v[37:38], v[39:40], off offset:2048
.LBB721_107:
	s_or_b32 exec_lo, exec_lo, s2
	v_or_b32_e32 v37, 0x580, v0
	s_mov_b32 s2, exec_lo
	s_delay_alu instid0(VALU_DEP_1)
	v_cmpx_gt_u32_e64 s11, v37
	s_cbranch_execz .LBB721_109
; %bb.108:
	v_add_co_u32 v37, vcc_lo, 0x2000, v73
	v_add_co_ci_u32_e32 v38, vcc_lo, 0, v74, vcc_lo
	s_waitcnt lgkmcnt(8)
	global_store_b64 v[37:38], v[33:34], off offset:3072
.LBB721_109:
	;; [unrolled: 48-line block ×6, first 2 shown]
	s_or_b32 exec_lo, exec_lo, s2
	s_waitcnt lgkmcnt(0)
	v_or_b32_e32 v1, 0xe00, v0
	s_delay_alu instid0(VALU_DEP_1)
	v_cmp_gt_u32_e64 s2, s11, v1
	s_branch .LBB721_144
.LBB721_142:
	s_mov_b32 s2, 0
                                        ; implicit-def: $vgpr3_vgpr4
                                        ; implicit-def: $vgpr73_vgpr74
	s_cbranch_execz .LBB721_144
; %bb.143:
	v_mad_u32_u24 v0, 0xe8, v0, v119
	ds_store_2addr_b64 v118, v[59:60], v[115:116] offset1:1
	ds_store_2addr_b64 v118, v[109:110], v[113:114] offset0:2 offset1:3
	ds_store_2addr_b64 v118, v[103:104], v[111:112] offset0:4 offset1:5
	;; [unrolled: 1-line block ×13, first 2 shown]
	ds_store_b64 v118, v[57:58] offset:224
	s_waitcnt lgkmcnt(0)
	s_waitcnt_vscnt null, 0x0
	s_barrier
	buffer_gl0_inv
	ds_load_2addr_stride64_b64 v[5:8], v0 offset1:2
	s_mov_b32 s5, 0
	ds_load_2addr_stride64_b64 v[9:12], v0 offset0:4 offset1:6
	ds_load_2addr_stride64_b64 v[13:16], v0 offset0:8 offset1:10
	;; [unrolled: 1-line block ×13, first 2 shown]
	ds_load_b64 v[3:4], v0 offset:28672
	s_lshl_b64 s[4:5], s[4:5], 3
	s_delay_alu instid0(SALU_CYCLE_1) | instskip(SKIP_2) | instid1(VALU_DEP_1)
	s_add_u32 s4, s1, s4
	s_addc_u32 s5, s0, s5
	v_add_co_u32 v73, s0, s4, v117
	v_add_co_ci_u32_e64 v74, null, s5, 0, s0
	s_or_b32 s2, s2, exec_lo
	s_delay_alu instid0(VALU_DEP_2) | instskip(NEXT) | instid1(VALU_DEP_2)
	v_add_co_u32 v0, vcc_lo, 0x1000, v73
	v_add_co_ci_u32_e32 v1, vcc_lo, 0, v74, vcc_lo
	s_waitcnt lgkmcnt(14)
	s_clause 0x1
	global_store_b64 v117, v[5:6], s[4:5]
	global_store_b64 v117, v[7:8], s[4:5] offset:1024
	s_waitcnt lgkmcnt(13)
	s_clause 0x1
	global_store_b64 v117, v[9:10], s[4:5] offset:2048
	global_store_b64 v117, v[11:12], s[4:5] offset:3072
	v_add_co_u32 v5, vcc_lo, v73, 0x2000
	v_add_co_ci_u32_e32 v6, vcc_lo, 0, v74, vcc_lo
	v_add_co_u32 v7, vcc_lo, 0x2000, v73
	v_add_co_ci_u32_e32 v8, vcc_lo, 0, v74, vcc_lo
	s_waitcnt lgkmcnt(10)
	s_clause 0x4
	global_store_b64 v[5:6], v[21:22], off
	global_store_b64 v[0:1], v[15:16], off offset:1024
	global_store_b64 v[0:1], v[17:18], off offset:2048
	global_store_b64 v[0:1], v[19:20], off offset:3072
	global_store_b64 v[7:8], v[23:24], off offset:1024
	v_add_co_u32 v0, vcc_lo, 0x3000, v73
	v_add_co_ci_u32_e32 v1, vcc_lo, 0, v74, vcc_lo
	v_add_co_u32 v9, vcc_lo, v73, 0x4000
	v_add_co_ci_u32_e32 v10, vcc_lo, 0, v74, vcc_lo
	;; [unrolled: 2-line block ×3, first 2 shown]
	s_waitcnt lgkmcnt(9)
	s_clause 0x1
	global_store_b64 v[7:8], v[25:26], off offset:2048
	global_store_b64 v[7:8], v[27:28], off offset:3072
	s_waitcnt lgkmcnt(8)
	global_store_b64 v[0:1], v[31:32], off offset:1024
	s_waitcnt lgkmcnt(7)
	s_clause 0x1
	global_store_b64 v[0:1], v[33:34], off offset:2048
	global_store_b64 v[0:1], v[35:36], off offset:3072
	s_waitcnt lgkmcnt(6)
	global_store_b64 v[11:12], v[39:40], off offset:1024
	s_waitcnt lgkmcnt(5)
	s_clause 0x1
	global_store_b64 v[11:12], v[41:42], off offset:2048
	global_store_b64 v[11:12], v[43:44], off offset:3072
	v_add_co_u32 v0, vcc_lo, 0x5000, v73
	v_add_co_ci_u32_e32 v1, vcc_lo, 0, v74, vcc_lo
	v_add_co_u32 v7, vcc_lo, v73, 0x6000
	v_add_co_ci_u32_e32 v8, vcc_lo, 0, v74, vcc_lo
	;; [unrolled: 2-line block ×3, first 2 shown]
	s_clause 0x1
	global_store_b64 v[9:10], v[29:30], off offset:-4096
	global_store_b64 v[9:10], v[37:38], off
	s_waitcnt lgkmcnt(4)
	global_store_b64 v[7:8], v[45:46], off offset:-4096
	s_waitcnt lgkmcnt(2)
	s_clause 0x4
	global_store_b64 v[7:8], v[53:54], off
	global_store_b64 v[0:1], v[47:48], off offset:1024
	global_store_b64 v[0:1], v[49:50], off offset:2048
	;; [unrolled: 1-line block ×4, first 2 shown]
	s_waitcnt lgkmcnt(1)
	s_clause 0x2
	global_store_b64 v[11:12], v[57:58], off offset:2048
	global_store_b64 v[5:6], v[13:14], off offset:-4096
	global_store_b64 v[11:12], v[59:60], off offset:3072
.LBB721_144:
	s_delay_alu instid0(VALU_DEP_1)
	s_and_saveexec_b32 s0, s2
	s_cbranch_execnz .LBB721_146
; %bb.145:
	s_nop 0
	s_sendmsg sendmsg(MSG_DEALLOC_VGPRS)
	s_endpgm
.LBB721_146:
	v_add_co_u32 v0, vcc_lo, 0x7000, v73
	v_add_co_ci_u32_e32 v1, vcc_lo, 0, v74, vcc_lo
	s_waitcnt lgkmcnt(0)
	global_store_b64 v[0:1], v[3:4], off
	s_nop 0
	s_sendmsg sendmsg(MSG_DEALLOC_VGPRS)
	s_endpgm
	.section	.rodata,"a",@progbits
	.p2align	6, 0x0
	.amdhsa_kernel _ZN7rocprim17ROCPRIM_400000_NS6detail17trampoline_kernelINS0_14default_configENS1_35adjacent_difference_config_selectorILb1ExEEZNS1_24adjacent_difference_implIS3_Lb1ELb0EPKxPxN6thrust23THRUST_200600_302600_NS4plusIxEEEE10hipError_tPvRmT2_T3_mT4_P12ihipStream_tbEUlT_E_NS1_11comp_targetILNS1_3genE9ELNS1_11target_archE1100ELNS1_3gpuE3ELNS1_3repE0EEENS1_30default_config_static_selectorELNS0_4arch9wavefront6targetE0EEEvT1_
		.amdhsa_group_segment_fixed_size 29696
		.amdhsa_private_segment_fixed_size 0
		.amdhsa_kernarg_size 56
		.amdhsa_user_sgpr_count 15
		.amdhsa_user_sgpr_dispatch_ptr 0
		.amdhsa_user_sgpr_queue_ptr 0
		.amdhsa_user_sgpr_kernarg_segment_ptr 1
		.amdhsa_user_sgpr_dispatch_id 0
		.amdhsa_user_sgpr_private_segment_size 0
		.amdhsa_wavefront_size32 1
		.amdhsa_uses_dynamic_stack 0
		.amdhsa_enable_private_segment 0
		.amdhsa_system_sgpr_workgroup_id_x 1
		.amdhsa_system_sgpr_workgroup_id_y 0
		.amdhsa_system_sgpr_workgroup_id_z 0
		.amdhsa_system_sgpr_workgroup_info 0
		.amdhsa_system_vgpr_workitem_id 0
		.amdhsa_next_free_vgpr 122
		.amdhsa_next_free_sgpr 26
		.amdhsa_reserve_vcc 1
		.amdhsa_float_round_mode_32 0
		.amdhsa_float_round_mode_16_64 0
		.amdhsa_float_denorm_mode_32 3
		.amdhsa_float_denorm_mode_16_64 3
		.amdhsa_dx10_clamp 1
		.amdhsa_ieee_mode 1
		.amdhsa_fp16_overflow 0
		.amdhsa_workgroup_processor_mode 1
		.amdhsa_memory_ordered 1
		.amdhsa_forward_progress 0
		.amdhsa_shared_vgpr_count 0
		.amdhsa_exception_fp_ieee_invalid_op 0
		.amdhsa_exception_fp_denorm_src 0
		.amdhsa_exception_fp_ieee_div_zero 0
		.amdhsa_exception_fp_ieee_overflow 0
		.amdhsa_exception_fp_ieee_underflow 0
		.amdhsa_exception_fp_ieee_inexact 0
		.amdhsa_exception_int_div_zero 0
	.end_amdhsa_kernel
	.section	.text._ZN7rocprim17ROCPRIM_400000_NS6detail17trampoline_kernelINS0_14default_configENS1_35adjacent_difference_config_selectorILb1ExEEZNS1_24adjacent_difference_implIS3_Lb1ELb0EPKxPxN6thrust23THRUST_200600_302600_NS4plusIxEEEE10hipError_tPvRmT2_T3_mT4_P12ihipStream_tbEUlT_E_NS1_11comp_targetILNS1_3genE9ELNS1_11target_archE1100ELNS1_3gpuE3ELNS1_3repE0EEENS1_30default_config_static_selectorELNS0_4arch9wavefront6targetE0EEEvT1_,"axG",@progbits,_ZN7rocprim17ROCPRIM_400000_NS6detail17trampoline_kernelINS0_14default_configENS1_35adjacent_difference_config_selectorILb1ExEEZNS1_24adjacent_difference_implIS3_Lb1ELb0EPKxPxN6thrust23THRUST_200600_302600_NS4plusIxEEEE10hipError_tPvRmT2_T3_mT4_P12ihipStream_tbEUlT_E_NS1_11comp_targetILNS1_3genE9ELNS1_11target_archE1100ELNS1_3gpuE3ELNS1_3repE0EEENS1_30default_config_static_selectorELNS0_4arch9wavefront6targetE0EEEvT1_,comdat
.Lfunc_end721:
	.size	_ZN7rocprim17ROCPRIM_400000_NS6detail17trampoline_kernelINS0_14default_configENS1_35adjacent_difference_config_selectorILb1ExEEZNS1_24adjacent_difference_implIS3_Lb1ELb0EPKxPxN6thrust23THRUST_200600_302600_NS4plusIxEEEE10hipError_tPvRmT2_T3_mT4_P12ihipStream_tbEUlT_E_NS1_11comp_targetILNS1_3genE9ELNS1_11target_archE1100ELNS1_3gpuE3ELNS1_3repE0EEENS1_30default_config_static_selectorELNS0_4arch9wavefront6targetE0EEEvT1_, .Lfunc_end721-_ZN7rocprim17ROCPRIM_400000_NS6detail17trampoline_kernelINS0_14default_configENS1_35adjacent_difference_config_selectorILb1ExEEZNS1_24adjacent_difference_implIS3_Lb1ELb0EPKxPxN6thrust23THRUST_200600_302600_NS4plusIxEEEE10hipError_tPvRmT2_T3_mT4_P12ihipStream_tbEUlT_E_NS1_11comp_targetILNS1_3genE9ELNS1_11target_archE1100ELNS1_3gpuE3ELNS1_3repE0EEENS1_30default_config_static_selectorELNS0_4arch9wavefront6targetE0EEEvT1_
                                        ; -- End function
	.section	.AMDGPU.csdata,"",@progbits
; Kernel info:
; codeLenInByte = 8252
; NumSgprs: 28
; NumVgprs: 122
; ScratchSize: 0
; MemoryBound: 0
; FloatMode: 240
; IeeeMode: 1
; LDSByteSize: 29696 bytes/workgroup (compile time only)
; SGPRBlocks: 3
; VGPRBlocks: 15
; NumSGPRsForWavesPerEU: 28
; NumVGPRsForWavesPerEU: 122
; Occupancy: 4
; WaveLimiterHint : 1
; COMPUTE_PGM_RSRC2:SCRATCH_EN: 0
; COMPUTE_PGM_RSRC2:USER_SGPR: 15
; COMPUTE_PGM_RSRC2:TRAP_HANDLER: 0
; COMPUTE_PGM_RSRC2:TGID_X_EN: 1
; COMPUTE_PGM_RSRC2:TGID_Y_EN: 0
; COMPUTE_PGM_RSRC2:TGID_Z_EN: 0
; COMPUTE_PGM_RSRC2:TIDIG_COMP_CNT: 0
	.section	.text._ZN7rocprim17ROCPRIM_400000_NS6detail17trampoline_kernelINS0_14default_configENS1_35adjacent_difference_config_selectorILb1ExEEZNS1_24adjacent_difference_implIS3_Lb1ELb0EPKxPxN6thrust23THRUST_200600_302600_NS4plusIxEEEE10hipError_tPvRmT2_T3_mT4_P12ihipStream_tbEUlT_E_NS1_11comp_targetILNS1_3genE8ELNS1_11target_archE1030ELNS1_3gpuE2ELNS1_3repE0EEENS1_30default_config_static_selectorELNS0_4arch9wavefront6targetE0EEEvT1_,"axG",@progbits,_ZN7rocprim17ROCPRIM_400000_NS6detail17trampoline_kernelINS0_14default_configENS1_35adjacent_difference_config_selectorILb1ExEEZNS1_24adjacent_difference_implIS3_Lb1ELb0EPKxPxN6thrust23THRUST_200600_302600_NS4plusIxEEEE10hipError_tPvRmT2_T3_mT4_P12ihipStream_tbEUlT_E_NS1_11comp_targetILNS1_3genE8ELNS1_11target_archE1030ELNS1_3gpuE2ELNS1_3repE0EEENS1_30default_config_static_selectorELNS0_4arch9wavefront6targetE0EEEvT1_,comdat
	.protected	_ZN7rocprim17ROCPRIM_400000_NS6detail17trampoline_kernelINS0_14default_configENS1_35adjacent_difference_config_selectorILb1ExEEZNS1_24adjacent_difference_implIS3_Lb1ELb0EPKxPxN6thrust23THRUST_200600_302600_NS4plusIxEEEE10hipError_tPvRmT2_T3_mT4_P12ihipStream_tbEUlT_E_NS1_11comp_targetILNS1_3genE8ELNS1_11target_archE1030ELNS1_3gpuE2ELNS1_3repE0EEENS1_30default_config_static_selectorELNS0_4arch9wavefront6targetE0EEEvT1_ ; -- Begin function _ZN7rocprim17ROCPRIM_400000_NS6detail17trampoline_kernelINS0_14default_configENS1_35adjacent_difference_config_selectorILb1ExEEZNS1_24adjacent_difference_implIS3_Lb1ELb0EPKxPxN6thrust23THRUST_200600_302600_NS4plusIxEEEE10hipError_tPvRmT2_T3_mT4_P12ihipStream_tbEUlT_E_NS1_11comp_targetILNS1_3genE8ELNS1_11target_archE1030ELNS1_3gpuE2ELNS1_3repE0EEENS1_30default_config_static_selectorELNS0_4arch9wavefront6targetE0EEEvT1_
	.globl	_ZN7rocprim17ROCPRIM_400000_NS6detail17trampoline_kernelINS0_14default_configENS1_35adjacent_difference_config_selectorILb1ExEEZNS1_24adjacent_difference_implIS3_Lb1ELb0EPKxPxN6thrust23THRUST_200600_302600_NS4plusIxEEEE10hipError_tPvRmT2_T3_mT4_P12ihipStream_tbEUlT_E_NS1_11comp_targetILNS1_3genE8ELNS1_11target_archE1030ELNS1_3gpuE2ELNS1_3repE0EEENS1_30default_config_static_selectorELNS0_4arch9wavefront6targetE0EEEvT1_
	.p2align	8
	.type	_ZN7rocprim17ROCPRIM_400000_NS6detail17trampoline_kernelINS0_14default_configENS1_35adjacent_difference_config_selectorILb1ExEEZNS1_24adjacent_difference_implIS3_Lb1ELb0EPKxPxN6thrust23THRUST_200600_302600_NS4plusIxEEEE10hipError_tPvRmT2_T3_mT4_P12ihipStream_tbEUlT_E_NS1_11comp_targetILNS1_3genE8ELNS1_11target_archE1030ELNS1_3gpuE2ELNS1_3repE0EEENS1_30default_config_static_selectorELNS0_4arch9wavefront6targetE0EEEvT1_,@function
_ZN7rocprim17ROCPRIM_400000_NS6detail17trampoline_kernelINS0_14default_configENS1_35adjacent_difference_config_selectorILb1ExEEZNS1_24adjacent_difference_implIS3_Lb1ELb0EPKxPxN6thrust23THRUST_200600_302600_NS4plusIxEEEE10hipError_tPvRmT2_T3_mT4_P12ihipStream_tbEUlT_E_NS1_11comp_targetILNS1_3genE8ELNS1_11target_archE1030ELNS1_3gpuE2ELNS1_3repE0EEENS1_30default_config_static_selectorELNS0_4arch9wavefront6targetE0EEEvT1_: ; @_ZN7rocprim17ROCPRIM_400000_NS6detail17trampoline_kernelINS0_14default_configENS1_35adjacent_difference_config_selectorILb1ExEEZNS1_24adjacent_difference_implIS3_Lb1ELb0EPKxPxN6thrust23THRUST_200600_302600_NS4plusIxEEEE10hipError_tPvRmT2_T3_mT4_P12ihipStream_tbEUlT_E_NS1_11comp_targetILNS1_3genE8ELNS1_11target_archE1030ELNS1_3gpuE2ELNS1_3repE0EEENS1_30default_config_static_selectorELNS0_4arch9wavefront6targetE0EEEvT1_
; %bb.0:
	.section	.rodata,"a",@progbits
	.p2align	6, 0x0
	.amdhsa_kernel _ZN7rocprim17ROCPRIM_400000_NS6detail17trampoline_kernelINS0_14default_configENS1_35adjacent_difference_config_selectorILb1ExEEZNS1_24adjacent_difference_implIS3_Lb1ELb0EPKxPxN6thrust23THRUST_200600_302600_NS4plusIxEEEE10hipError_tPvRmT2_T3_mT4_P12ihipStream_tbEUlT_E_NS1_11comp_targetILNS1_3genE8ELNS1_11target_archE1030ELNS1_3gpuE2ELNS1_3repE0EEENS1_30default_config_static_selectorELNS0_4arch9wavefront6targetE0EEEvT1_
		.amdhsa_group_segment_fixed_size 0
		.amdhsa_private_segment_fixed_size 0
		.amdhsa_kernarg_size 56
		.amdhsa_user_sgpr_count 15
		.amdhsa_user_sgpr_dispatch_ptr 0
		.amdhsa_user_sgpr_queue_ptr 0
		.amdhsa_user_sgpr_kernarg_segment_ptr 1
		.amdhsa_user_sgpr_dispatch_id 0
		.amdhsa_user_sgpr_private_segment_size 0
		.amdhsa_wavefront_size32 1
		.amdhsa_uses_dynamic_stack 0
		.amdhsa_enable_private_segment 0
		.amdhsa_system_sgpr_workgroup_id_x 1
		.amdhsa_system_sgpr_workgroup_id_y 0
		.amdhsa_system_sgpr_workgroup_id_z 0
		.amdhsa_system_sgpr_workgroup_info 0
		.amdhsa_system_vgpr_workitem_id 0
		.amdhsa_next_free_vgpr 1
		.amdhsa_next_free_sgpr 1
		.amdhsa_reserve_vcc 0
		.amdhsa_float_round_mode_32 0
		.amdhsa_float_round_mode_16_64 0
		.amdhsa_float_denorm_mode_32 3
		.amdhsa_float_denorm_mode_16_64 3
		.amdhsa_dx10_clamp 1
		.amdhsa_ieee_mode 1
		.amdhsa_fp16_overflow 0
		.amdhsa_workgroup_processor_mode 1
		.amdhsa_memory_ordered 1
		.amdhsa_forward_progress 0
		.amdhsa_shared_vgpr_count 0
		.amdhsa_exception_fp_ieee_invalid_op 0
		.amdhsa_exception_fp_denorm_src 0
		.amdhsa_exception_fp_ieee_div_zero 0
		.amdhsa_exception_fp_ieee_overflow 0
		.amdhsa_exception_fp_ieee_underflow 0
		.amdhsa_exception_fp_ieee_inexact 0
		.amdhsa_exception_int_div_zero 0
	.end_amdhsa_kernel
	.section	.text._ZN7rocprim17ROCPRIM_400000_NS6detail17trampoline_kernelINS0_14default_configENS1_35adjacent_difference_config_selectorILb1ExEEZNS1_24adjacent_difference_implIS3_Lb1ELb0EPKxPxN6thrust23THRUST_200600_302600_NS4plusIxEEEE10hipError_tPvRmT2_T3_mT4_P12ihipStream_tbEUlT_E_NS1_11comp_targetILNS1_3genE8ELNS1_11target_archE1030ELNS1_3gpuE2ELNS1_3repE0EEENS1_30default_config_static_selectorELNS0_4arch9wavefront6targetE0EEEvT1_,"axG",@progbits,_ZN7rocprim17ROCPRIM_400000_NS6detail17trampoline_kernelINS0_14default_configENS1_35adjacent_difference_config_selectorILb1ExEEZNS1_24adjacent_difference_implIS3_Lb1ELb0EPKxPxN6thrust23THRUST_200600_302600_NS4plusIxEEEE10hipError_tPvRmT2_T3_mT4_P12ihipStream_tbEUlT_E_NS1_11comp_targetILNS1_3genE8ELNS1_11target_archE1030ELNS1_3gpuE2ELNS1_3repE0EEENS1_30default_config_static_selectorELNS0_4arch9wavefront6targetE0EEEvT1_,comdat
.Lfunc_end722:
	.size	_ZN7rocprim17ROCPRIM_400000_NS6detail17trampoline_kernelINS0_14default_configENS1_35adjacent_difference_config_selectorILb1ExEEZNS1_24adjacent_difference_implIS3_Lb1ELb0EPKxPxN6thrust23THRUST_200600_302600_NS4plusIxEEEE10hipError_tPvRmT2_T3_mT4_P12ihipStream_tbEUlT_E_NS1_11comp_targetILNS1_3genE8ELNS1_11target_archE1030ELNS1_3gpuE2ELNS1_3repE0EEENS1_30default_config_static_selectorELNS0_4arch9wavefront6targetE0EEEvT1_, .Lfunc_end722-_ZN7rocprim17ROCPRIM_400000_NS6detail17trampoline_kernelINS0_14default_configENS1_35adjacent_difference_config_selectorILb1ExEEZNS1_24adjacent_difference_implIS3_Lb1ELb0EPKxPxN6thrust23THRUST_200600_302600_NS4plusIxEEEE10hipError_tPvRmT2_T3_mT4_P12ihipStream_tbEUlT_E_NS1_11comp_targetILNS1_3genE8ELNS1_11target_archE1030ELNS1_3gpuE2ELNS1_3repE0EEENS1_30default_config_static_selectorELNS0_4arch9wavefront6targetE0EEEvT1_
                                        ; -- End function
	.section	.AMDGPU.csdata,"",@progbits
; Kernel info:
; codeLenInByte = 0
; NumSgprs: 0
; NumVgprs: 0
; ScratchSize: 0
; MemoryBound: 0
; FloatMode: 240
; IeeeMode: 1
; LDSByteSize: 0 bytes/workgroup (compile time only)
; SGPRBlocks: 0
; VGPRBlocks: 0
; NumSGPRsForWavesPerEU: 1
; NumVGPRsForWavesPerEU: 1
; Occupancy: 16
; WaveLimiterHint : 0
; COMPUTE_PGM_RSRC2:SCRATCH_EN: 0
; COMPUTE_PGM_RSRC2:USER_SGPR: 15
; COMPUTE_PGM_RSRC2:TRAP_HANDLER: 0
; COMPUTE_PGM_RSRC2:TGID_X_EN: 1
; COMPUTE_PGM_RSRC2:TGID_Y_EN: 0
; COMPUTE_PGM_RSRC2:TGID_Z_EN: 0
; COMPUTE_PGM_RSRC2:TIDIG_COMP_CNT: 0
	.section	.text._ZN7rocprim17ROCPRIM_400000_NS6detail17trampoline_kernelINS0_14default_configENS1_35adjacent_difference_config_selectorILb0EiEEZNS1_24adjacent_difference_implIS3_Lb0ELb0EPKiPiN6thrust23THRUST_200600_302600_NS4plusIiEEEE10hipError_tPvRmT2_T3_mT4_P12ihipStream_tbEUlT_E_NS1_11comp_targetILNS1_3genE0ELNS1_11target_archE4294967295ELNS1_3gpuE0ELNS1_3repE0EEENS1_30default_config_static_selectorELNS0_4arch9wavefront6targetE0EEEvT1_,"axG",@progbits,_ZN7rocprim17ROCPRIM_400000_NS6detail17trampoline_kernelINS0_14default_configENS1_35adjacent_difference_config_selectorILb0EiEEZNS1_24adjacent_difference_implIS3_Lb0ELb0EPKiPiN6thrust23THRUST_200600_302600_NS4plusIiEEEE10hipError_tPvRmT2_T3_mT4_P12ihipStream_tbEUlT_E_NS1_11comp_targetILNS1_3genE0ELNS1_11target_archE4294967295ELNS1_3gpuE0ELNS1_3repE0EEENS1_30default_config_static_selectorELNS0_4arch9wavefront6targetE0EEEvT1_,comdat
	.protected	_ZN7rocprim17ROCPRIM_400000_NS6detail17trampoline_kernelINS0_14default_configENS1_35adjacent_difference_config_selectorILb0EiEEZNS1_24adjacent_difference_implIS3_Lb0ELb0EPKiPiN6thrust23THRUST_200600_302600_NS4plusIiEEEE10hipError_tPvRmT2_T3_mT4_P12ihipStream_tbEUlT_E_NS1_11comp_targetILNS1_3genE0ELNS1_11target_archE4294967295ELNS1_3gpuE0ELNS1_3repE0EEENS1_30default_config_static_selectorELNS0_4arch9wavefront6targetE0EEEvT1_ ; -- Begin function _ZN7rocprim17ROCPRIM_400000_NS6detail17trampoline_kernelINS0_14default_configENS1_35adjacent_difference_config_selectorILb0EiEEZNS1_24adjacent_difference_implIS3_Lb0ELb0EPKiPiN6thrust23THRUST_200600_302600_NS4plusIiEEEE10hipError_tPvRmT2_T3_mT4_P12ihipStream_tbEUlT_E_NS1_11comp_targetILNS1_3genE0ELNS1_11target_archE4294967295ELNS1_3gpuE0ELNS1_3repE0EEENS1_30default_config_static_selectorELNS0_4arch9wavefront6targetE0EEEvT1_
	.globl	_ZN7rocprim17ROCPRIM_400000_NS6detail17trampoline_kernelINS0_14default_configENS1_35adjacent_difference_config_selectorILb0EiEEZNS1_24adjacent_difference_implIS3_Lb0ELb0EPKiPiN6thrust23THRUST_200600_302600_NS4plusIiEEEE10hipError_tPvRmT2_T3_mT4_P12ihipStream_tbEUlT_E_NS1_11comp_targetILNS1_3genE0ELNS1_11target_archE4294967295ELNS1_3gpuE0ELNS1_3repE0EEENS1_30default_config_static_selectorELNS0_4arch9wavefront6targetE0EEEvT1_
	.p2align	8
	.type	_ZN7rocprim17ROCPRIM_400000_NS6detail17trampoline_kernelINS0_14default_configENS1_35adjacent_difference_config_selectorILb0EiEEZNS1_24adjacent_difference_implIS3_Lb0ELb0EPKiPiN6thrust23THRUST_200600_302600_NS4plusIiEEEE10hipError_tPvRmT2_T3_mT4_P12ihipStream_tbEUlT_E_NS1_11comp_targetILNS1_3genE0ELNS1_11target_archE4294967295ELNS1_3gpuE0ELNS1_3repE0EEENS1_30default_config_static_selectorELNS0_4arch9wavefront6targetE0EEEvT1_,@function
_ZN7rocprim17ROCPRIM_400000_NS6detail17trampoline_kernelINS0_14default_configENS1_35adjacent_difference_config_selectorILb0EiEEZNS1_24adjacent_difference_implIS3_Lb0ELb0EPKiPiN6thrust23THRUST_200600_302600_NS4plusIiEEEE10hipError_tPvRmT2_T3_mT4_P12ihipStream_tbEUlT_E_NS1_11comp_targetILNS1_3genE0ELNS1_11target_archE4294967295ELNS1_3gpuE0ELNS1_3repE0EEENS1_30default_config_static_selectorELNS0_4arch9wavefront6targetE0EEEvT1_: ; @_ZN7rocprim17ROCPRIM_400000_NS6detail17trampoline_kernelINS0_14default_configENS1_35adjacent_difference_config_selectorILb0EiEEZNS1_24adjacent_difference_implIS3_Lb0ELb0EPKiPiN6thrust23THRUST_200600_302600_NS4plusIiEEEE10hipError_tPvRmT2_T3_mT4_P12ihipStream_tbEUlT_E_NS1_11comp_targetILNS1_3genE0ELNS1_11target_archE4294967295ELNS1_3gpuE0ELNS1_3repE0EEENS1_30default_config_static_selectorELNS0_4arch9wavefront6targetE0EEEvT1_
; %bb.0:
	.section	.rodata,"a",@progbits
	.p2align	6, 0x0
	.amdhsa_kernel _ZN7rocprim17ROCPRIM_400000_NS6detail17trampoline_kernelINS0_14default_configENS1_35adjacent_difference_config_selectorILb0EiEEZNS1_24adjacent_difference_implIS3_Lb0ELb0EPKiPiN6thrust23THRUST_200600_302600_NS4plusIiEEEE10hipError_tPvRmT2_T3_mT4_P12ihipStream_tbEUlT_E_NS1_11comp_targetILNS1_3genE0ELNS1_11target_archE4294967295ELNS1_3gpuE0ELNS1_3repE0EEENS1_30default_config_static_selectorELNS0_4arch9wavefront6targetE0EEEvT1_
		.amdhsa_group_segment_fixed_size 0
		.amdhsa_private_segment_fixed_size 0
		.amdhsa_kernarg_size 56
		.amdhsa_user_sgpr_count 15
		.amdhsa_user_sgpr_dispatch_ptr 0
		.amdhsa_user_sgpr_queue_ptr 0
		.amdhsa_user_sgpr_kernarg_segment_ptr 1
		.amdhsa_user_sgpr_dispatch_id 0
		.amdhsa_user_sgpr_private_segment_size 0
		.amdhsa_wavefront_size32 1
		.amdhsa_uses_dynamic_stack 0
		.amdhsa_enable_private_segment 0
		.amdhsa_system_sgpr_workgroup_id_x 1
		.amdhsa_system_sgpr_workgroup_id_y 0
		.amdhsa_system_sgpr_workgroup_id_z 0
		.amdhsa_system_sgpr_workgroup_info 0
		.amdhsa_system_vgpr_workitem_id 0
		.amdhsa_next_free_vgpr 1
		.amdhsa_next_free_sgpr 1
		.amdhsa_reserve_vcc 0
		.amdhsa_float_round_mode_32 0
		.amdhsa_float_round_mode_16_64 0
		.amdhsa_float_denorm_mode_32 3
		.amdhsa_float_denorm_mode_16_64 3
		.amdhsa_dx10_clamp 1
		.amdhsa_ieee_mode 1
		.amdhsa_fp16_overflow 0
		.amdhsa_workgroup_processor_mode 1
		.amdhsa_memory_ordered 1
		.amdhsa_forward_progress 0
		.amdhsa_shared_vgpr_count 0
		.amdhsa_exception_fp_ieee_invalid_op 0
		.amdhsa_exception_fp_denorm_src 0
		.amdhsa_exception_fp_ieee_div_zero 0
		.amdhsa_exception_fp_ieee_overflow 0
		.amdhsa_exception_fp_ieee_underflow 0
		.amdhsa_exception_fp_ieee_inexact 0
		.amdhsa_exception_int_div_zero 0
	.end_amdhsa_kernel
	.section	.text._ZN7rocprim17ROCPRIM_400000_NS6detail17trampoline_kernelINS0_14default_configENS1_35adjacent_difference_config_selectorILb0EiEEZNS1_24adjacent_difference_implIS3_Lb0ELb0EPKiPiN6thrust23THRUST_200600_302600_NS4plusIiEEEE10hipError_tPvRmT2_T3_mT4_P12ihipStream_tbEUlT_E_NS1_11comp_targetILNS1_3genE0ELNS1_11target_archE4294967295ELNS1_3gpuE0ELNS1_3repE0EEENS1_30default_config_static_selectorELNS0_4arch9wavefront6targetE0EEEvT1_,"axG",@progbits,_ZN7rocprim17ROCPRIM_400000_NS6detail17trampoline_kernelINS0_14default_configENS1_35adjacent_difference_config_selectorILb0EiEEZNS1_24adjacent_difference_implIS3_Lb0ELb0EPKiPiN6thrust23THRUST_200600_302600_NS4plusIiEEEE10hipError_tPvRmT2_T3_mT4_P12ihipStream_tbEUlT_E_NS1_11comp_targetILNS1_3genE0ELNS1_11target_archE4294967295ELNS1_3gpuE0ELNS1_3repE0EEENS1_30default_config_static_selectorELNS0_4arch9wavefront6targetE0EEEvT1_,comdat
.Lfunc_end723:
	.size	_ZN7rocprim17ROCPRIM_400000_NS6detail17trampoline_kernelINS0_14default_configENS1_35adjacent_difference_config_selectorILb0EiEEZNS1_24adjacent_difference_implIS3_Lb0ELb0EPKiPiN6thrust23THRUST_200600_302600_NS4plusIiEEEE10hipError_tPvRmT2_T3_mT4_P12ihipStream_tbEUlT_E_NS1_11comp_targetILNS1_3genE0ELNS1_11target_archE4294967295ELNS1_3gpuE0ELNS1_3repE0EEENS1_30default_config_static_selectorELNS0_4arch9wavefront6targetE0EEEvT1_, .Lfunc_end723-_ZN7rocprim17ROCPRIM_400000_NS6detail17trampoline_kernelINS0_14default_configENS1_35adjacent_difference_config_selectorILb0EiEEZNS1_24adjacent_difference_implIS3_Lb0ELb0EPKiPiN6thrust23THRUST_200600_302600_NS4plusIiEEEE10hipError_tPvRmT2_T3_mT4_P12ihipStream_tbEUlT_E_NS1_11comp_targetILNS1_3genE0ELNS1_11target_archE4294967295ELNS1_3gpuE0ELNS1_3repE0EEENS1_30default_config_static_selectorELNS0_4arch9wavefront6targetE0EEEvT1_
                                        ; -- End function
	.section	.AMDGPU.csdata,"",@progbits
; Kernel info:
; codeLenInByte = 0
; NumSgprs: 0
; NumVgprs: 0
; ScratchSize: 0
; MemoryBound: 0
; FloatMode: 240
; IeeeMode: 1
; LDSByteSize: 0 bytes/workgroup (compile time only)
; SGPRBlocks: 0
; VGPRBlocks: 0
; NumSGPRsForWavesPerEU: 1
; NumVGPRsForWavesPerEU: 1
; Occupancy: 16
; WaveLimiterHint : 0
; COMPUTE_PGM_RSRC2:SCRATCH_EN: 0
; COMPUTE_PGM_RSRC2:USER_SGPR: 15
; COMPUTE_PGM_RSRC2:TRAP_HANDLER: 0
; COMPUTE_PGM_RSRC2:TGID_X_EN: 1
; COMPUTE_PGM_RSRC2:TGID_Y_EN: 0
; COMPUTE_PGM_RSRC2:TGID_Z_EN: 0
; COMPUTE_PGM_RSRC2:TIDIG_COMP_CNT: 0
	.section	.text._ZN7rocprim17ROCPRIM_400000_NS6detail17trampoline_kernelINS0_14default_configENS1_35adjacent_difference_config_selectorILb0EiEEZNS1_24adjacent_difference_implIS3_Lb0ELb0EPKiPiN6thrust23THRUST_200600_302600_NS4plusIiEEEE10hipError_tPvRmT2_T3_mT4_P12ihipStream_tbEUlT_E_NS1_11comp_targetILNS1_3genE10ELNS1_11target_archE1201ELNS1_3gpuE5ELNS1_3repE0EEENS1_30default_config_static_selectorELNS0_4arch9wavefront6targetE0EEEvT1_,"axG",@progbits,_ZN7rocprim17ROCPRIM_400000_NS6detail17trampoline_kernelINS0_14default_configENS1_35adjacent_difference_config_selectorILb0EiEEZNS1_24adjacent_difference_implIS3_Lb0ELb0EPKiPiN6thrust23THRUST_200600_302600_NS4plusIiEEEE10hipError_tPvRmT2_T3_mT4_P12ihipStream_tbEUlT_E_NS1_11comp_targetILNS1_3genE10ELNS1_11target_archE1201ELNS1_3gpuE5ELNS1_3repE0EEENS1_30default_config_static_selectorELNS0_4arch9wavefront6targetE0EEEvT1_,comdat
	.protected	_ZN7rocprim17ROCPRIM_400000_NS6detail17trampoline_kernelINS0_14default_configENS1_35adjacent_difference_config_selectorILb0EiEEZNS1_24adjacent_difference_implIS3_Lb0ELb0EPKiPiN6thrust23THRUST_200600_302600_NS4plusIiEEEE10hipError_tPvRmT2_T3_mT4_P12ihipStream_tbEUlT_E_NS1_11comp_targetILNS1_3genE10ELNS1_11target_archE1201ELNS1_3gpuE5ELNS1_3repE0EEENS1_30default_config_static_selectorELNS0_4arch9wavefront6targetE0EEEvT1_ ; -- Begin function _ZN7rocprim17ROCPRIM_400000_NS6detail17trampoline_kernelINS0_14default_configENS1_35adjacent_difference_config_selectorILb0EiEEZNS1_24adjacent_difference_implIS3_Lb0ELb0EPKiPiN6thrust23THRUST_200600_302600_NS4plusIiEEEE10hipError_tPvRmT2_T3_mT4_P12ihipStream_tbEUlT_E_NS1_11comp_targetILNS1_3genE10ELNS1_11target_archE1201ELNS1_3gpuE5ELNS1_3repE0EEENS1_30default_config_static_selectorELNS0_4arch9wavefront6targetE0EEEvT1_
	.globl	_ZN7rocprim17ROCPRIM_400000_NS6detail17trampoline_kernelINS0_14default_configENS1_35adjacent_difference_config_selectorILb0EiEEZNS1_24adjacent_difference_implIS3_Lb0ELb0EPKiPiN6thrust23THRUST_200600_302600_NS4plusIiEEEE10hipError_tPvRmT2_T3_mT4_P12ihipStream_tbEUlT_E_NS1_11comp_targetILNS1_3genE10ELNS1_11target_archE1201ELNS1_3gpuE5ELNS1_3repE0EEENS1_30default_config_static_selectorELNS0_4arch9wavefront6targetE0EEEvT1_
	.p2align	8
	.type	_ZN7rocprim17ROCPRIM_400000_NS6detail17trampoline_kernelINS0_14default_configENS1_35adjacent_difference_config_selectorILb0EiEEZNS1_24adjacent_difference_implIS3_Lb0ELb0EPKiPiN6thrust23THRUST_200600_302600_NS4plusIiEEEE10hipError_tPvRmT2_T3_mT4_P12ihipStream_tbEUlT_E_NS1_11comp_targetILNS1_3genE10ELNS1_11target_archE1201ELNS1_3gpuE5ELNS1_3repE0EEENS1_30default_config_static_selectorELNS0_4arch9wavefront6targetE0EEEvT1_,@function
_ZN7rocprim17ROCPRIM_400000_NS6detail17trampoline_kernelINS0_14default_configENS1_35adjacent_difference_config_selectorILb0EiEEZNS1_24adjacent_difference_implIS3_Lb0ELb0EPKiPiN6thrust23THRUST_200600_302600_NS4plusIiEEEE10hipError_tPvRmT2_T3_mT4_P12ihipStream_tbEUlT_E_NS1_11comp_targetILNS1_3genE10ELNS1_11target_archE1201ELNS1_3gpuE5ELNS1_3repE0EEENS1_30default_config_static_selectorELNS0_4arch9wavefront6targetE0EEEvT1_: ; @_ZN7rocprim17ROCPRIM_400000_NS6detail17trampoline_kernelINS0_14default_configENS1_35adjacent_difference_config_selectorILb0EiEEZNS1_24adjacent_difference_implIS3_Lb0ELb0EPKiPiN6thrust23THRUST_200600_302600_NS4plusIiEEEE10hipError_tPvRmT2_T3_mT4_P12ihipStream_tbEUlT_E_NS1_11comp_targetILNS1_3genE10ELNS1_11target_archE1201ELNS1_3gpuE5ELNS1_3repE0EEENS1_30default_config_static_selectorELNS0_4arch9wavefront6targetE0EEEvT1_
; %bb.0:
	.section	.rodata,"a",@progbits
	.p2align	6, 0x0
	.amdhsa_kernel _ZN7rocprim17ROCPRIM_400000_NS6detail17trampoline_kernelINS0_14default_configENS1_35adjacent_difference_config_selectorILb0EiEEZNS1_24adjacent_difference_implIS3_Lb0ELb0EPKiPiN6thrust23THRUST_200600_302600_NS4plusIiEEEE10hipError_tPvRmT2_T3_mT4_P12ihipStream_tbEUlT_E_NS1_11comp_targetILNS1_3genE10ELNS1_11target_archE1201ELNS1_3gpuE5ELNS1_3repE0EEENS1_30default_config_static_selectorELNS0_4arch9wavefront6targetE0EEEvT1_
		.amdhsa_group_segment_fixed_size 0
		.amdhsa_private_segment_fixed_size 0
		.amdhsa_kernarg_size 56
		.amdhsa_user_sgpr_count 15
		.amdhsa_user_sgpr_dispatch_ptr 0
		.amdhsa_user_sgpr_queue_ptr 0
		.amdhsa_user_sgpr_kernarg_segment_ptr 1
		.amdhsa_user_sgpr_dispatch_id 0
		.amdhsa_user_sgpr_private_segment_size 0
		.amdhsa_wavefront_size32 1
		.amdhsa_uses_dynamic_stack 0
		.amdhsa_enable_private_segment 0
		.amdhsa_system_sgpr_workgroup_id_x 1
		.amdhsa_system_sgpr_workgroup_id_y 0
		.amdhsa_system_sgpr_workgroup_id_z 0
		.amdhsa_system_sgpr_workgroup_info 0
		.amdhsa_system_vgpr_workitem_id 0
		.amdhsa_next_free_vgpr 1
		.amdhsa_next_free_sgpr 1
		.amdhsa_reserve_vcc 0
		.amdhsa_float_round_mode_32 0
		.amdhsa_float_round_mode_16_64 0
		.amdhsa_float_denorm_mode_32 3
		.amdhsa_float_denorm_mode_16_64 3
		.amdhsa_dx10_clamp 1
		.amdhsa_ieee_mode 1
		.amdhsa_fp16_overflow 0
		.amdhsa_workgroup_processor_mode 1
		.amdhsa_memory_ordered 1
		.amdhsa_forward_progress 0
		.amdhsa_shared_vgpr_count 0
		.amdhsa_exception_fp_ieee_invalid_op 0
		.amdhsa_exception_fp_denorm_src 0
		.amdhsa_exception_fp_ieee_div_zero 0
		.amdhsa_exception_fp_ieee_overflow 0
		.amdhsa_exception_fp_ieee_underflow 0
		.amdhsa_exception_fp_ieee_inexact 0
		.amdhsa_exception_int_div_zero 0
	.end_amdhsa_kernel
	.section	.text._ZN7rocprim17ROCPRIM_400000_NS6detail17trampoline_kernelINS0_14default_configENS1_35adjacent_difference_config_selectorILb0EiEEZNS1_24adjacent_difference_implIS3_Lb0ELb0EPKiPiN6thrust23THRUST_200600_302600_NS4plusIiEEEE10hipError_tPvRmT2_T3_mT4_P12ihipStream_tbEUlT_E_NS1_11comp_targetILNS1_3genE10ELNS1_11target_archE1201ELNS1_3gpuE5ELNS1_3repE0EEENS1_30default_config_static_selectorELNS0_4arch9wavefront6targetE0EEEvT1_,"axG",@progbits,_ZN7rocprim17ROCPRIM_400000_NS6detail17trampoline_kernelINS0_14default_configENS1_35adjacent_difference_config_selectorILb0EiEEZNS1_24adjacent_difference_implIS3_Lb0ELb0EPKiPiN6thrust23THRUST_200600_302600_NS4plusIiEEEE10hipError_tPvRmT2_T3_mT4_P12ihipStream_tbEUlT_E_NS1_11comp_targetILNS1_3genE10ELNS1_11target_archE1201ELNS1_3gpuE5ELNS1_3repE0EEENS1_30default_config_static_selectorELNS0_4arch9wavefront6targetE0EEEvT1_,comdat
.Lfunc_end724:
	.size	_ZN7rocprim17ROCPRIM_400000_NS6detail17trampoline_kernelINS0_14default_configENS1_35adjacent_difference_config_selectorILb0EiEEZNS1_24adjacent_difference_implIS3_Lb0ELb0EPKiPiN6thrust23THRUST_200600_302600_NS4plusIiEEEE10hipError_tPvRmT2_T3_mT4_P12ihipStream_tbEUlT_E_NS1_11comp_targetILNS1_3genE10ELNS1_11target_archE1201ELNS1_3gpuE5ELNS1_3repE0EEENS1_30default_config_static_selectorELNS0_4arch9wavefront6targetE0EEEvT1_, .Lfunc_end724-_ZN7rocprim17ROCPRIM_400000_NS6detail17trampoline_kernelINS0_14default_configENS1_35adjacent_difference_config_selectorILb0EiEEZNS1_24adjacent_difference_implIS3_Lb0ELb0EPKiPiN6thrust23THRUST_200600_302600_NS4plusIiEEEE10hipError_tPvRmT2_T3_mT4_P12ihipStream_tbEUlT_E_NS1_11comp_targetILNS1_3genE10ELNS1_11target_archE1201ELNS1_3gpuE5ELNS1_3repE0EEENS1_30default_config_static_selectorELNS0_4arch9wavefront6targetE0EEEvT1_
                                        ; -- End function
	.section	.AMDGPU.csdata,"",@progbits
; Kernel info:
; codeLenInByte = 0
; NumSgprs: 0
; NumVgprs: 0
; ScratchSize: 0
; MemoryBound: 0
; FloatMode: 240
; IeeeMode: 1
; LDSByteSize: 0 bytes/workgroup (compile time only)
; SGPRBlocks: 0
; VGPRBlocks: 0
; NumSGPRsForWavesPerEU: 1
; NumVGPRsForWavesPerEU: 1
; Occupancy: 16
; WaveLimiterHint : 0
; COMPUTE_PGM_RSRC2:SCRATCH_EN: 0
; COMPUTE_PGM_RSRC2:USER_SGPR: 15
; COMPUTE_PGM_RSRC2:TRAP_HANDLER: 0
; COMPUTE_PGM_RSRC2:TGID_X_EN: 1
; COMPUTE_PGM_RSRC2:TGID_Y_EN: 0
; COMPUTE_PGM_RSRC2:TGID_Z_EN: 0
; COMPUTE_PGM_RSRC2:TIDIG_COMP_CNT: 0
	.section	.text._ZN7rocprim17ROCPRIM_400000_NS6detail17trampoline_kernelINS0_14default_configENS1_35adjacent_difference_config_selectorILb0EiEEZNS1_24adjacent_difference_implIS3_Lb0ELb0EPKiPiN6thrust23THRUST_200600_302600_NS4plusIiEEEE10hipError_tPvRmT2_T3_mT4_P12ihipStream_tbEUlT_E_NS1_11comp_targetILNS1_3genE5ELNS1_11target_archE942ELNS1_3gpuE9ELNS1_3repE0EEENS1_30default_config_static_selectorELNS0_4arch9wavefront6targetE0EEEvT1_,"axG",@progbits,_ZN7rocprim17ROCPRIM_400000_NS6detail17trampoline_kernelINS0_14default_configENS1_35adjacent_difference_config_selectorILb0EiEEZNS1_24adjacent_difference_implIS3_Lb0ELb0EPKiPiN6thrust23THRUST_200600_302600_NS4plusIiEEEE10hipError_tPvRmT2_T3_mT4_P12ihipStream_tbEUlT_E_NS1_11comp_targetILNS1_3genE5ELNS1_11target_archE942ELNS1_3gpuE9ELNS1_3repE0EEENS1_30default_config_static_selectorELNS0_4arch9wavefront6targetE0EEEvT1_,comdat
	.protected	_ZN7rocprim17ROCPRIM_400000_NS6detail17trampoline_kernelINS0_14default_configENS1_35adjacent_difference_config_selectorILb0EiEEZNS1_24adjacent_difference_implIS3_Lb0ELb0EPKiPiN6thrust23THRUST_200600_302600_NS4plusIiEEEE10hipError_tPvRmT2_T3_mT4_P12ihipStream_tbEUlT_E_NS1_11comp_targetILNS1_3genE5ELNS1_11target_archE942ELNS1_3gpuE9ELNS1_3repE0EEENS1_30default_config_static_selectorELNS0_4arch9wavefront6targetE0EEEvT1_ ; -- Begin function _ZN7rocprim17ROCPRIM_400000_NS6detail17trampoline_kernelINS0_14default_configENS1_35adjacent_difference_config_selectorILb0EiEEZNS1_24adjacent_difference_implIS3_Lb0ELb0EPKiPiN6thrust23THRUST_200600_302600_NS4plusIiEEEE10hipError_tPvRmT2_T3_mT4_P12ihipStream_tbEUlT_E_NS1_11comp_targetILNS1_3genE5ELNS1_11target_archE942ELNS1_3gpuE9ELNS1_3repE0EEENS1_30default_config_static_selectorELNS0_4arch9wavefront6targetE0EEEvT1_
	.globl	_ZN7rocprim17ROCPRIM_400000_NS6detail17trampoline_kernelINS0_14default_configENS1_35adjacent_difference_config_selectorILb0EiEEZNS1_24adjacent_difference_implIS3_Lb0ELb0EPKiPiN6thrust23THRUST_200600_302600_NS4plusIiEEEE10hipError_tPvRmT2_T3_mT4_P12ihipStream_tbEUlT_E_NS1_11comp_targetILNS1_3genE5ELNS1_11target_archE942ELNS1_3gpuE9ELNS1_3repE0EEENS1_30default_config_static_selectorELNS0_4arch9wavefront6targetE0EEEvT1_
	.p2align	8
	.type	_ZN7rocprim17ROCPRIM_400000_NS6detail17trampoline_kernelINS0_14default_configENS1_35adjacent_difference_config_selectorILb0EiEEZNS1_24adjacent_difference_implIS3_Lb0ELb0EPKiPiN6thrust23THRUST_200600_302600_NS4plusIiEEEE10hipError_tPvRmT2_T3_mT4_P12ihipStream_tbEUlT_E_NS1_11comp_targetILNS1_3genE5ELNS1_11target_archE942ELNS1_3gpuE9ELNS1_3repE0EEENS1_30default_config_static_selectorELNS0_4arch9wavefront6targetE0EEEvT1_,@function
_ZN7rocprim17ROCPRIM_400000_NS6detail17trampoline_kernelINS0_14default_configENS1_35adjacent_difference_config_selectorILb0EiEEZNS1_24adjacent_difference_implIS3_Lb0ELb0EPKiPiN6thrust23THRUST_200600_302600_NS4plusIiEEEE10hipError_tPvRmT2_T3_mT4_P12ihipStream_tbEUlT_E_NS1_11comp_targetILNS1_3genE5ELNS1_11target_archE942ELNS1_3gpuE9ELNS1_3repE0EEENS1_30default_config_static_selectorELNS0_4arch9wavefront6targetE0EEEvT1_: ; @_ZN7rocprim17ROCPRIM_400000_NS6detail17trampoline_kernelINS0_14default_configENS1_35adjacent_difference_config_selectorILb0EiEEZNS1_24adjacent_difference_implIS3_Lb0ELb0EPKiPiN6thrust23THRUST_200600_302600_NS4plusIiEEEE10hipError_tPvRmT2_T3_mT4_P12ihipStream_tbEUlT_E_NS1_11comp_targetILNS1_3genE5ELNS1_11target_archE942ELNS1_3gpuE9ELNS1_3repE0EEENS1_30default_config_static_selectorELNS0_4arch9wavefront6targetE0EEEvT1_
; %bb.0:
	.section	.rodata,"a",@progbits
	.p2align	6, 0x0
	.amdhsa_kernel _ZN7rocprim17ROCPRIM_400000_NS6detail17trampoline_kernelINS0_14default_configENS1_35adjacent_difference_config_selectorILb0EiEEZNS1_24adjacent_difference_implIS3_Lb0ELb0EPKiPiN6thrust23THRUST_200600_302600_NS4plusIiEEEE10hipError_tPvRmT2_T3_mT4_P12ihipStream_tbEUlT_E_NS1_11comp_targetILNS1_3genE5ELNS1_11target_archE942ELNS1_3gpuE9ELNS1_3repE0EEENS1_30default_config_static_selectorELNS0_4arch9wavefront6targetE0EEEvT1_
		.amdhsa_group_segment_fixed_size 0
		.amdhsa_private_segment_fixed_size 0
		.amdhsa_kernarg_size 56
		.amdhsa_user_sgpr_count 15
		.amdhsa_user_sgpr_dispatch_ptr 0
		.amdhsa_user_sgpr_queue_ptr 0
		.amdhsa_user_sgpr_kernarg_segment_ptr 1
		.amdhsa_user_sgpr_dispatch_id 0
		.amdhsa_user_sgpr_private_segment_size 0
		.amdhsa_wavefront_size32 1
		.amdhsa_uses_dynamic_stack 0
		.amdhsa_enable_private_segment 0
		.amdhsa_system_sgpr_workgroup_id_x 1
		.amdhsa_system_sgpr_workgroup_id_y 0
		.amdhsa_system_sgpr_workgroup_id_z 0
		.amdhsa_system_sgpr_workgroup_info 0
		.amdhsa_system_vgpr_workitem_id 0
		.amdhsa_next_free_vgpr 1
		.amdhsa_next_free_sgpr 1
		.amdhsa_reserve_vcc 0
		.amdhsa_float_round_mode_32 0
		.amdhsa_float_round_mode_16_64 0
		.amdhsa_float_denorm_mode_32 3
		.amdhsa_float_denorm_mode_16_64 3
		.amdhsa_dx10_clamp 1
		.amdhsa_ieee_mode 1
		.amdhsa_fp16_overflow 0
		.amdhsa_workgroup_processor_mode 1
		.amdhsa_memory_ordered 1
		.amdhsa_forward_progress 0
		.amdhsa_shared_vgpr_count 0
		.amdhsa_exception_fp_ieee_invalid_op 0
		.amdhsa_exception_fp_denorm_src 0
		.amdhsa_exception_fp_ieee_div_zero 0
		.amdhsa_exception_fp_ieee_overflow 0
		.amdhsa_exception_fp_ieee_underflow 0
		.amdhsa_exception_fp_ieee_inexact 0
		.amdhsa_exception_int_div_zero 0
	.end_amdhsa_kernel
	.section	.text._ZN7rocprim17ROCPRIM_400000_NS6detail17trampoline_kernelINS0_14default_configENS1_35adjacent_difference_config_selectorILb0EiEEZNS1_24adjacent_difference_implIS3_Lb0ELb0EPKiPiN6thrust23THRUST_200600_302600_NS4plusIiEEEE10hipError_tPvRmT2_T3_mT4_P12ihipStream_tbEUlT_E_NS1_11comp_targetILNS1_3genE5ELNS1_11target_archE942ELNS1_3gpuE9ELNS1_3repE0EEENS1_30default_config_static_selectorELNS0_4arch9wavefront6targetE0EEEvT1_,"axG",@progbits,_ZN7rocprim17ROCPRIM_400000_NS6detail17trampoline_kernelINS0_14default_configENS1_35adjacent_difference_config_selectorILb0EiEEZNS1_24adjacent_difference_implIS3_Lb0ELb0EPKiPiN6thrust23THRUST_200600_302600_NS4plusIiEEEE10hipError_tPvRmT2_T3_mT4_P12ihipStream_tbEUlT_E_NS1_11comp_targetILNS1_3genE5ELNS1_11target_archE942ELNS1_3gpuE9ELNS1_3repE0EEENS1_30default_config_static_selectorELNS0_4arch9wavefront6targetE0EEEvT1_,comdat
.Lfunc_end725:
	.size	_ZN7rocprim17ROCPRIM_400000_NS6detail17trampoline_kernelINS0_14default_configENS1_35adjacent_difference_config_selectorILb0EiEEZNS1_24adjacent_difference_implIS3_Lb0ELb0EPKiPiN6thrust23THRUST_200600_302600_NS4plusIiEEEE10hipError_tPvRmT2_T3_mT4_P12ihipStream_tbEUlT_E_NS1_11comp_targetILNS1_3genE5ELNS1_11target_archE942ELNS1_3gpuE9ELNS1_3repE0EEENS1_30default_config_static_selectorELNS0_4arch9wavefront6targetE0EEEvT1_, .Lfunc_end725-_ZN7rocprim17ROCPRIM_400000_NS6detail17trampoline_kernelINS0_14default_configENS1_35adjacent_difference_config_selectorILb0EiEEZNS1_24adjacent_difference_implIS3_Lb0ELb0EPKiPiN6thrust23THRUST_200600_302600_NS4plusIiEEEE10hipError_tPvRmT2_T3_mT4_P12ihipStream_tbEUlT_E_NS1_11comp_targetILNS1_3genE5ELNS1_11target_archE942ELNS1_3gpuE9ELNS1_3repE0EEENS1_30default_config_static_selectorELNS0_4arch9wavefront6targetE0EEEvT1_
                                        ; -- End function
	.section	.AMDGPU.csdata,"",@progbits
; Kernel info:
; codeLenInByte = 0
; NumSgprs: 0
; NumVgprs: 0
; ScratchSize: 0
; MemoryBound: 0
; FloatMode: 240
; IeeeMode: 1
; LDSByteSize: 0 bytes/workgroup (compile time only)
; SGPRBlocks: 0
; VGPRBlocks: 0
; NumSGPRsForWavesPerEU: 1
; NumVGPRsForWavesPerEU: 1
; Occupancy: 16
; WaveLimiterHint : 0
; COMPUTE_PGM_RSRC2:SCRATCH_EN: 0
; COMPUTE_PGM_RSRC2:USER_SGPR: 15
; COMPUTE_PGM_RSRC2:TRAP_HANDLER: 0
; COMPUTE_PGM_RSRC2:TGID_X_EN: 1
; COMPUTE_PGM_RSRC2:TGID_Y_EN: 0
; COMPUTE_PGM_RSRC2:TGID_Z_EN: 0
; COMPUTE_PGM_RSRC2:TIDIG_COMP_CNT: 0
	.section	.text._ZN7rocprim17ROCPRIM_400000_NS6detail17trampoline_kernelINS0_14default_configENS1_35adjacent_difference_config_selectorILb0EiEEZNS1_24adjacent_difference_implIS3_Lb0ELb0EPKiPiN6thrust23THRUST_200600_302600_NS4plusIiEEEE10hipError_tPvRmT2_T3_mT4_P12ihipStream_tbEUlT_E_NS1_11comp_targetILNS1_3genE4ELNS1_11target_archE910ELNS1_3gpuE8ELNS1_3repE0EEENS1_30default_config_static_selectorELNS0_4arch9wavefront6targetE0EEEvT1_,"axG",@progbits,_ZN7rocprim17ROCPRIM_400000_NS6detail17trampoline_kernelINS0_14default_configENS1_35adjacent_difference_config_selectorILb0EiEEZNS1_24adjacent_difference_implIS3_Lb0ELb0EPKiPiN6thrust23THRUST_200600_302600_NS4plusIiEEEE10hipError_tPvRmT2_T3_mT4_P12ihipStream_tbEUlT_E_NS1_11comp_targetILNS1_3genE4ELNS1_11target_archE910ELNS1_3gpuE8ELNS1_3repE0EEENS1_30default_config_static_selectorELNS0_4arch9wavefront6targetE0EEEvT1_,comdat
	.protected	_ZN7rocprim17ROCPRIM_400000_NS6detail17trampoline_kernelINS0_14default_configENS1_35adjacent_difference_config_selectorILb0EiEEZNS1_24adjacent_difference_implIS3_Lb0ELb0EPKiPiN6thrust23THRUST_200600_302600_NS4plusIiEEEE10hipError_tPvRmT2_T3_mT4_P12ihipStream_tbEUlT_E_NS1_11comp_targetILNS1_3genE4ELNS1_11target_archE910ELNS1_3gpuE8ELNS1_3repE0EEENS1_30default_config_static_selectorELNS0_4arch9wavefront6targetE0EEEvT1_ ; -- Begin function _ZN7rocprim17ROCPRIM_400000_NS6detail17trampoline_kernelINS0_14default_configENS1_35adjacent_difference_config_selectorILb0EiEEZNS1_24adjacent_difference_implIS3_Lb0ELb0EPKiPiN6thrust23THRUST_200600_302600_NS4plusIiEEEE10hipError_tPvRmT2_T3_mT4_P12ihipStream_tbEUlT_E_NS1_11comp_targetILNS1_3genE4ELNS1_11target_archE910ELNS1_3gpuE8ELNS1_3repE0EEENS1_30default_config_static_selectorELNS0_4arch9wavefront6targetE0EEEvT1_
	.globl	_ZN7rocprim17ROCPRIM_400000_NS6detail17trampoline_kernelINS0_14default_configENS1_35adjacent_difference_config_selectorILb0EiEEZNS1_24adjacent_difference_implIS3_Lb0ELb0EPKiPiN6thrust23THRUST_200600_302600_NS4plusIiEEEE10hipError_tPvRmT2_T3_mT4_P12ihipStream_tbEUlT_E_NS1_11comp_targetILNS1_3genE4ELNS1_11target_archE910ELNS1_3gpuE8ELNS1_3repE0EEENS1_30default_config_static_selectorELNS0_4arch9wavefront6targetE0EEEvT1_
	.p2align	8
	.type	_ZN7rocprim17ROCPRIM_400000_NS6detail17trampoline_kernelINS0_14default_configENS1_35adjacent_difference_config_selectorILb0EiEEZNS1_24adjacent_difference_implIS3_Lb0ELb0EPKiPiN6thrust23THRUST_200600_302600_NS4plusIiEEEE10hipError_tPvRmT2_T3_mT4_P12ihipStream_tbEUlT_E_NS1_11comp_targetILNS1_3genE4ELNS1_11target_archE910ELNS1_3gpuE8ELNS1_3repE0EEENS1_30default_config_static_selectorELNS0_4arch9wavefront6targetE0EEEvT1_,@function
_ZN7rocprim17ROCPRIM_400000_NS6detail17trampoline_kernelINS0_14default_configENS1_35adjacent_difference_config_selectorILb0EiEEZNS1_24adjacent_difference_implIS3_Lb0ELb0EPKiPiN6thrust23THRUST_200600_302600_NS4plusIiEEEE10hipError_tPvRmT2_T3_mT4_P12ihipStream_tbEUlT_E_NS1_11comp_targetILNS1_3genE4ELNS1_11target_archE910ELNS1_3gpuE8ELNS1_3repE0EEENS1_30default_config_static_selectorELNS0_4arch9wavefront6targetE0EEEvT1_: ; @_ZN7rocprim17ROCPRIM_400000_NS6detail17trampoline_kernelINS0_14default_configENS1_35adjacent_difference_config_selectorILb0EiEEZNS1_24adjacent_difference_implIS3_Lb0ELb0EPKiPiN6thrust23THRUST_200600_302600_NS4plusIiEEEE10hipError_tPvRmT2_T3_mT4_P12ihipStream_tbEUlT_E_NS1_11comp_targetILNS1_3genE4ELNS1_11target_archE910ELNS1_3gpuE8ELNS1_3repE0EEENS1_30default_config_static_selectorELNS0_4arch9wavefront6targetE0EEEvT1_
; %bb.0:
	.section	.rodata,"a",@progbits
	.p2align	6, 0x0
	.amdhsa_kernel _ZN7rocprim17ROCPRIM_400000_NS6detail17trampoline_kernelINS0_14default_configENS1_35adjacent_difference_config_selectorILb0EiEEZNS1_24adjacent_difference_implIS3_Lb0ELb0EPKiPiN6thrust23THRUST_200600_302600_NS4plusIiEEEE10hipError_tPvRmT2_T3_mT4_P12ihipStream_tbEUlT_E_NS1_11comp_targetILNS1_3genE4ELNS1_11target_archE910ELNS1_3gpuE8ELNS1_3repE0EEENS1_30default_config_static_selectorELNS0_4arch9wavefront6targetE0EEEvT1_
		.amdhsa_group_segment_fixed_size 0
		.amdhsa_private_segment_fixed_size 0
		.amdhsa_kernarg_size 56
		.amdhsa_user_sgpr_count 15
		.amdhsa_user_sgpr_dispatch_ptr 0
		.amdhsa_user_sgpr_queue_ptr 0
		.amdhsa_user_sgpr_kernarg_segment_ptr 1
		.amdhsa_user_sgpr_dispatch_id 0
		.amdhsa_user_sgpr_private_segment_size 0
		.amdhsa_wavefront_size32 1
		.amdhsa_uses_dynamic_stack 0
		.amdhsa_enable_private_segment 0
		.amdhsa_system_sgpr_workgroup_id_x 1
		.amdhsa_system_sgpr_workgroup_id_y 0
		.amdhsa_system_sgpr_workgroup_id_z 0
		.amdhsa_system_sgpr_workgroup_info 0
		.amdhsa_system_vgpr_workitem_id 0
		.amdhsa_next_free_vgpr 1
		.amdhsa_next_free_sgpr 1
		.amdhsa_reserve_vcc 0
		.amdhsa_float_round_mode_32 0
		.amdhsa_float_round_mode_16_64 0
		.amdhsa_float_denorm_mode_32 3
		.amdhsa_float_denorm_mode_16_64 3
		.amdhsa_dx10_clamp 1
		.amdhsa_ieee_mode 1
		.amdhsa_fp16_overflow 0
		.amdhsa_workgroup_processor_mode 1
		.amdhsa_memory_ordered 1
		.amdhsa_forward_progress 0
		.amdhsa_shared_vgpr_count 0
		.amdhsa_exception_fp_ieee_invalid_op 0
		.amdhsa_exception_fp_denorm_src 0
		.amdhsa_exception_fp_ieee_div_zero 0
		.amdhsa_exception_fp_ieee_overflow 0
		.amdhsa_exception_fp_ieee_underflow 0
		.amdhsa_exception_fp_ieee_inexact 0
		.amdhsa_exception_int_div_zero 0
	.end_amdhsa_kernel
	.section	.text._ZN7rocprim17ROCPRIM_400000_NS6detail17trampoline_kernelINS0_14default_configENS1_35adjacent_difference_config_selectorILb0EiEEZNS1_24adjacent_difference_implIS3_Lb0ELb0EPKiPiN6thrust23THRUST_200600_302600_NS4plusIiEEEE10hipError_tPvRmT2_T3_mT4_P12ihipStream_tbEUlT_E_NS1_11comp_targetILNS1_3genE4ELNS1_11target_archE910ELNS1_3gpuE8ELNS1_3repE0EEENS1_30default_config_static_selectorELNS0_4arch9wavefront6targetE0EEEvT1_,"axG",@progbits,_ZN7rocprim17ROCPRIM_400000_NS6detail17trampoline_kernelINS0_14default_configENS1_35adjacent_difference_config_selectorILb0EiEEZNS1_24adjacent_difference_implIS3_Lb0ELb0EPKiPiN6thrust23THRUST_200600_302600_NS4plusIiEEEE10hipError_tPvRmT2_T3_mT4_P12ihipStream_tbEUlT_E_NS1_11comp_targetILNS1_3genE4ELNS1_11target_archE910ELNS1_3gpuE8ELNS1_3repE0EEENS1_30default_config_static_selectorELNS0_4arch9wavefront6targetE0EEEvT1_,comdat
.Lfunc_end726:
	.size	_ZN7rocprim17ROCPRIM_400000_NS6detail17trampoline_kernelINS0_14default_configENS1_35adjacent_difference_config_selectorILb0EiEEZNS1_24adjacent_difference_implIS3_Lb0ELb0EPKiPiN6thrust23THRUST_200600_302600_NS4plusIiEEEE10hipError_tPvRmT2_T3_mT4_P12ihipStream_tbEUlT_E_NS1_11comp_targetILNS1_3genE4ELNS1_11target_archE910ELNS1_3gpuE8ELNS1_3repE0EEENS1_30default_config_static_selectorELNS0_4arch9wavefront6targetE0EEEvT1_, .Lfunc_end726-_ZN7rocprim17ROCPRIM_400000_NS6detail17trampoline_kernelINS0_14default_configENS1_35adjacent_difference_config_selectorILb0EiEEZNS1_24adjacent_difference_implIS3_Lb0ELb0EPKiPiN6thrust23THRUST_200600_302600_NS4plusIiEEEE10hipError_tPvRmT2_T3_mT4_P12ihipStream_tbEUlT_E_NS1_11comp_targetILNS1_3genE4ELNS1_11target_archE910ELNS1_3gpuE8ELNS1_3repE0EEENS1_30default_config_static_selectorELNS0_4arch9wavefront6targetE0EEEvT1_
                                        ; -- End function
	.section	.AMDGPU.csdata,"",@progbits
; Kernel info:
; codeLenInByte = 0
; NumSgprs: 0
; NumVgprs: 0
; ScratchSize: 0
; MemoryBound: 0
; FloatMode: 240
; IeeeMode: 1
; LDSByteSize: 0 bytes/workgroup (compile time only)
; SGPRBlocks: 0
; VGPRBlocks: 0
; NumSGPRsForWavesPerEU: 1
; NumVGPRsForWavesPerEU: 1
; Occupancy: 16
; WaveLimiterHint : 0
; COMPUTE_PGM_RSRC2:SCRATCH_EN: 0
; COMPUTE_PGM_RSRC2:USER_SGPR: 15
; COMPUTE_PGM_RSRC2:TRAP_HANDLER: 0
; COMPUTE_PGM_RSRC2:TGID_X_EN: 1
; COMPUTE_PGM_RSRC2:TGID_Y_EN: 0
; COMPUTE_PGM_RSRC2:TGID_Z_EN: 0
; COMPUTE_PGM_RSRC2:TIDIG_COMP_CNT: 0
	.section	.text._ZN7rocprim17ROCPRIM_400000_NS6detail17trampoline_kernelINS0_14default_configENS1_35adjacent_difference_config_selectorILb0EiEEZNS1_24adjacent_difference_implIS3_Lb0ELb0EPKiPiN6thrust23THRUST_200600_302600_NS4plusIiEEEE10hipError_tPvRmT2_T3_mT4_P12ihipStream_tbEUlT_E_NS1_11comp_targetILNS1_3genE3ELNS1_11target_archE908ELNS1_3gpuE7ELNS1_3repE0EEENS1_30default_config_static_selectorELNS0_4arch9wavefront6targetE0EEEvT1_,"axG",@progbits,_ZN7rocprim17ROCPRIM_400000_NS6detail17trampoline_kernelINS0_14default_configENS1_35adjacent_difference_config_selectorILb0EiEEZNS1_24adjacent_difference_implIS3_Lb0ELb0EPKiPiN6thrust23THRUST_200600_302600_NS4plusIiEEEE10hipError_tPvRmT2_T3_mT4_P12ihipStream_tbEUlT_E_NS1_11comp_targetILNS1_3genE3ELNS1_11target_archE908ELNS1_3gpuE7ELNS1_3repE0EEENS1_30default_config_static_selectorELNS0_4arch9wavefront6targetE0EEEvT1_,comdat
	.protected	_ZN7rocprim17ROCPRIM_400000_NS6detail17trampoline_kernelINS0_14default_configENS1_35adjacent_difference_config_selectorILb0EiEEZNS1_24adjacent_difference_implIS3_Lb0ELb0EPKiPiN6thrust23THRUST_200600_302600_NS4plusIiEEEE10hipError_tPvRmT2_T3_mT4_P12ihipStream_tbEUlT_E_NS1_11comp_targetILNS1_3genE3ELNS1_11target_archE908ELNS1_3gpuE7ELNS1_3repE0EEENS1_30default_config_static_selectorELNS0_4arch9wavefront6targetE0EEEvT1_ ; -- Begin function _ZN7rocprim17ROCPRIM_400000_NS6detail17trampoline_kernelINS0_14default_configENS1_35adjacent_difference_config_selectorILb0EiEEZNS1_24adjacent_difference_implIS3_Lb0ELb0EPKiPiN6thrust23THRUST_200600_302600_NS4plusIiEEEE10hipError_tPvRmT2_T3_mT4_P12ihipStream_tbEUlT_E_NS1_11comp_targetILNS1_3genE3ELNS1_11target_archE908ELNS1_3gpuE7ELNS1_3repE0EEENS1_30default_config_static_selectorELNS0_4arch9wavefront6targetE0EEEvT1_
	.globl	_ZN7rocprim17ROCPRIM_400000_NS6detail17trampoline_kernelINS0_14default_configENS1_35adjacent_difference_config_selectorILb0EiEEZNS1_24adjacent_difference_implIS3_Lb0ELb0EPKiPiN6thrust23THRUST_200600_302600_NS4plusIiEEEE10hipError_tPvRmT2_T3_mT4_P12ihipStream_tbEUlT_E_NS1_11comp_targetILNS1_3genE3ELNS1_11target_archE908ELNS1_3gpuE7ELNS1_3repE0EEENS1_30default_config_static_selectorELNS0_4arch9wavefront6targetE0EEEvT1_
	.p2align	8
	.type	_ZN7rocprim17ROCPRIM_400000_NS6detail17trampoline_kernelINS0_14default_configENS1_35adjacent_difference_config_selectorILb0EiEEZNS1_24adjacent_difference_implIS3_Lb0ELb0EPKiPiN6thrust23THRUST_200600_302600_NS4plusIiEEEE10hipError_tPvRmT2_T3_mT4_P12ihipStream_tbEUlT_E_NS1_11comp_targetILNS1_3genE3ELNS1_11target_archE908ELNS1_3gpuE7ELNS1_3repE0EEENS1_30default_config_static_selectorELNS0_4arch9wavefront6targetE0EEEvT1_,@function
_ZN7rocprim17ROCPRIM_400000_NS6detail17trampoline_kernelINS0_14default_configENS1_35adjacent_difference_config_selectorILb0EiEEZNS1_24adjacent_difference_implIS3_Lb0ELb0EPKiPiN6thrust23THRUST_200600_302600_NS4plusIiEEEE10hipError_tPvRmT2_T3_mT4_P12ihipStream_tbEUlT_E_NS1_11comp_targetILNS1_3genE3ELNS1_11target_archE908ELNS1_3gpuE7ELNS1_3repE0EEENS1_30default_config_static_selectorELNS0_4arch9wavefront6targetE0EEEvT1_: ; @_ZN7rocprim17ROCPRIM_400000_NS6detail17trampoline_kernelINS0_14default_configENS1_35adjacent_difference_config_selectorILb0EiEEZNS1_24adjacent_difference_implIS3_Lb0ELb0EPKiPiN6thrust23THRUST_200600_302600_NS4plusIiEEEE10hipError_tPvRmT2_T3_mT4_P12ihipStream_tbEUlT_E_NS1_11comp_targetILNS1_3genE3ELNS1_11target_archE908ELNS1_3gpuE7ELNS1_3repE0EEENS1_30default_config_static_selectorELNS0_4arch9wavefront6targetE0EEEvT1_
; %bb.0:
	.section	.rodata,"a",@progbits
	.p2align	6, 0x0
	.amdhsa_kernel _ZN7rocprim17ROCPRIM_400000_NS6detail17trampoline_kernelINS0_14default_configENS1_35adjacent_difference_config_selectorILb0EiEEZNS1_24adjacent_difference_implIS3_Lb0ELb0EPKiPiN6thrust23THRUST_200600_302600_NS4plusIiEEEE10hipError_tPvRmT2_T3_mT4_P12ihipStream_tbEUlT_E_NS1_11comp_targetILNS1_3genE3ELNS1_11target_archE908ELNS1_3gpuE7ELNS1_3repE0EEENS1_30default_config_static_selectorELNS0_4arch9wavefront6targetE0EEEvT1_
		.amdhsa_group_segment_fixed_size 0
		.amdhsa_private_segment_fixed_size 0
		.amdhsa_kernarg_size 56
		.amdhsa_user_sgpr_count 15
		.amdhsa_user_sgpr_dispatch_ptr 0
		.amdhsa_user_sgpr_queue_ptr 0
		.amdhsa_user_sgpr_kernarg_segment_ptr 1
		.amdhsa_user_sgpr_dispatch_id 0
		.amdhsa_user_sgpr_private_segment_size 0
		.amdhsa_wavefront_size32 1
		.amdhsa_uses_dynamic_stack 0
		.amdhsa_enable_private_segment 0
		.amdhsa_system_sgpr_workgroup_id_x 1
		.amdhsa_system_sgpr_workgroup_id_y 0
		.amdhsa_system_sgpr_workgroup_id_z 0
		.amdhsa_system_sgpr_workgroup_info 0
		.amdhsa_system_vgpr_workitem_id 0
		.amdhsa_next_free_vgpr 1
		.amdhsa_next_free_sgpr 1
		.amdhsa_reserve_vcc 0
		.amdhsa_float_round_mode_32 0
		.amdhsa_float_round_mode_16_64 0
		.amdhsa_float_denorm_mode_32 3
		.amdhsa_float_denorm_mode_16_64 3
		.amdhsa_dx10_clamp 1
		.amdhsa_ieee_mode 1
		.amdhsa_fp16_overflow 0
		.amdhsa_workgroup_processor_mode 1
		.amdhsa_memory_ordered 1
		.amdhsa_forward_progress 0
		.amdhsa_shared_vgpr_count 0
		.amdhsa_exception_fp_ieee_invalid_op 0
		.amdhsa_exception_fp_denorm_src 0
		.amdhsa_exception_fp_ieee_div_zero 0
		.amdhsa_exception_fp_ieee_overflow 0
		.amdhsa_exception_fp_ieee_underflow 0
		.amdhsa_exception_fp_ieee_inexact 0
		.amdhsa_exception_int_div_zero 0
	.end_amdhsa_kernel
	.section	.text._ZN7rocprim17ROCPRIM_400000_NS6detail17trampoline_kernelINS0_14default_configENS1_35adjacent_difference_config_selectorILb0EiEEZNS1_24adjacent_difference_implIS3_Lb0ELb0EPKiPiN6thrust23THRUST_200600_302600_NS4plusIiEEEE10hipError_tPvRmT2_T3_mT4_P12ihipStream_tbEUlT_E_NS1_11comp_targetILNS1_3genE3ELNS1_11target_archE908ELNS1_3gpuE7ELNS1_3repE0EEENS1_30default_config_static_selectorELNS0_4arch9wavefront6targetE0EEEvT1_,"axG",@progbits,_ZN7rocprim17ROCPRIM_400000_NS6detail17trampoline_kernelINS0_14default_configENS1_35adjacent_difference_config_selectorILb0EiEEZNS1_24adjacent_difference_implIS3_Lb0ELb0EPKiPiN6thrust23THRUST_200600_302600_NS4plusIiEEEE10hipError_tPvRmT2_T3_mT4_P12ihipStream_tbEUlT_E_NS1_11comp_targetILNS1_3genE3ELNS1_11target_archE908ELNS1_3gpuE7ELNS1_3repE0EEENS1_30default_config_static_selectorELNS0_4arch9wavefront6targetE0EEEvT1_,comdat
.Lfunc_end727:
	.size	_ZN7rocprim17ROCPRIM_400000_NS6detail17trampoline_kernelINS0_14default_configENS1_35adjacent_difference_config_selectorILb0EiEEZNS1_24adjacent_difference_implIS3_Lb0ELb0EPKiPiN6thrust23THRUST_200600_302600_NS4plusIiEEEE10hipError_tPvRmT2_T3_mT4_P12ihipStream_tbEUlT_E_NS1_11comp_targetILNS1_3genE3ELNS1_11target_archE908ELNS1_3gpuE7ELNS1_3repE0EEENS1_30default_config_static_selectorELNS0_4arch9wavefront6targetE0EEEvT1_, .Lfunc_end727-_ZN7rocprim17ROCPRIM_400000_NS6detail17trampoline_kernelINS0_14default_configENS1_35adjacent_difference_config_selectorILb0EiEEZNS1_24adjacent_difference_implIS3_Lb0ELb0EPKiPiN6thrust23THRUST_200600_302600_NS4plusIiEEEE10hipError_tPvRmT2_T3_mT4_P12ihipStream_tbEUlT_E_NS1_11comp_targetILNS1_3genE3ELNS1_11target_archE908ELNS1_3gpuE7ELNS1_3repE0EEENS1_30default_config_static_selectorELNS0_4arch9wavefront6targetE0EEEvT1_
                                        ; -- End function
	.section	.AMDGPU.csdata,"",@progbits
; Kernel info:
; codeLenInByte = 0
; NumSgprs: 0
; NumVgprs: 0
; ScratchSize: 0
; MemoryBound: 0
; FloatMode: 240
; IeeeMode: 1
; LDSByteSize: 0 bytes/workgroup (compile time only)
; SGPRBlocks: 0
; VGPRBlocks: 0
; NumSGPRsForWavesPerEU: 1
; NumVGPRsForWavesPerEU: 1
; Occupancy: 16
; WaveLimiterHint : 0
; COMPUTE_PGM_RSRC2:SCRATCH_EN: 0
; COMPUTE_PGM_RSRC2:USER_SGPR: 15
; COMPUTE_PGM_RSRC2:TRAP_HANDLER: 0
; COMPUTE_PGM_RSRC2:TGID_X_EN: 1
; COMPUTE_PGM_RSRC2:TGID_Y_EN: 0
; COMPUTE_PGM_RSRC2:TGID_Z_EN: 0
; COMPUTE_PGM_RSRC2:TIDIG_COMP_CNT: 0
	.section	.text._ZN7rocprim17ROCPRIM_400000_NS6detail17trampoline_kernelINS0_14default_configENS1_35adjacent_difference_config_selectorILb0EiEEZNS1_24adjacent_difference_implIS3_Lb0ELb0EPKiPiN6thrust23THRUST_200600_302600_NS4plusIiEEEE10hipError_tPvRmT2_T3_mT4_P12ihipStream_tbEUlT_E_NS1_11comp_targetILNS1_3genE2ELNS1_11target_archE906ELNS1_3gpuE6ELNS1_3repE0EEENS1_30default_config_static_selectorELNS0_4arch9wavefront6targetE0EEEvT1_,"axG",@progbits,_ZN7rocprim17ROCPRIM_400000_NS6detail17trampoline_kernelINS0_14default_configENS1_35adjacent_difference_config_selectorILb0EiEEZNS1_24adjacent_difference_implIS3_Lb0ELb0EPKiPiN6thrust23THRUST_200600_302600_NS4plusIiEEEE10hipError_tPvRmT2_T3_mT4_P12ihipStream_tbEUlT_E_NS1_11comp_targetILNS1_3genE2ELNS1_11target_archE906ELNS1_3gpuE6ELNS1_3repE0EEENS1_30default_config_static_selectorELNS0_4arch9wavefront6targetE0EEEvT1_,comdat
	.protected	_ZN7rocprim17ROCPRIM_400000_NS6detail17trampoline_kernelINS0_14default_configENS1_35adjacent_difference_config_selectorILb0EiEEZNS1_24adjacent_difference_implIS3_Lb0ELb0EPKiPiN6thrust23THRUST_200600_302600_NS4plusIiEEEE10hipError_tPvRmT2_T3_mT4_P12ihipStream_tbEUlT_E_NS1_11comp_targetILNS1_3genE2ELNS1_11target_archE906ELNS1_3gpuE6ELNS1_3repE0EEENS1_30default_config_static_selectorELNS0_4arch9wavefront6targetE0EEEvT1_ ; -- Begin function _ZN7rocprim17ROCPRIM_400000_NS6detail17trampoline_kernelINS0_14default_configENS1_35adjacent_difference_config_selectorILb0EiEEZNS1_24adjacent_difference_implIS3_Lb0ELb0EPKiPiN6thrust23THRUST_200600_302600_NS4plusIiEEEE10hipError_tPvRmT2_T3_mT4_P12ihipStream_tbEUlT_E_NS1_11comp_targetILNS1_3genE2ELNS1_11target_archE906ELNS1_3gpuE6ELNS1_3repE0EEENS1_30default_config_static_selectorELNS0_4arch9wavefront6targetE0EEEvT1_
	.globl	_ZN7rocprim17ROCPRIM_400000_NS6detail17trampoline_kernelINS0_14default_configENS1_35adjacent_difference_config_selectorILb0EiEEZNS1_24adjacent_difference_implIS3_Lb0ELb0EPKiPiN6thrust23THRUST_200600_302600_NS4plusIiEEEE10hipError_tPvRmT2_T3_mT4_P12ihipStream_tbEUlT_E_NS1_11comp_targetILNS1_3genE2ELNS1_11target_archE906ELNS1_3gpuE6ELNS1_3repE0EEENS1_30default_config_static_selectorELNS0_4arch9wavefront6targetE0EEEvT1_
	.p2align	8
	.type	_ZN7rocprim17ROCPRIM_400000_NS6detail17trampoline_kernelINS0_14default_configENS1_35adjacent_difference_config_selectorILb0EiEEZNS1_24adjacent_difference_implIS3_Lb0ELb0EPKiPiN6thrust23THRUST_200600_302600_NS4plusIiEEEE10hipError_tPvRmT2_T3_mT4_P12ihipStream_tbEUlT_E_NS1_11comp_targetILNS1_3genE2ELNS1_11target_archE906ELNS1_3gpuE6ELNS1_3repE0EEENS1_30default_config_static_selectorELNS0_4arch9wavefront6targetE0EEEvT1_,@function
_ZN7rocprim17ROCPRIM_400000_NS6detail17trampoline_kernelINS0_14default_configENS1_35adjacent_difference_config_selectorILb0EiEEZNS1_24adjacent_difference_implIS3_Lb0ELb0EPKiPiN6thrust23THRUST_200600_302600_NS4plusIiEEEE10hipError_tPvRmT2_T3_mT4_P12ihipStream_tbEUlT_E_NS1_11comp_targetILNS1_3genE2ELNS1_11target_archE906ELNS1_3gpuE6ELNS1_3repE0EEENS1_30default_config_static_selectorELNS0_4arch9wavefront6targetE0EEEvT1_: ; @_ZN7rocprim17ROCPRIM_400000_NS6detail17trampoline_kernelINS0_14default_configENS1_35adjacent_difference_config_selectorILb0EiEEZNS1_24adjacent_difference_implIS3_Lb0ELb0EPKiPiN6thrust23THRUST_200600_302600_NS4plusIiEEEE10hipError_tPvRmT2_T3_mT4_P12ihipStream_tbEUlT_E_NS1_11comp_targetILNS1_3genE2ELNS1_11target_archE906ELNS1_3gpuE6ELNS1_3repE0EEENS1_30default_config_static_selectorELNS0_4arch9wavefront6targetE0EEEvT1_
; %bb.0:
	.section	.rodata,"a",@progbits
	.p2align	6, 0x0
	.amdhsa_kernel _ZN7rocprim17ROCPRIM_400000_NS6detail17trampoline_kernelINS0_14default_configENS1_35adjacent_difference_config_selectorILb0EiEEZNS1_24adjacent_difference_implIS3_Lb0ELb0EPKiPiN6thrust23THRUST_200600_302600_NS4plusIiEEEE10hipError_tPvRmT2_T3_mT4_P12ihipStream_tbEUlT_E_NS1_11comp_targetILNS1_3genE2ELNS1_11target_archE906ELNS1_3gpuE6ELNS1_3repE0EEENS1_30default_config_static_selectorELNS0_4arch9wavefront6targetE0EEEvT1_
		.amdhsa_group_segment_fixed_size 0
		.amdhsa_private_segment_fixed_size 0
		.amdhsa_kernarg_size 56
		.amdhsa_user_sgpr_count 15
		.amdhsa_user_sgpr_dispatch_ptr 0
		.amdhsa_user_sgpr_queue_ptr 0
		.amdhsa_user_sgpr_kernarg_segment_ptr 1
		.amdhsa_user_sgpr_dispatch_id 0
		.amdhsa_user_sgpr_private_segment_size 0
		.amdhsa_wavefront_size32 1
		.amdhsa_uses_dynamic_stack 0
		.amdhsa_enable_private_segment 0
		.amdhsa_system_sgpr_workgroup_id_x 1
		.amdhsa_system_sgpr_workgroup_id_y 0
		.amdhsa_system_sgpr_workgroup_id_z 0
		.amdhsa_system_sgpr_workgroup_info 0
		.amdhsa_system_vgpr_workitem_id 0
		.amdhsa_next_free_vgpr 1
		.amdhsa_next_free_sgpr 1
		.amdhsa_reserve_vcc 0
		.amdhsa_float_round_mode_32 0
		.amdhsa_float_round_mode_16_64 0
		.amdhsa_float_denorm_mode_32 3
		.amdhsa_float_denorm_mode_16_64 3
		.amdhsa_dx10_clamp 1
		.amdhsa_ieee_mode 1
		.amdhsa_fp16_overflow 0
		.amdhsa_workgroup_processor_mode 1
		.amdhsa_memory_ordered 1
		.amdhsa_forward_progress 0
		.amdhsa_shared_vgpr_count 0
		.amdhsa_exception_fp_ieee_invalid_op 0
		.amdhsa_exception_fp_denorm_src 0
		.amdhsa_exception_fp_ieee_div_zero 0
		.amdhsa_exception_fp_ieee_overflow 0
		.amdhsa_exception_fp_ieee_underflow 0
		.amdhsa_exception_fp_ieee_inexact 0
		.amdhsa_exception_int_div_zero 0
	.end_amdhsa_kernel
	.section	.text._ZN7rocprim17ROCPRIM_400000_NS6detail17trampoline_kernelINS0_14default_configENS1_35adjacent_difference_config_selectorILb0EiEEZNS1_24adjacent_difference_implIS3_Lb0ELb0EPKiPiN6thrust23THRUST_200600_302600_NS4plusIiEEEE10hipError_tPvRmT2_T3_mT4_P12ihipStream_tbEUlT_E_NS1_11comp_targetILNS1_3genE2ELNS1_11target_archE906ELNS1_3gpuE6ELNS1_3repE0EEENS1_30default_config_static_selectorELNS0_4arch9wavefront6targetE0EEEvT1_,"axG",@progbits,_ZN7rocprim17ROCPRIM_400000_NS6detail17trampoline_kernelINS0_14default_configENS1_35adjacent_difference_config_selectorILb0EiEEZNS1_24adjacent_difference_implIS3_Lb0ELb0EPKiPiN6thrust23THRUST_200600_302600_NS4plusIiEEEE10hipError_tPvRmT2_T3_mT4_P12ihipStream_tbEUlT_E_NS1_11comp_targetILNS1_3genE2ELNS1_11target_archE906ELNS1_3gpuE6ELNS1_3repE0EEENS1_30default_config_static_selectorELNS0_4arch9wavefront6targetE0EEEvT1_,comdat
.Lfunc_end728:
	.size	_ZN7rocprim17ROCPRIM_400000_NS6detail17trampoline_kernelINS0_14default_configENS1_35adjacent_difference_config_selectorILb0EiEEZNS1_24adjacent_difference_implIS3_Lb0ELb0EPKiPiN6thrust23THRUST_200600_302600_NS4plusIiEEEE10hipError_tPvRmT2_T3_mT4_P12ihipStream_tbEUlT_E_NS1_11comp_targetILNS1_3genE2ELNS1_11target_archE906ELNS1_3gpuE6ELNS1_3repE0EEENS1_30default_config_static_selectorELNS0_4arch9wavefront6targetE0EEEvT1_, .Lfunc_end728-_ZN7rocprim17ROCPRIM_400000_NS6detail17trampoline_kernelINS0_14default_configENS1_35adjacent_difference_config_selectorILb0EiEEZNS1_24adjacent_difference_implIS3_Lb0ELb0EPKiPiN6thrust23THRUST_200600_302600_NS4plusIiEEEE10hipError_tPvRmT2_T3_mT4_P12ihipStream_tbEUlT_E_NS1_11comp_targetILNS1_3genE2ELNS1_11target_archE906ELNS1_3gpuE6ELNS1_3repE0EEENS1_30default_config_static_selectorELNS0_4arch9wavefront6targetE0EEEvT1_
                                        ; -- End function
	.section	.AMDGPU.csdata,"",@progbits
; Kernel info:
; codeLenInByte = 0
; NumSgprs: 0
; NumVgprs: 0
; ScratchSize: 0
; MemoryBound: 0
; FloatMode: 240
; IeeeMode: 1
; LDSByteSize: 0 bytes/workgroup (compile time only)
; SGPRBlocks: 0
; VGPRBlocks: 0
; NumSGPRsForWavesPerEU: 1
; NumVGPRsForWavesPerEU: 1
; Occupancy: 16
; WaveLimiterHint : 0
; COMPUTE_PGM_RSRC2:SCRATCH_EN: 0
; COMPUTE_PGM_RSRC2:USER_SGPR: 15
; COMPUTE_PGM_RSRC2:TRAP_HANDLER: 0
; COMPUTE_PGM_RSRC2:TGID_X_EN: 1
; COMPUTE_PGM_RSRC2:TGID_Y_EN: 0
; COMPUTE_PGM_RSRC2:TGID_Z_EN: 0
; COMPUTE_PGM_RSRC2:TIDIG_COMP_CNT: 0
	.section	.text._ZN7rocprim17ROCPRIM_400000_NS6detail17trampoline_kernelINS0_14default_configENS1_35adjacent_difference_config_selectorILb0EiEEZNS1_24adjacent_difference_implIS3_Lb0ELb0EPKiPiN6thrust23THRUST_200600_302600_NS4plusIiEEEE10hipError_tPvRmT2_T3_mT4_P12ihipStream_tbEUlT_E_NS1_11comp_targetILNS1_3genE9ELNS1_11target_archE1100ELNS1_3gpuE3ELNS1_3repE0EEENS1_30default_config_static_selectorELNS0_4arch9wavefront6targetE0EEEvT1_,"axG",@progbits,_ZN7rocprim17ROCPRIM_400000_NS6detail17trampoline_kernelINS0_14default_configENS1_35adjacent_difference_config_selectorILb0EiEEZNS1_24adjacent_difference_implIS3_Lb0ELb0EPKiPiN6thrust23THRUST_200600_302600_NS4plusIiEEEE10hipError_tPvRmT2_T3_mT4_P12ihipStream_tbEUlT_E_NS1_11comp_targetILNS1_3genE9ELNS1_11target_archE1100ELNS1_3gpuE3ELNS1_3repE0EEENS1_30default_config_static_selectorELNS0_4arch9wavefront6targetE0EEEvT1_,comdat
	.protected	_ZN7rocprim17ROCPRIM_400000_NS6detail17trampoline_kernelINS0_14default_configENS1_35adjacent_difference_config_selectorILb0EiEEZNS1_24adjacent_difference_implIS3_Lb0ELb0EPKiPiN6thrust23THRUST_200600_302600_NS4plusIiEEEE10hipError_tPvRmT2_T3_mT4_P12ihipStream_tbEUlT_E_NS1_11comp_targetILNS1_3genE9ELNS1_11target_archE1100ELNS1_3gpuE3ELNS1_3repE0EEENS1_30default_config_static_selectorELNS0_4arch9wavefront6targetE0EEEvT1_ ; -- Begin function _ZN7rocprim17ROCPRIM_400000_NS6detail17trampoline_kernelINS0_14default_configENS1_35adjacent_difference_config_selectorILb0EiEEZNS1_24adjacent_difference_implIS3_Lb0ELb0EPKiPiN6thrust23THRUST_200600_302600_NS4plusIiEEEE10hipError_tPvRmT2_T3_mT4_P12ihipStream_tbEUlT_E_NS1_11comp_targetILNS1_3genE9ELNS1_11target_archE1100ELNS1_3gpuE3ELNS1_3repE0EEENS1_30default_config_static_selectorELNS0_4arch9wavefront6targetE0EEEvT1_
	.globl	_ZN7rocprim17ROCPRIM_400000_NS6detail17trampoline_kernelINS0_14default_configENS1_35adjacent_difference_config_selectorILb0EiEEZNS1_24adjacent_difference_implIS3_Lb0ELb0EPKiPiN6thrust23THRUST_200600_302600_NS4plusIiEEEE10hipError_tPvRmT2_T3_mT4_P12ihipStream_tbEUlT_E_NS1_11comp_targetILNS1_3genE9ELNS1_11target_archE1100ELNS1_3gpuE3ELNS1_3repE0EEENS1_30default_config_static_selectorELNS0_4arch9wavefront6targetE0EEEvT1_
	.p2align	8
	.type	_ZN7rocprim17ROCPRIM_400000_NS6detail17trampoline_kernelINS0_14default_configENS1_35adjacent_difference_config_selectorILb0EiEEZNS1_24adjacent_difference_implIS3_Lb0ELb0EPKiPiN6thrust23THRUST_200600_302600_NS4plusIiEEEE10hipError_tPvRmT2_T3_mT4_P12ihipStream_tbEUlT_E_NS1_11comp_targetILNS1_3genE9ELNS1_11target_archE1100ELNS1_3gpuE3ELNS1_3repE0EEENS1_30default_config_static_selectorELNS0_4arch9wavefront6targetE0EEEvT1_,@function
_ZN7rocprim17ROCPRIM_400000_NS6detail17trampoline_kernelINS0_14default_configENS1_35adjacent_difference_config_selectorILb0EiEEZNS1_24adjacent_difference_implIS3_Lb0ELb0EPKiPiN6thrust23THRUST_200600_302600_NS4plusIiEEEE10hipError_tPvRmT2_T3_mT4_P12ihipStream_tbEUlT_E_NS1_11comp_targetILNS1_3genE9ELNS1_11target_archE1100ELNS1_3gpuE3ELNS1_3repE0EEENS1_30default_config_static_selectorELNS0_4arch9wavefront6targetE0EEEvT1_: ; @_ZN7rocprim17ROCPRIM_400000_NS6detail17trampoline_kernelINS0_14default_configENS1_35adjacent_difference_config_selectorILb0EiEEZNS1_24adjacent_difference_implIS3_Lb0ELb0EPKiPiN6thrust23THRUST_200600_302600_NS4plusIiEEEE10hipError_tPvRmT2_T3_mT4_P12ihipStream_tbEUlT_E_NS1_11comp_targetILNS1_3genE9ELNS1_11target_archE1100ELNS1_3gpuE3ELNS1_3repE0EEENS1_30default_config_static_selectorELNS0_4arch9wavefront6targetE0EEEvT1_
; %bb.0:
	s_load_b256 s[4:11], s[0:1], 0x0
	s_mov_b32 s2, 0x2cccca00
	s_waitcnt lgkmcnt(0)
	s_lshl_b64 s[6:7], s[6:7], 2
	s_delay_alu instid0(SALU_CYCLE_1) | instskip(SKIP_4) | instid1(VALU_DEP_1)
	s_add_u32 s17, s4, s6
	s_addc_u32 s18, s5, s7
	s_add_u32 s2, 0x230, s2
	s_addc_u32 s3, 0, 0
	v_add_co_u32 v1, s2, 0xa0000000, s2
	s_cmp_lg_u32 s2, 0
	s_addc_u32 s3, s3, 0xccccc
	s_delay_alu instid0(VALU_DEP_1) | instskip(SKIP_1) | instid1(VALU_DEP_1)
	v_readfirstlane_b32 s2, v1
	s_mul_i32 s4, s3, 0xffffec00
	s_mul_hi_u32 s5, s2, 0xffffec00
	s_mul_i32 s12, s2, 0xffffec00
	s_sub_i32 s5, s5, s2
	s_mul_hi_u32 s13, s2, s12
	s_add_i32 s5, s5, s4
	s_mul_hi_u32 s14, s3, s12
	s_mul_i32 s4, s3, s12
	s_mul_hi_u32 s12, s2, s5
	s_mul_i32 s2, s2, s5
	s_mul_hi_u32 s16, s3, s5
	s_add_u32 s2, s13, s2
	s_addc_u32 s12, 0, s12
	s_add_u32 s2, s2, s4
	s_mul_i32 s5, s3, s5
	s_addc_u32 s2, s12, s14
	s_addc_u32 s4, s16, 0
	s_add_u32 s2, s2, s5
	s_addc_u32 s4, 0, s4
	v_add_co_u32 v1, s2, v1, s2
	s_delay_alu instid0(VALU_DEP_1) | instskip(SKIP_1) | instid1(VALU_DEP_1)
	s_cmp_lg_u32 s2, 0
	s_addc_u32 s2, s3, s4
	v_readfirstlane_b32 s3, v1
	s_mul_i32 s5, s10, s2
	s_mul_hi_u32 s4, s10, s2
	s_mul_hi_u32 s12, s11, s2
	s_mul_i32 s2, s11, s2
	s_mul_hi_u32 s13, s10, s3
	s_mul_hi_u32 s14, s11, s3
	s_mul_i32 s3, s11, s3
	s_add_u32 s5, s13, s5
	s_addc_u32 s4, 0, s4
	s_add_u32 s3, s5, s3
	s_addc_u32 s3, s4, s14
	s_addc_u32 s4, s12, 0
	s_add_u32 s5, s3, s2
	s_addc_u32 s4, 0, s4
	s_mul_i32 s3, s5, 0x1400
	s_add_u32 s2, s5, 1
	v_sub_co_u32 v1, s3, s10, s3
	s_mul_hi_u32 s12, s5, 0x1400
	s_addc_u32 s13, s4, 0
	s_mul_i32 s14, s4, 0x1400
	s_delay_alu instid0(VALU_DEP_1)
	v_subrev_co_u32 v2, s16, 0x1400, v1
	s_add_u32 s19, s5, 2
	s_addc_u32 s20, s4, 0
	s_add_i32 s12, s12, s14
	s_cmp_lg_u32 s3, 0
	v_readfirstlane_b32 s3, v2
	s_subb_u32 s12, s11, s12
	s_cmp_lg_u32 s16, 0
	s_subb_u32 s14, s12, 0
	s_delay_alu instid0(VALU_DEP_1) | instskip(SKIP_4) | instid1(SALU_CYCLE_1)
	s_cmpk_gt_u32 s3, 0x13ff
	s_cselect_b32 s3, -1, 0
	s_cmp_eq_u32 s14, 0
	v_readfirstlane_b32 s14, v1
	s_cselect_b32 s3, s3, -1
	s_cmp_lg_u32 s3, 0
	s_cselect_b32 s16, s19, s2
	s_cselect_b32 s13, s20, s13
	s_cmpk_gt_u32 s14, 0x13ff
	s_mov_b32 s14, -1
	s_cselect_b32 s2, -1, 0
	s_cmp_eq_u32 s12, 0
	s_cselect_b32 s2, s2, -1
	s_delay_alu instid0(SALU_CYCLE_1)
	s_cmp_lg_u32 s2, 0
	s_load_b64 s[2:3], s[0:1], 0x30
	s_cselect_b32 s4, s13, s4
	s_cselect_b32 s5, s16, s5
	s_mul_i32 s0, s4, 0x1400
	s_mul_hi_u32 s1, s5, 0x1400
	s_mul_i32 s12, s5, 0x1400
	s_add_i32 s1, s1, s0
	s_sub_u32 s0, s10, s12
	s_subb_u32 s1, s11, s1
	s_delay_alu instid0(SALU_CYCLE_1) | instskip(SKIP_1) | instid1(SALU_CYCLE_1)
	s_cmp_lg_u64 s[0:1], 0
	s_cselect_b32 s0, -1, 0
	v_cndmask_b32_e64 v1, 0, 1, s0
	s_delay_alu instid0(VALU_DEP_1) | instskip(NEXT) | instid1(VALU_DEP_1)
	v_readfirstlane_b32 s0, v1
	s_add_u32 s0, s5, s0
	s_addc_u32 s1, s4, 0
	s_waitcnt lgkmcnt(0)
	s_add_u32 s4, s2, s15
	s_addc_u32 s5, s3, 0
	s_add_u32 s12, s0, -1
	s_addc_u32 s13, s1, -1
	s_mul_i32 s2, s15, 0x1400
	v_cmp_ge_u64_e64 s16, s[4:5], s[12:13]
	s_mov_b32 s3, 0
	s_mul_i32 s11, s12, 0xffffec00
	s_delay_alu instid0(VALU_DEP_1)
	s_and_b32 vcc_lo, exec_lo, s16
	s_cbranch_vccz .LBB729_12
; %bb.1:
	s_lshl_b64 s[14:15], s[2:3], 2
	s_add_i32 s19, s11, s10
	s_add_u32 s14, s17, s14
	s_addc_u32 s15, s18, s15
	s_mov_b32 s3, exec_lo
                                        ; implicit-def: $vgpr1_vgpr2_vgpr3_vgpr4_vgpr5
	v_cmpx_gt_u32_e64 s19, v0
	s_cbranch_execz .LBB729_3
; %bb.2:
	v_lshlrev_b32_e32 v1, 2, v0
	global_load_b32 v1, v1, s[14:15]
.LBB729_3:
	s_or_b32 exec_lo, exec_lo, s3
	v_or_b32_e32 v6, 0x400, v0
	s_mov_b32 s3, exec_lo
	s_delay_alu instid0(VALU_DEP_1)
	v_cmpx_gt_u32_e64 s19, v6
	s_cbranch_execz .LBB729_5
; %bb.4:
	v_lshlrev_b32_e32 v2, 2, v6
	global_load_b32 v2, v2, s[14:15]
.LBB729_5:
	s_or_b32 exec_lo, exec_lo, s3
	v_or_b32_e32 v6, 0x800, v0
	s_mov_b32 s3, exec_lo
	s_delay_alu instid0(VALU_DEP_1)
	;; [unrolled: 10-line block ×4, first 2 shown]
	v_cmpx_gt_u32_e64 s19, v6
	s_cbranch_execz .LBB729_11
; %bb.10:
	v_lshlrev_b32_e32 v5, 2, v6
	global_load_b32 v5, v5, s[14:15]
.LBB729_11:
	s_or_b32 exec_lo, exec_lo, s3
	v_lshlrev_b32_e32 v6, 2, v0
	s_mov_b32 s14, 0
	s_waitcnt vmcnt(0)
	ds_store_2addr_stride64_b32 v6, v1, v2 offset1:16
	ds_store_2addr_stride64_b32 v6, v3, v4 offset0:32 offset1:48
	ds_store_b32 v6, v5 offset:16384
	s_waitcnt lgkmcnt(0)
	s_barrier
.LBB729_12:
	v_lshlrev_b32_e32 v8, 2, v0
	s_and_b32 vcc_lo, exec_lo, s14
	s_cbranch_vccz .LBB729_14
; %bb.13:
	s_mov_b32 s3, 0
	s_delay_alu instid0(SALU_CYCLE_1) | instskip(NEXT) | instid1(SALU_CYCLE_1)
	s_lshl_b64 s[14:15], s[2:3], 2
	s_add_u32 s14, s17, s14
	s_addc_u32 s15, s18, s15
	v_add_co_u32 v3, s3, s14, v8
	s_delay_alu instid0(VALU_DEP_1) | instskip(NEXT) | instid1(VALU_DEP_2)
	v_add_co_ci_u32_e64 v4, null, s15, 0, s3
	v_add_co_u32 v1, vcc_lo, v3, 0x2000
	s_delay_alu instid0(VALU_DEP_2)
	v_add_co_ci_u32_e32 v2, vcc_lo, 0, v4, vcc_lo
	v_add_co_u32 v3, vcc_lo, v3, 0x4000
	v_add_co_ci_u32_e32 v4, vcc_lo, 0, v4, vcc_lo
	s_clause 0x4
	global_load_b32 v5, v8, s[14:15]
	global_load_b32 v6, v[1:2], off offset:-4096
	global_load_b32 v1, v[1:2], off
	global_load_b32 v2, v[3:4], off offset:-4096
	global_load_b32 v3, v[3:4], off
	s_waitcnt vmcnt(3)
	ds_store_2addr_stride64_b32 v8, v5, v6 offset1:16
	s_waitcnt vmcnt(1)
	ds_store_2addr_stride64_b32 v8, v1, v2 offset0:32 offset1:48
	s_waitcnt vmcnt(0)
	ds_store_b32 v8, v3 offset:16384
	s_waitcnt lgkmcnt(0)
	s_barrier
.LBB729_14:
	v_mul_u32_u24_e32 v1, 5, v0
	buffer_gl0_inv
	s_cmp_eq_u64 s[4:5], 0
	v_lshlrev_b32_e32 v5, 2, v1
	ds_load_2addr_b32 v[1:2], v5 offset1:1
	ds_load_2addr_b32 v[3:4], v5 offset0:2 offset1:3
	ds_load_b32 v5, v5 offset:16
	s_waitcnt lgkmcnt(0)
	s_barrier
	buffer_gl0_inv
	s_cbranch_scc1 .LBB729_19
; %bb.15:
	s_mov_b32 s3, 0
	s_delay_alu instid0(SALU_CYCLE_1) | instskip(NEXT) | instid1(SALU_CYCLE_1)
	s_lshl_b64 s[14:15], s[2:3], 2
	s_add_u32 s3, s17, s14
	s_addc_u32 s15, s18, s15
	s_add_u32 s14, s3, -4
	s_addc_u32 s15, s15, -1
	s_cmp_eq_u64 s[4:5], s[12:13]
	s_load_b32 s3, s[14:15], 0x0
	s_cbranch_scc1 .LBB729_20
; %bb.16:
	s_waitcnt lgkmcnt(0)
	v_mov_b32_e32 v6, s3
	s_mov_b32 s5, exec_lo
	ds_store_b32 v8, v5
	s_waitcnt lgkmcnt(0)
	s_barrier
	buffer_gl0_inv
	v_cmpx_ne_u32_e32 0, v0
	s_cbranch_execz .LBB729_18
; %bb.17:
	v_add_nc_u32_e32 v6, -4, v8
	ds_load_b32 v6, v6
.LBB729_18:
	s_or_b32 exec_lo, exec_lo, s5
	v_add_nc_u32_e32 v9, v5, v4
	v_add_nc_u32_e32 v10, v4, v3
	;; [unrolled: 1-line block ×4, first 2 shown]
	s_cbranch_execz .LBB729_21
	s_branch .LBB729_24
.LBB729_19:
	s_mov_b32 s3, 0
                                        ; implicit-def: $vgpr9
                                        ; implicit-def: $vgpr10
                                        ; implicit-def: $vgpr11
                                        ; implicit-def: $vgpr12
                                        ; implicit-def: $vgpr6
	s_branch .LBB729_25
.LBB729_20:
                                        ; implicit-def: $vgpr9
                                        ; implicit-def: $vgpr10
                                        ; implicit-def: $vgpr11
                                        ; implicit-def: $vgpr12
                                        ; implicit-def: $vgpr6
.LBB729_21:
	s_waitcnt lgkmcnt(0)
	v_mul_u32_u24_e32 v6, 5, v0
	v_mov_b32_e32 v7, s3
	s_mov_b32 s3, exec_lo
	ds_store_b32 v8, v5
	s_waitcnt lgkmcnt(0)
	s_barrier
	buffer_gl0_inv
	v_cmpx_ne_u32_e32 0, v0
	s_cbranch_execz .LBB729_23
; %bb.22:
	v_add_nc_u32_e32 v7, -4, v8
	ds_load_b32 v7, v7
.LBB729_23:
	s_or_b32 exec_lo, exec_lo, s3
	v_add_nc_u32_e32 v11, v4, v3
	v_add_nc_u32_e32 v9, 4, v6
	s_mul_i32 s3, s4, 0xffffec00
	v_add_nc_u32_e32 v13, v3, v2
	s_add_i32 s3, s3, s10
	v_add_nc_u32_e32 v10, v5, v4
	v_cmp_gt_u32_e32 vcc_lo, s3, v9
	v_add_nc_u32_e32 v15, v2, v1
	v_add_nc_u32_e32 v12, 2, v6
	;; [unrolled: 1-line block ×3, first 2 shown]
	v_cndmask_b32_e32 v9, v5, v10, vcc_lo
	v_add_nc_u32_e32 v10, 3, v6
	s_delay_alu instid0(VALU_DEP_1)
	v_cmp_gt_u32_e32 vcc_lo, s3, v10
	v_cndmask_b32_e32 v10, v4, v11, vcc_lo
	v_cmp_gt_u32_e32 vcc_lo, s3, v12
	v_cndmask_b32_e32 v11, v3, v13, vcc_lo
	;; [unrolled: 2-line block ×3, first 2 shown]
	v_cmp_gt_u32_e32 vcc_lo, s3, v6
	s_waitcnt lgkmcnt(0)
	v_cndmask_b32_e32 v6, 0, v7, vcc_lo
.LBB729_24:
	s_waitcnt lgkmcnt(0)
	s_mov_b32 s3, -1
	s_cbranch_execnz .LBB729_33
.LBB729_25:
	v_add_nc_u32_e32 v9, v5, v4
	v_add_nc_u32_e32 v10, v4, v3
	v_add_nc_u32_e32 v11, v3, v2
	v_add_nc_u32_e32 v12, v2, v1
	v_cmp_ne_u32_e32 vcc_lo, 0, v0
	s_cmp_lg_u64 s[0:1], 1
	s_cbranch_scc0 .LBB729_29
; %bb.26:
	s_mov_b32 s0, 0
	ds_store_b32 v8, v5
	s_waitcnt lgkmcnt(0)
	s_barrier
	buffer_gl0_inv
                                        ; implicit-def: $vgpr6
	s_and_saveexec_b32 s1, vcc_lo
	s_cbranch_execz .LBB729_28
; %bb.27:
	v_add_nc_u32_e32 v6, -4, v8
	s_or_b32 s3, s3, exec_lo
	ds_load_b32 v6, v6
.LBB729_28:
	s_or_b32 exec_lo, exec_lo, s1
	s_delay_alu instid0(SALU_CYCLE_1)
	s_and_b32 vcc_lo, exec_lo, s0
	s_cbranch_vccnz .LBB729_30
	s_branch .LBB729_33
.LBB729_29:
                                        ; implicit-def: $vgpr6
	s_cbranch_execz .LBB729_33
.LBB729_30:
	s_waitcnt lgkmcnt(0)
	v_mad_u32_u24 v6, v0, 5, 4
	v_mad_u32_u24 v7, v0, 5, 3
	;; [unrolled: 1-line block ×3, first 2 shown]
	v_mul_u32_u24_e32 v13, 5, v0
	ds_store_b32 v8, v5
	v_cmp_gt_u32_e32 vcc_lo, s10, v6
	s_waitcnt lgkmcnt(0)
	s_barrier
	v_cmp_gt_u32_e64 s0, s10, v13
	buffer_gl0_inv
	v_cndmask_b32_e32 v9, v5, v9, vcc_lo
	v_cmp_gt_u32_e32 vcc_lo, s10, v7
                                        ; implicit-def: $vgpr6
	v_cndmask_b32_e32 v10, v4, v10, vcc_lo
	v_mad_u32_u24 v4, v0, 5, 1
	v_cmp_gt_u32_e32 vcc_lo, s10, v14
	s_delay_alu instid0(VALU_DEP_2) | instskip(SKIP_2) | instid1(VALU_DEP_3)
	v_cmp_gt_u32_e64 s1, s10, v4
	v_cndmask_b32_e32 v11, v3, v11, vcc_lo
	v_cmp_ne_u32_e32 vcc_lo, 0, v0
	v_cndmask_b32_e64 v12, v2, v12, s1
	s_and_b32 s1, vcc_lo, s0
	s_delay_alu instid0(SALU_CYCLE_1)
	s_and_saveexec_b32 s0, s1
	s_cbranch_execz .LBB729_32
; %bb.31:
	v_add_nc_u32_e32 v2, -4, v8
	s_or_b32 s3, s3, exec_lo
	ds_load_b32 v6, v2
.LBB729_32:
	s_or_b32 exec_lo, exec_lo, s0
.LBB729_33:
	s_and_saveexec_b32 s0, s3
	s_cbranch_execz .LBB729_35
; %bb.34:
	s_waitcnt lgkmcnt(0)
	v_add_nc_u32_e32 v1, v6, v1
.LBB729_35:
	s_or_b32 exec_lo, exec_lo, s0
	v_mul_u32_u24_e32 v13, 20, v0
	v_lshlrev_b32_e32 v14, 4, v0
	s_add_u32 s1, s8, s6
	s_addc_u32 s0, s9, s7
	s_and_b32 vcc_lo, exec_lo, s16
	s_waitcnt lgkmcnt(0)
	s_barrier
	buffer_gl0_inv
	s_cbranch_vccz .LBB729_45
; %bb.36:
	v_sub_nc_u32_e32 v2, v13, v14
	ds_store_2addr_b32 v13, v1, v12 offset1:1
	ds_store_2addr_b32 v13, v11, v10 offset0:2 offset1:3
	ds_store_b32 v13, v9 offset:16
	s_waitcnt lgkmcnt(0)
	s_barrier
	buffer_gl0_inv
	ds_load_2addr_stride64_b32 v[6:7], v2 offset0:16 offset1:32
	ds_load_2addr_stride64_b32 v[2:3], v2 offset0:48 offset1:64
	s_mov_b32 s3, 0
	s_add_i32 s11, s11, s10
	s_lshl_b64 s[4:5], s[2:3], 2
	s_delay_alu instid0(SALU_CYCLE_1) | instskip(SKIP_2) | instid1(VALU_DEP_1)
	s_add_u32 s3, s1, s4
	s_addc_u32 s4, s0, s5
	v_add_co_u32 v4, s3, s3, v8
	v_add_co_ci_u32_e64 v5, null, s4, 0, s3
	s_mov_b32 s3, exec_lo
	v_cmpx_gt_u32_e64 s11, v0
	s_cbranch_execz .LBB729_38
; %bb.37:
	v_sub_nc_u32_e32 v15, 0, v14
	s_delay_alu instid0(VALU_DEP_1)
	v_add_nc_u32_e32 v15, v13, v15
	ds_load_b32 v15, v15
	s_waitcnt lgkmcnt(0)
	global_store_b32 v[4:5], v15, off
.LBB729_38:
	s_or_b32 exec_lo, exec_lo, s3
	v_or_b32_e32 v15, 0x400, v0
	s_mov_b32 s3, exec_lo
	s_delay_alu instid0(VALU_DEP_1)
	v_cmpx_gt_u32_e64 s11, v15
	s_cbranch_execz .LBB729_40
; %bb.39:
	v_add_co_u32 v15, vcc_lo, 0x1000, v4
	v_add_co_ci_u32_e32 v16, vcc_lo, 0, v5, vcc_lo
	s_waitcnt lgkmcnt(1)
	global_store_b32 v[15:16], v6, off
.LBB729_40:
	s_or_b32 exec_lo, exec_lo, s3
	s_waitcnt lgkmcnt(1)
	v_or_b32_e32 v6, 0x800, v0
	s_mov_b32 s3, exec_lo
	s_delay_alu instid0(VALU_DEP_1)
	v_cmpx_gt_u32_e64 s11, v6
	s_cbranch_execz .LBB729_42
; %bb.41:
	v_add_co_u32 v15, vcc_lo, 0x2000, v4
	v_add_co_ci_u32_e32 v16, vcc_lo, 0, v5, vcc_lo
	global_store_b32 v[15:16], v7, off
.LBB729_42:
	s_or_b32 exec_lo, exec_lo, s3
	v_or_b32_e32 v6, 0xc00, v0
	s_mov_b32 s3, exec_lo
	s_delay_alu instid0(VALU_DEP_1)
	v_cmpx_gt_u32_e64 s11, v6
	s_cbranch_execz .LBB729_44
; %bb.43:
	v_add_co_u32 v6, vcc_lo, 0x3000, v4
	v_add_co_ci_u32_e32 v7, vcc_lo, 0, v5, vcc_lo
	s_waitcnt lgkmcnt(0)
	global_store_b32 v[6:7], v2, off
.LBB729_44:
	s_or_b32 exec_lo, exec_lo, s3
	v_or_b32_e32 v0, 0x1000, v0
	s_delay_alu instid0(VALU_DEP_1)
	v_cmp_gt_u32_e64 s4, s11, v0
	s_branch .LBB729_47
.LBB729_45:
	s_mov_b32 s4, 0
                                        ; implicit-def: $vgpr3
                                        ; implicit-def: $vgpr4_vgpr5
	s_cbranch_execz .LBB729_47
; %bb.46:
	s_waitcnt lgkmcnt(0)
	v_sub_nc_u32_e32 v2, v13, v14
	s_mov_b32 s3, 0
	ds_store_2addr_b32 v13, v1, v12 offset1:1
	ds_store_2addr_b32 v13, v11, v10 offset0:2 offset1:3
	ds_store_b32 v13, v9 offset:16
	s_waitcnt lgkmcnt(0)
	s_waitcnt_vscnt null, 0x0
	s_barrier
	buffer_gl0_inv
	ds_load_2addr_stride64_b32 v[0:1], v2 offset1:16
	ds_load_2addr_stride64_b32 v[6:7], v2 offset0:32 offset1:48
	ds_load_b32 v3, v2 offset:16384
	s_lshl_b64 s[2:3], s[2:3], 2
	s_delay_alu instid0(SALU_CYCLE_1) | instskip(SKIP_2) | instid1(VALU_DEP_1)
	s_add_u32 s2, s1, s2
	s_addc_u32 s3, s0, s3
	v_add_co_u32 v4, s0, s2, v8
	v_add_co_ci_u32_e64 v5, null, s3, 0, s0
	s_or_b32 s4, s4, exec_lo
	s_delay_alu instid0(VALU_DEP_2) | instskip(NEXT) | instid1(VALU_DEP_2)
	v_add_co_u32 v9, vcc_lo, v4, 0x2000
	v_add_co_ci_u32_e32 v10, vcc_lo, 0, v5, vcc_lo
	v_add_co_u32 v11, vcc_lo, 0x3000, v4
	v_add_co_ci_u32_e32 v12, vcc_lo, 0, v5, vcc_lo
	s_waitcnt lgkmcnt(2)
	s_clause 0x1
	global_store_b32 v[9:10], v1, off offset:-4096
	global_store_b32 v8, v0, s[2:3]
	s_waitcnt lgkmcnt(1)
	s_clause 0x1
	global_store_b32 v[9:10], v6, off
	global_store_b32 v[11:12], v7, off
.LBB729_47:
	s_delay_alu instid0(VALU_DEP_1)
	s_and_saveexec_b32 s0, s4
	s_cbranch_execnz .LBB729_49
; %bb.48:
	s_nop 0
	s_sendmsg sendmsg(MSG_DEALLOC_VGPRS)
	s_endpgm
.LBB729_49:
	v_add_co_u32 v0, vcc_lo, 0x4000, v4
	v_add_co_ci_u32_e32 v1, vcc_lo, 0, v5, vcc_lo
	s_waitcnt lgkmcnt(0)
	global_store_b32 v[0:1], v3, off
	s_nop 0
	s_sendmsg sendmsg(MSG_DEALLOC_VGPRS)
	s_endpgm
	.section	.rodata,"a",@progbits
	.p2align	6, 0x0
	.amdhsa_kernel _ZN7rocprim17ROCPRIM_400000_NS6detail17trampoline_kernelINS0_14default_configENS1_35adjacent_difference_config_selectorILb0EiEEZNS1_24adjacent_difference_implIS3_Lb0ELb0EPKiPiN6thrust23THRUST_200600_302600_NS4plusIiEEEE10hipError_tPvRmT2_T3_mT4_P12ihipStream_tbEUlT_E_NS1_11comp_targetILNS1_3genE9ELNS1_11target_archE1100ELNS1_3gpuE3ELNS1_3repE0EEENS1_30default_config_static_selectorELNS0_4arch9wavefront6targetE0EEEvT1_
		.amdhsa_group_segment_fixed_size 20480
		.amdhsa_private_segment_fixed_size 0
		.amdhsa_kernarg_size 56
		.amdhsa_user_sgpr_count 15
		.amdhsa_user_sgpr_dispatch_ptr 0
		.amdhsa_user_sgpr_queue_ptr 0
		.amdhsa_user_sgpr_kernarg_segment_ptr 1
		.amdhsa_user_sgpr_dispatch_id 0
		.amdhsa_user_sgpr_private_segment_size 0
		.amdhsa_wavefront_size32 1
		.amdhsa_uses_dynamic_stack 0
		.amdhsa_enable_private_segment 0
		.amdhsa_system_sgpr_workgroup_id_x 1
		.amdhsa_system_sgpr_workgroup_id_y 0
		.amdhsa_system_sgpr_workgroup_id_z 0
		.amdhsa_system_sgpr_workgroup_info 0
		.amdhsa_system_vgpr_workitem_id 0
		.amdhsa_next_free_vgpr 17
		.amdhsa_next_free_sgpr 21
		.amdhsa_reserve_vcc 1
		.amdhsa_float_round_mode_32 0
		.amdhsa_float_round_mode_16_64 0
		.amdhsa_float_denorm_mode_32 3
		.amdhsa_float_denorm_mode_16_64 3
		.amdhsa_dx10_clamp 1
		.amdhsa_ieee_mode 1
		.amdhsa_fp16_overflow 0
		.amdhsa_workgroup_processor_mode 1
		.amdhsa_memory_ordered 1
		.amdhsa_forward_progress 0
		.amdhsa_shared_vgpr_count 0
		.amdhsa_exception_fp_ieee_invalid_op 0
		.amdhsa_exception_fp_denorm_src 0
		.amdhsa_exception_fp_ieee_div_zero 0
		.amdhsa_exception_fp_ieee_overflow 0
		.amdhsa_exception_fp_ieee_underflow 0
		.amdhsa_exception_fp_ieee_inexact 0
		.amdhsa_exception_int_div_zero 0
	.end_amdhsa_kernel
	.section	.text._ZN7rocprim17ROCPRIM_400000_NS6detail17trampoline_kernelINS0_14default_configENS1_35adjacent_difference_config_selectorILb0EiEEZNS1_24adjacent_difference_implIS3_Lb0ELb0EPKiPiN6thrust23THRUST_200600_302600_NS4plusIiEEEE10hipError_tPvRmT2_T3_mT4_P12ihipStream_tbEUlT_E_NS1_11comp_targetILNS1_3genE9ELNS1_11target_archE1100ELNS1_3gpuE3ELNS1_3repE0EEENS1_30default_config_static_selectorELNS0_4arch9wavefront6targetE0EEEvT1_,"axG",@progbits,_ZN7rocprim17ROCPRIM_400000_NS6detail17trampoline_kernelINS0_14default_configENS1_35adjacent_difference_config_selectorILb0EiEEZNS1_24adjacent_difference_implIS3_Lb0ELb0EPKiPiN6thrust23THRUST_200600_302600_NS4plusIiEEEE10hipError_tPvRmT2_T3_mT4_P12ihipStream_tbEUlT_E_NS1_11comp_targetILNS1_3genE9ELNS1_11target_archE1100ELNS1_3gpuE3ELNS1_3repE0EEENS1_30default_config_static_selectorELNS0_4arch9wavefront6targetE0EEEvT1_,comdat
.Lfunc_end729:
	.size	_ZN7rocprim17ROCPRIM_400000_NS6detail17trampoline_kernelINS0_14default_configENS1_35adjacent_difference_config_selectorILb0EiEEZNS1_24adjacent_difference_implIS3_Lb0ELb0EPKiPiN6thrust23THRUST_200600_302600_NS4plusIiEEEE10hipError_tPvRmT2_T3_mT4_P12ihipStream_tbEUlT_E_NS1_11comp_targetILNS1_3genE9ELNS1_11target_archE1100ELNS1_3gpuE3ELNS1_3repE0EEENS1_30default_config_static_selectorELNS0_4arch9wavefront6targetE0EEEvT1_, .Lfunc_end729-_ZN7rocprim17ROCPRIM_400000_NS6detail17trampoline_kernelINS0_14default_configENS1_35adjacent_difference_config_selectorILb0EiEEZNS1_24adjacent_difference_implIS3_Lb0ELb0EPKiPiN6thrust23THRUST_200600_302600_NS4plusIiEEEE10hipError_tPvRmT2_T3_mT4_P12ihipStream_tbEUlT_E_NS1_11comp_targetILNS1_3genE9ELNS1_11target_archE1100ELNS1_3gpuE3ELNS1_3repE0EEENS1_30default_config_static_selectorELNS0_4arch9wavefront6targetE0EEEvT1_
                                        ; -- End function
	.section	.AMDGPU.csdata,"",@progbits
; Kernel info:
; codeLenInByte = 2308
; NumSgprs: 23
; NumVgprs: 17
; ScratchSize: 0
; MemoryBound: 0
; FloatMode: 240
; IeeeMode: 1
; LDSByteSize: 20480 bytes/workgroup (compile time only)
; SGPRBlocks: 2
; VGPRBlocks: 2
; NumSGPRsForWavesPerEU: 23
; NumVGPRsForWavesPerEU: 17
; Occupancy: 16
; WaveLimiterHint : 1
; COMPUTE_PGM_RSRC2:SCRATCH_EN: 0
; COMPUTE_PGM_RSRC2:USER_SGPR: 15
; COMPUTE_PGM_RSRC2:TRAP_HANDLER: 0
; COMPUTE_PGM_RSRC2:TGID_X_EN: 1
; COMPUTE_PGM_RSRC2:TGID_Y_EN: 0
; COMPUTE_PGM_RSRC2:TGID_Z_EN: 0
; COMPUTE_PGM_RSRC2:TIDIG_COMP_CNT: 0
	.section	.text._ZN7rocprim17ROCPRIM_400000_NS6detail17trampoline_kernelINS0_14default_configENS1_35adjacent_difference_config_selectorILb0EiEEZNS1_24adjacent_difference_implIS3_Lb0ELb0EPKiPiN6thrust23THRUST_200600_302600_NS4plusIiEEEE10hipError_tPvRmT2_T3_mT4_P12ihipStream_tbEUlT_E_NS1_11comp_targetILNS1_3genE8ELNS1_11target_archE1030ELNS1_3gpuE2ELNS1_3repE0EEENS1_30default_config_static_selectorELNS0_4arch9wavefront6targetE0EEEvT1_,"axG",@progbits,_ZN7rocprim17ROCPRIM_400000_NS6detail17trampoline_kernelINS0_14default_configENS1_35adjacent_difference_config_selectorILb0EiEEZNS1_24adjacent_difference_implIS3_Lb0ELb0EPKiPiN6thrust23THRUST_200600_302600_NS4plusIiEEEE10hipError_tPvRmT2_T3_mT4_P12ihipStream_tbEUlT_E_NS1_11comp_targetILNS1_3genE8ELNS1_11target_archE1030ELNS1_3gpuE2ELNS1_3repE0EEENS1_30default_config_static_selectorELNS0_4arch9wavefront6targetE0EEEvT1_,comdat
	.protected	_ZN7rocprim17ROCPRIM_400000_NS6detail17trampoline_kernelINS0_14default_configENS1_35adjacent_difference_config_selectorILb0EiEEZNS1_24adjacent_difference_implIS3_Lb0ELb0EPKiPiN6thrust23THRUST_200600_302600_NS4plusIiEEEE10hipError_tPvRmT2_T3_mT4_P12ihipStream_tbEUlT_E_NS1_11comp_targetILNS1_3genE8ELNS1_11target_archE1030ELNS1_3gpuE2ELNS1_3repE0EEENS1_30default_config_static_selectorELNS0_4arch9wavefront6targetE0EEEvT1_ ; -- Begin function _ZN7rocprim17ROCPRIM_400000_NS6detail17trampoline_kernelINS0_14default_configENS1_35adjacent_difference_config_selectorILb0EiEEZNS1_24adjacent_difference_implIS3_Lb0ELb0EPKiPiN6thrust23THRUST_200600_302600_NS4plusIiEEEE10hipError_tPvRmT2_T3_mT4_P12ihipStream_tbEUlT_E_NS1_11comp_targetILNS1_3genE8ELNS1_11target_archE1030ELNS1_3gpuE2ELNS1_3repE0EEENS1_30default_config_static_selectorELNS0_4arch9wavefront6targetE0EEEvT1_
	.globl	_ZN7rocprim17ROCPRIM_400000_NS6detail17trampoline_kernelINS0_14default_configENS1_35adjacent_difference_config_selectorILb0EiEEZNS1_24adjacent_difference_implIS3_Lb0ELb0EPKiPiN6thrust23THRUST_200600_302600_NS4plusIiEEEE10hipError_tPvRmT2_T3_mT4_P12ihipStream_tbEUlT_E_NS1_11comp_targetILNS1_3genE8ELNS1_11target_archE1030ELNS1_3gpuE2ELNS1_3repE0EEENS1_30default_config_static_selectorELNS0_4arch9wavefront6targetE0EEEvT1_
	.p2align	8
	.type	_ZN7rocprim17ROCPRIM_400000_NS6detail17trampoline_kernelINS0_14default_configENS1_35adjacent_difference_config_selectorILb0EiEEZNS1_24adjacent_difference_implIS3_Lb0ELb0EPKiPiN6thrust23THRUST_200600_302600_NS4plusIiEEEE10hipError_tPvRmT2_T3_mT4_P12ihipStream_tbEUlT_E_NS1_11comp_targetILNS1_3genE8ELNS1_11target_archE1030ELNS1_3gpuE2ELNS1_3repE0EEENS1_30default_config_static_selectorELNS0_4arch9wavefront6targetE0EEEvT1_,@function
_ZN7rocprim17ROCPRIM_400000_NS6detail17trampoline_kernelINS0_14default_configENS1_35adjacent_difference_config_selectorILb0EiEEZNS1_24adjacent_difference_implIS3_Lb0ELb0EPKiPiN6thrust23THRUST_200600_302600_NS4plusIiEEEE10hipError_tPvRmT2_T3_mT4_P12ihipStream_tbEUlT_E_NS1_11comp_targetILNS1_3genE8ELNS1_11target_archE1030ELNS1_3gpuE2ELNS1_3repE0EEENS1_30default_config_static_selectorELNS0_4arch9wavefront6targetE0EEEvT1_: ; @_ZN7rocprim17ROCPRIM_400000_NS6detail17trampoline_kernelINS0_14default_configENS1_35adjacent_difference_config_selectorILb0EiEEZNS1_24adjacent_difference_implIS3_Lb0ELb0EPKiPiN6thrust23THRUST_200600_302600_NS4plusIiEEEE10hipError_tPvRmT2_T3_mT4_P12ihipStream_tbEUlT_E_NS1_11comp_targetILNS1_3genE8ELNS1_11target_archE1030ELNS1_3gpuE2ELNS1_3repE0EEENS1_30default_config_static_selectorELNS0_4arch9wavefront6targetE0EEEvT1_
; %bb.0:
	.section	.rodata,"a",@progbits
	.p2align	6, 0x0
	.amdhsa_kernel _ZN7rocprim17ROCPRIM_400000_NS6detail17trampoline_kernelINS0_14default_configENS1_35adjacent_difference_config_selectorILb0EiEEZNS1_24adjacent_difference_implIS3_Lb0ELb0EPKiPiN6thrust23THRUST_200600_302600_NS4plusIiEEEE10hipError_tPvRmT2_T3_mT4_P12ihipStream_tbEUlT_E_NS1_11comp_targetILNS1_3genE8ELNS1_11target_archE1030ELNS1_3gpuE2ELNS1_3repE0EEENS1_30default_config_static_selectorELNS0_4arch9wavefront6targetE0EEEvT1_
		.amdhsa_group_segment_fixed_size 0
		.amdhsa_private_segment_fixed_size 0
		.amdhsa_kernarg_size 56
		.amdhsa_user_sgpr_count 15
		.amdhsa_user_sgpr_dispatch_ptr 0
		.amdhsa_user_sgpr_queue_ptr 0
		.amdhsa_user_sgpr_kernarg_segment_ptr 1
		.amdhsa_user_sgpr_dispatch_id 0
		.amdhsa_user_sgpr_private_segment_size 0
		.amdhsa_wavefront_size32 1
		.amdhsa_uses_dynamic_stack 0
		.amdhsa_enable_private_segment 0
		.amdhsa_system_sgpr_workgroup_id_x 1
		.amdhsa_system_sgpr_workgroup_id_y 0
		.amdhsa_system_sgpr_workgroup_id_z 0
		.amdhsa_system_sgpr_workgroup_info 0
		.amdhsa_system_vgpr_workitem_id 0
		.amdhsa_next_free_vgpr 1
		.amdhsa_next_free_sgpr 1
		.amdhsa_reserve_vcc 0
		.amdhsa_float_round_mode_32 0
		.amdhsa_float_round_mode_16_64 0
		.amdhsa_float_denorm_mode_32 3
		.amdhsa_float_denorm_mode_16_64 3
		.amdhsa_dx10_clamp 1
		.amdhsa_ieee_mode 1
		.amdhsa_fp16_overflow 0
		.amdhsa_workgroup_processor_mode 1
		.amdhsa_memory_ordered 1
		.amdhsa_forward_progress 0
		.amdhsa_shared_vgpr_count 0
		.amdhsa_exception_fp_ieee_invalid_op 0
		.amdhsa_exception_fp_denorm_src 0
		.amdhsa_exception_fp_ieee_div_zero 0
		.amdhsa_exception_fp_ieee_overflow 0
		.amdhsa_exception_fp_ieee_underflow 0
		.amdhsa_exception_fp_ieee_inexact 0
		.amdhsa_exception_int_div_zero 0
	.end_amdhsa_kernel
	.section	.text._ZN7rocprim17ROCPRIM_400000_NS6detail17trampoline_kernelINS0_14default_configENS1_35adjacent_difference_config_selectorILb0EiEEZNS1_24adjacent_difference_implIS3_Lb0ELb0EPKiPiN6thrust23THRUST_200600_302600_NS4plusIiEEEE10hipError_tPvRmT2_T3_mT4_P12ihipStream_tbEUlT_E_NS1_11comp_targetILNS1_3genE8ELNS1_11target_archE1030ELNS1_3gpuE2ELNS1_3repE0EEENS1_30default_config_static_selectorELNS0_4arch9wavefront6targetE0EEEvT1_,"axG",@progbits,_ZN7rocprim17ROCPRIM_400000_NS6detail17trampoline_kernelINS0_14default_configENS1_35adjacent_difference_config_selectorILb0EiEEZNS1_24adjacent_difference_implIS3_Lb0ELb0EPKiPiN6thrust23THRUST_200600_302600_NS4plusIiEEEE10hipError_tPvRmT2_T3_mT4_P12ihipStream_tbEUlT_E_NS1_11comp_targetILNS1_3genE8ELNS1_11target_archE1030ELNS1_3gpuE2ELNS1_3repE0EEENS1_30default_config_static_selectorELNS0_4arch9wavefront6targetE0EEEvT1_,comdat
.Lfunc_end730:
	.size	_ZN7rocprim17ROCPRIM_400000_NS6detail17trampoline_kernelINS0_14default_configENS1_35adjacent_difference_config_selectorILb0EiEEZNS1_24adjacent_difference_implIS3_Lb0ELb0EPKiPiN6thrust23THRUST_200600_302600_NS4plusIiEEEE10hipError_tPvRmT2_T3_mT4_P12ihipStream_tbEUlT_E_NS1_11comp_targetILNS1_3genE8ELNS1_11target_archE1030ELNS1_3gpuE2ELNS1_3repE0EEENS1_30default_config_static_selectorELNS0_4arch9wavefront6targetE0EEEvT1_, .Lfunc_end730-_ZN7rocprim17ROCPRIM_400000_NS6detail17trampoline_kernelINS0_14default_configENS1_35adjacent_difference_config_selectorILb0EiEEZNS1_24adjacent_difference_implIS3_Lb0ELb0EPKiPiN6thrust23THRUST_200600_302600_NS4plusIiEEEE10hipError_tPvRmT2_T3_mT4_P12ihipStream_tbEUlT_E_NS1_11comp_targetILNS1_3genE8ELNS1_11target_archE1030ELNS1_3gpuE2ELNS1_3repE0EEENS1_30default_config_static_selectorELNS0_4arch9wavefront6targetE0EEEvT1_
                                        ; -- End function
	.section	.AMDGPU.csdata,"",@progbits
; Kernel info:
; codeLenInByte = 0
; NumSgprs: 0
; NumVgprs: 0
; ScratchSize: 0
; MemoryBound: 0
; FloatMode: 240
; IeeeMode: 1
; LDSByteSize: 0 bytes/workgroup (compile time only)
; SGPRBlocks: 0
; VGPRBlocks: 0
; NumSGPRsForWavesPerEU: 1
; NumVGPRsForWavesPerEU: 1
; Occupancy: 16
; WaveLimiterHint : 0
; COMPUTE_PGM_RSRC2:SCRATCH_EN: 0
; COMPUTE_PGM_RSRC2:USER_SGPR: 15
; COMPUTE_PGM_RSRC2:TRAP_HANDLER: 0
; COMPUTE_PGM_RSRC2:TGID_X_EN: 1
; COMPUTE_PGM_RSRC2:TGID_Y_EN: 0
; COMPUTE_PGM_RSRC2:TGID_Z_EN: 0
; COMPUTE_PGM_RSRC2:TIDIG_COMP_CNT: 0
	.section	.text._ZN7rocprim17ROCPRIM_400000_NS6detail17trampoline_kernelINS0_14default_configENS1_25transform_config_selectorIiLb0EEEZNS1_14transform_implILb0ES3_S5_NS0_18transform_iteratorINS0_17counting_iteratorImlEEZNS1_24adjacent_difference_implIS3_Lb1ELb0EPKiPiN6thrust23THRUST_200600_302600_NS4plusIiEEEE10hipError_tPvRmT2_T3_mT4_P12ihipStream_tbEUlmE_iEESD_NS0_8identityIvEEEESI_SL_SM_mSN_SP_bEUlT_E_NS1_11comp_targetILNS1_3genE0ELNS1_11target_archE4294967295ELNS1_3gpuE0ELNS1_3repE0EEENS1_30default_config_static_selectorELNS0_4arch9wavefront6targetE0EEEvT1_,"axG",@progbits,_ZN7rocprim17ROCPRIM_400000_NS6detail17trampoline_kernelINS0_14default_configENS1_25transform_config_selectorIiLb0EEEZNS1_14transform_implILb0ES3_S5_NS0_18transform_iteratorINS0_17counting_iteratorImlEEZNS1_24adjacent_difference_implIS3_Lb1ELb0EPKiPiN6thrust23THRUST_200600_302600_NS4plusIiEEEE10hipError_tPvRmT2_T3_mT4_P12ihipStream_tbEUlmE_iEESD_NS0_8identityIvEEEESI_SL_SM_mSN_SP_bEUlT_E_NS1_11comp_targetILNS1_3genE0ELNS1_11target_archE4294967295ELNS1_3gpuE0ELNS1_3repE0EEENS1_30default_config_static_selectorELNS0_4arch9wavefront6targetE0EEEvT1_,comdat
	.protected	_ZN7rocprim17ROCPRIM_400000_NS6detail17trampoline_kernelINS0_14default_configENS1_25transform_config_selectorIiLb0EEEZNS1_14transform_implILb0ES3_S5_NS0_18transform_iteratorINS0_17counting_iteratorImlEEZNS1_24adjacent_difference_implIS3_Lb1ELb0EPKiPiN6thrust23THRUST_200600_302600_NS4plusIiEEEE10hipError_tPvRmT2_T3_mT4_P12ihipStream_tbEUlmE_iEESD_NS0_8identityIvEEEESI_SL_SM_mSN_SP_bEUlT_E_NS1_11comp_targetILNS1_3genE0ELNS1_11target_archE4294967295ELNS1_3gpuE0ELNS1_3repE0EEENS1_30default_config_static_selectorELNS0_4arch9wavefront6targetE0EEEvT1_ ; -- Begin function _ZN7rocprim17ROCPRIM_400000_NS6detail17trampoline_kernelINS0_14default_configENS1_25transform_config_selectorIiLb0EEEZNS1_14transform_implILb0ES3_S5_NS0_18transform_iteratorINS0_17counting_iteratorImlEEZNS1_24adjacent_difference_implIS3_Lb1ELb0EPKiPiN6thrust23THRUST_200600_302600_NS4plusIiEEEE10hipError_tPvRmT2_T3_mT4_P12ihipStream_tbEUlmE_iEESD_NS0_8identityIvEEEESI_SL_SM_mSN_SP_bEUlT_E_NS1_11comp_targetILNS1_3genE0ELNS1_11target_archE4294967295ELNS1_3gpuE0ELNS1_3repE0EEENS1_30default_config_static_selectorELNS0_4arch9wavefront6targetE0EEEvT1_
	.globl	_ZN7rocprim17ROCPRIM_400000_NS6detail17trampoline_kernelINS0_14default_configENS1_25transform_config_selectorIiLb0EEEZNS1_14transform_implILb0ES3_S5_NS0_18transform_iteratorINS0_17counting_iteratorImlEEZNS1_24adjacent_difference_implIS3_Lb1ELb0EPKiPiN6thrust23THRUST_200600_302600_NS4plusIiEEEE10hipError_tPvRmT2_T3_mT4_P12ihipStream_tbEUlmE_iEESD_NS0_8identityIvEEEESI_SL_SM_mSN_SP_bEUlT_E_NS1_11comp_targetILNS1_3genE0ELNS1_11target_archE4294967295ELNS1_3gpuE0ELNS1_3repE0EEENS1_30default_config_static_selectorELNS0_4arch9wavefront6targetE0EEEvT1_
	.p2align	8
	.type	_ZN7rocprim17ROCPRIM_400000_NS6detail17trampoline_kernelINS0_14default_configENS1_25transform_config_selectorIiLb0EEEZNS1_14transform_implILb0ES3_S5_NS0_18transform_iteratorINS0_17counting_iteratorImlEEZNS1_24adjacent_difference_implIS3_Lb1ELb0EPKiPiN6thrust23THRUST_200600_302600_NS4plusIiEEEE10hipError_tPvRmT2_T3_mT4_P12ihipStream_tbEUlmE_iEESD_NS0_8identityIvEEEESI_SL_SM_mSN_SP_bEUlT_E_NS1_11comp_targetILNS1_3genE0ELNS1_11target_archE4294967295ELNS1_3gpuE0ELNS1_3repE0EEENS1_30default_config_static_selectorELNS0_4arch9wavefront6targetE0EEEvT1_,@function
_ZN7rocprim17ROCPRIM_400000_NS6detail17trampoline_kernelINS0_14default_configENS1_25transform_config_selectorIiLb0EEEZNS1_14transform_implILb0ES3_S5_NS0_18transform_iteratorINS0_17counting_iteratorImlEEZNS1_24adjacent_difference_implIS3_Lb1ELb0EPKiPiN6thrust23THRUST_200600_302600_NS4plusIiEEEE10hipError_tPvRmT2_T3_mT4_P12ihipStream_tbEUlmE_iEESD_NS0_8identityIvEEEESI_SL_SM_mSN_SP_bEUlT_E_NS1_11comp_targetILNS1_3genE0ELNS1_11target_archE4294967295ELNS1_3gpuE0ELNS1_3repE0EEENS1_30default_config_static_selectorELNS0_4arch9wavefront6targetE0EEEvT1_: ; @_ZN7rocprim17ROCPRIM_400000_NS6detail17trampoline_kernelINS0_14default_configENS1_25transform_config_selectorIiLb0EEEZNS1_14transform_implILb0ES3_S5_NS0_18transform_iteratorINS0_17counting_iteratorImlEEZNS1_24adjacent_difference_implIS3_Lb1ELb0EPKiPiN6thrust23THRUST_200600_302600_NS4plusIiEEEE10hipError_tPvRmT2_T3_mT4_P12ihipStream_tbEUlmE_iEESD_NS0_8identityIvEEEESI_SL_SM_mSN_SP_bEUlT_E_NS1_11comp_targetILNS1_3genE0ELNS1_11target_archE4294967295ELNS1_3gpuE0ELNS1_3repE0EEENS1_30default_config_static_selectorELNS0_4arch9wavefront6targetE0EEEvT1_
; %bb.0:
	.section	.rodata,"a",@progbits
	.p2align	6, 0x0
	.amdhsa_kernel _ZN7rocprim17ROCPRIM_400000_NS6detail17trampoline_kernelINS0_14default_configENS1_25transform_config_selectorIiLb0EEEZNS1_14transform_implILb0ES3_S5_NS0_18transform_iteratorINS0_17counting_iteratorImlEEZNS1_24adjacent_difference_implIS3_Lb1ELb0EPKiPiN6thrust23THRUST_200600_302600_NS4plusIiEEEE10hipError_tPvRmT2_T3_mT4_P12ihipStream_tbEUlmE_iEESD_NS0_8identityIvEEEESI_SL_SM_mSN_SP_bEUlT_E_NS1_11comp_targetILNS1_3genE0ELNS1_11target_archE4294967295ELNS1_3gpuE0ELNS1_3repE0EEENS1_30default_config_static_selectorELNS0_4arch9wavefront6targetE0EEEvT1_
		.amdhsa_group_segment_fixed_size 0
		.amdhsa_private_segment_fixed_size 0
		.amdhsa_kernarg_size 56
		.amdhsa_user_sgpr_count 15
		.amdhsa_user_sgpr_dispatch_ptr 0
		.amdhsa_user_sgpr_queue_ptr 0
		.amdhsa_user_sgpr_kernarg_segment_ptr 1
		.amdhsa_user_sgpr_dispatch_id 0
		.amdhsa_user_sgpr_private_segment_size 0
		.amdhsa_wavefront_size32 1
		.amdhsa_uses_dynamic_stack 0
		.amdhsa_enable_private_segment 0
		.amdhsa_system_sgpr_workgroup_id_x 1
		.amdhsa_system_sgpr_workgroup_id_y 0
		.amdhsa_system_sgpr_workgroup_id_z 0
		.amdhsa_system_sgpr_workgroup_info 0
		.amdhsa_system_vgpr_workitem_id 0
		.amdhsa_next_free_vgpr 1
		.amdhsa_next_free_sgpr 1
		.amdhsa_reserve_vcc 0
		.amdhsa_float_round_mode_32 0
		.amdhsa_float_round_mode_16_64 0
		.amdhsa_float_denorm_mode_32 3
		.amdhsa_float_denorm_mode_16_64 3
		.amdhsa_dx10_clamp 1
		.amdhsa_ieee_mode 1
		.amdhsa_fp16_overflow 0
		.amdhsa_workgroup_processor_mode 1
		.amdhsa_memory_ordered 1
		.amdhsa_forward_progress 0
		.amdhsa_shared_vgpr_count 0
		.amdhsa_exception_fp_ieee_invalid_op 0
		.amdhsa_exception_fp_denorm_src 0
		.amdhsa_exception_fp_ieee_div_zero 0
		.amdhsa_exception_fp_ieee_overflow 0
		.amdhsa_exception_fp_ieee_underflow 0
		.amdhsa_exception_fp_ieee_inexact 0
		.amdhsa_exception_int_div_zero 0
	.end_amdhsa_kernel
	.section	.text._ZN7rocprim17ROCPRIM_400000_NS6detail17trampoline_kernelINS0_14default_configENS1_25transform_config_selectorIiLb0EEEZNS1_14transform_implILb0ES3_S5_NS0_18transform_iteratorINS0_17counting_iteratorImlEEZNS1_24adjacent_difference_implIS3_Lb1ELb0EPKiPiN6thrust23THRUST_200600_302600_NS4plusIiEEEE10hipError_tPvRmT2_T3_mT4_P12ihipStream_tbEUlmE_iEESD_NS0_8identityIvEEEESI_SL_SM_mSN_SP_bEUlT_E_NS1_11comp_targetILNS1_3genE0ELNS1_11target_archE4294967295ELNS1_3gpuE0ELNS1_3repE0EEENS1_30default_config_static_selectorELNS0_4arch9wavefront6targetE0EEEvT1_,"axG",@progbits,_ZN7rocprim17ROCPRIM_400000_NS6detail17trampoline_kernelINS0_14default_configENS1_25transform_config_selectorIiLb0EEEZNS1_14transform_implILb0ES3_S5_NS0_18transform_iteratorINS0_17counting_iteratorImlEEZNS1_24adjacent_difference_implIS3_Lb1ELb0EPKiPiN6thrust23THRUST_200600_302600_NS4plusIiEEEE10hipError_tPvRmT2_T3_mT4_P12ihipStream_tbEUlmE_iEESD_NS0_8identityIvEEEESI_SL_SM_mSN_SP_bEUlT_E_NS1_11comp_targetILNS1_3genE0ELNS1_11target_archE4294967295ELNS1_3gpuE0ELNS1_3repE0EEENS1_30default_config_static_selectorELNS0_4arch9wavefront6targetE0EEEvT1_,comdat
.Lfunc_end731:
	.size	_ZN7rocprim17ROCPRIM_400000_NS6detail17trampoline_kernelINS0_14default_configENS1_25transform_config_selectorIiLb0EEEZNS1_14transform_implILb0ES3_S5_NS0_18transform_iteratorINS0_17counting_iteratorImlEEZNS1_24adjacent_difference_implIS3_Lb1ELb0EPKiPiN6thrust23THRUST_200600_302600_NS4plusIiEEEE10hipError_tPvRmT2_T3_mT4_P12ihipStream_tbEUlmE_iEESD_NS0_8identityIvEEEESI_SL_SM_mSN_SP_bEUlT_E_NS1_11comp_targetILNS1_3genE0ELNS1_11target_archE4294967295ELNS1_3gpuE0ELNS1_3repE0EEENS1_30default_config_static_selectorELNS0_4arch9wavefront6targetE0EEEvT1_, .Lfunc_end731-_ZN7rocprim17ROCPRIM_400000_NS6detail17trampoline_kernelINS0_14default_configENS1_25transform_config_selectorIiLb0EEEZNS1_14transform_implILb0ES3_S5_NS0_18transform_iteratorINS0_17counting_iteratorImlEEZNS1_24adjacent_difference_implIS3_Lb1ELb0EPKiPiN6thrust23THRUST_200600_302600_NS4plusIiEEEE10hipError_tPvRmT2_T3_mT4_P12ihipStream_tbEUlmE_iEESD_NS0_8identityIvEEEESI_SL_SM_mSN_SP_bEUlT_E_NS1_11comp_targetILNS1_3genE0ELNS1_11target_archE4294967295ELNS1_3gpuE0ELNS1_3repE0EEENS1_30default_config_static_selectorELNS0_4arch9wavefront6targetE0EEEvT1_
                                        ; -- End function
	.section	.AMDGPU.csdata,"",@progbits
; Kernel info:
; codeLenInByte = 0
; NumSgprs: 0
; NumVgprs: 0
; ScratchSize: 0
; MemoryBound: 0
; FloatMode: 240
; IeeeMode: 1
; LDSByteSize: 0 bytes/workgroup (compile time only)
; SGPRBlocks: 0
; VGPRBlocks: 0
; NumSGPRsForWavesPerEU: 1
; NumVGPRsForWavesPerEU: 1
; Occupancy: 16
; WaveLimiterHint : 0
; COMPUTE_PGM_RSRC2:SCRATCH_EN: 0
; COMPUTE_PGM_RSRC2:USER_SGPR: 15
; COMPUTE_PGM_RSRC2:TRAP_HANDLER: 0
; COMPUTE_PGM_RSRC2:TGID_X_EN: 1
; COMPUTE_PGM_RSRC2:TGID_Y_EN: 0
; COMPUTE_PGM_RSRC2:TGID_Z_EN: 0
; COMPUTE_PGM_RSRC2:TIDIG_COMP_CNT: 0
	.section	.text._ZN7rocprim17ROCPRIM_400000_NS6detail17trampoline_kernelINS0_14default_configENS1_25transform_config_selectorIiLb0EEEZNS1_14transform_implILb0ES3_S5_NS0_18transform_iteratorINS0_17counting_iteratorImlEEZNS1_24adjacent_difference_implIS3_Lb1ELb0EPKiPiN6thrust23THRUST_200600_302600_NS4plusIiEEEE10hipError_tPvRmT2_T3_mT4_P12ihipStream_tbEUlmE_iEESD_NS0_8identityIvEEEESI_SL_SM_mSN_SP_bEUlT_E_NS1_11comp_targetILNS1_3genE5ELNS1_11target_archE942ELNS1_3gpuE9ELNS1_3repE0EEENS1_30default_config_static_selectorELNS0_4arch9wavefront6targetE0EEEvT1_,"axG",@progbits,_ZN7rocprim17ROCPRIM_400000_NS6detail17trampoline_kernelINS0_14default_configENS1_25transform_config_selectorIiLb0EEEZNS1_14transform_implILb0ES3_S5_NS0_18transform_iteratorINS0_17counting_iteratorImlEEZNS1_24adjacent_difference_implIS3_Lb1ELb0EPKiPiN6thrust23THRUST_200600_302600_NS4plusIiEEEE10hipError_tPvRmT2_T3_mT4_P12ihipStream_tbEUlmE_iEESD_NS0_8identityIvEEEESI_SL_SM_mSN_SP_bEUlT_E_NS1_11comp_targetILNS1_3genE5ELNS1_11target_archE942ELNS1_3gpuE9ELNS1_3repE0EEENS1_30default_config_static_selectorELNS0_4arch9wavefront6targetE0EEEvT1_,comdat
	.protected	_ZN7rocprim17ROCPRIM_400000_NS6detail17trampoline_kernelINS0_14default_configENS1_25transform_config_selectorIiLb0EEEZNS1_14transform_implILb0ES3_S5_NS0_18transform_iteratorINS0_17counting_iteratorImlEEZNS1_24adjacent_difference_implIS3_Lb1ELb0EPKiPiN6thrust23THRUST_200600_302600_NS4plusIiEEEE10hipError_tPvRmT2_T3_mT4_P12ihipStream_tbEUlmE_iEESD_NS0_8identityIvEEEESI_SL_SM_mSN_SP_bEUlT_E_NS1_11comp_targetILNS1_3genE5ELNS1_11target_archE942ELNS1_3gpuE9ELNS1_3repE0EEENS1_30default_config_static_selectorELNS0_4arch9wavefront6targetE0EEEvT1_ ; -- Begin function _ZN7rocprim17ROCPRIM_400000_NS6detail17trampoline_kernelINS0_14default_configENS1_25transform_config_selectorIiLb0EEEZNS1_14transform_implILb0ES3_S5_NS0_18transform_iteratorINS0_17counting_iteratorImlEEZNS1_24adjacent_difference_implIS3_Lb1ELb0EPKiPiN6thrust23THRUST_200600_302600_NS4plusIiEEEE10hipError_tPvRmT2_T3_mT4_P12ihipStream_tbEUlmE_iEESD_NS0_8identityIvEEEESI_SL_SM_mSN_SP_bEUlT_E_NS1_11comp_targetILNS1_3genE5ELNS1_11target_archE942ELNS1_3gpuE9ELNS1_3repE0EEENS1_30default_config_static_selectorELNS0_4arch9wavefront6targetE0EEEvT1_
	.globl	_ZN7rocprim17ROCPRIM_400000_NS6detail17trampoline_kernelINS0_14default_configENS1_25transform_config_selectorIiLb0EEEZNS1_14transform_implILb0ES3_S5_NS0_18transform_iteratorINS0_17counting_iteratorImlEEZNS1_24adjacent_difference_implIS3_Lb1ELb0EPKiPiN6thrust23THRUST_200600_302600_NS4plusIiEEEE10hipError_tPvRmT2_T3_mT4_P12ihipStream_tbEUlmE_iEESD_NS0_8identityIvEEEESI_SL_SM_mSN_SP_bEUlT_E_NS1_11comp_targetILNS1_3genE5ELNS1_11target_archE942ELNS1_3gpuE9ELNS1_3repE0EEENS1_30default_config_static_selectorELNS0_4arch9wavefront6targetE0EEEvT1_
	.p2align	8
	.type	_ZN7rocprim17ROCPRIM_400000_NS6detail17trampoline_kernelINS0_14default_configENS1_25transform_config_selectorIiLb0EEEZNS1_14transform_implILb0ES3_S5_NS0_18transform_iteratorINS0_17counting_iteratorImlEEZNS1_24adjacent_difference_implIS3_Lb1ELb0EPKiPiN6thrust23THRUST_200600_302600_NS4plusIiEEEE10hipError_tPvRmT2_T3_mT4_P12ihipStream_tbEUlmE_iEESD_NS0_8identityIvEEEESI_SL_SM_mSN_SP_bEUlT_E_NS1_11comp_targetILNS1_3genE5ELNS1_11target_archE942ELNS1_3gpuE9ELNS1_3repE0EEENS1_30default_config_static_selectorELNS0_4arch9wavefront6targetE0EEEvT1_,@function
_ZN7rocprim17ROCPRIM_400000_NS6detail17trampoline_kernelINS0_14default_configENS1_25transform_config_selectorIiLb0EEEZNS1_14transform_implILb0ES3_S5_NS0_18transform_iteratorINS0_17counting_iteratorImlEEZNS1_24adjacent_difference_implIS3_Lb1ELb0EPKiPiN6thrust23THRUST_200600_302600_NS4plusIiEEEE10hipError_tPvRmT2_T3_mT4_P12ihipStream_tbEUlmE_iEESD_NS0_8identityIvEEEESI_SL_SM_mSN_SP_bEUlT_E_NS1_11comp_targetILNS1_3genE5ELNS1_11target_archE942ELNS1_3gpuE9ELNS1_3repE0EEENS1_30default_config_static_selectorELNS0_4arch9wavefront6targetE0EEEvT1_: ; @_ZN7rocprim17ROCPRIM_400000_NS6detail17trampoline_kernelINS0_14default_configENS1_25transform_config_selectorIiLb0EEEZNS1_14transform_implILb0ES3_S5_NS0_18transform_iteratorINS0_17counting_iteratorImlEEZNS1_24adjacent_difference_implIS3_Lb1ELb0EPKiPiN6thrust23THRUST_200600_302600_NS4plusIiEEEE10hipError_tPvRmT2_T3_mT4_P12ihipStream_tbEUlmE_iEESD_NS0_8identityIvEEEESI_SL_SM_mSN_SP_bEUlT_E_NS1_11comp_targetILNS1_3genE5ELNS1_11target_archE942ELNS1_3gpuE9ELNS1_3repE0EEENS1_30default_config_static_selectorELNS0_4arch9wavefront6targetE0EEEvT1_
; %bb.0:
	.section	.rodata,"a",@progbits
	.p2align	6, 0x0
	.amdhsa_kernel _ZN7rocprim17ROCPRIM_400000_NS6detail17trampoline_kernelINS0_14default_configENS1_25transform_config_selectorIiLb0EEEZNS1_14transform_implILb0ES3_S5_NS0_18transform_iteratorINS0_17counting_iteratorImlEEZNS1_24adjacent_difference_implIS3_Lb1ELb0EPKiPiN6thrust23THRUST_200600_302600_NS4plusIiEEEE10hipError_tPvRmT2_T3_mT4_P12ihipStream_tbEUlmE_iEESD_NS0_8identityIvEEEESI_SL_SM_mSN_SP_bEUlT_E_NS1_11comp_targetILNS1_3genE5ELNS1_11target_archE942ELNS1_3gpuE9ELNS1_3repE0EEENS1_30default_config_static_selectorELNS0_4arch9wavefront6targetE0EEEvT1_
		.amdhsa_group_segment_fixed_size 0
		.amdhsa_private_segment_fixed_size 0
		.amdhsa_kernarg_size 56
		.amdhsa_user_sgpr_count 15
		.amdhsa_user_sgpr_dispatch_ptr 0
		.amdhsa_user_sgpr_queue_ptr 0
		.amdhsa_user_sgpr_kernarg_segment_ptr 1
		.amdhsa_user_sgpr_dispatch_id 0
		.amdhsa_user_sgpr_private_segment_size 0
		.amdhsa_wavefront_size32 1
		.amdhsa_uses_dynamic_stack 0
		.amdhsa_enable_private_segment 0
		.amdhsa_system_sgpr_workgroup_id_x 1
		.amdhsa_system_sgpr_workgroup_id_y 0
		.amdhsa_system_sgpr_workgroup_id_z 0
		.amdhsa_system_sgpr_workgroup_info 0
		.amdhsa_system_vgpr_workitem_id 0
		.amdhsa_next_free_vgpr 1
		.amdhsa_next_free_sgpr 1
		.amdhsa_reserve_vcc 0
		.amdhsa_float_round_mode_32 0
		.amdhsa_float_round_mode_16_64 0
		.amdhsa_float_denorm_mode_32 3
		.amdhsa_float_denorm_mode_16_64 3
		.amdhsa_dx10_clamp 1
		.amdhsa_ieee_mode 1
		.amdhsa_fp16_overflow 0
		.amdhsa_workgroup_processor_mode 1
		.amdhsa_memory_ordered 1
		.amdhsa_forward_progress 0
		.amdhsa_shared_vgpr_count 0
		.amdhsa_exception_fp_ieee_invalid_op 0
		.amdhsa_exception_fp_denorm_src 0
		.amdhsa_exception_fp_ieee_div_zero 0
		.amdhsa_exception_fp_ieee_overflow 0
		.amdhsa_exception_fp_ieee_underflow 0
		.amdhsa_exception_fp_ieee_inexact 0
		.amdhsa_exception_int_div_zero 0
	.end_amdhsa_kernel
	.section	.text._ZN7rocprim17ROCPRIM_400000_NS6detail17trampoline_kernelINS0_14default_configENS1_25transform_config_selectorIiLb0EEEZNS1_14transform_implILb0ES3_S5_NS0_18transform_iteratorINS0_17counting_iteratorImlEEZNS1_24adjacent_difference_implIS3_Lb1ELb0EPKiPiN6thrust23THRUST_200600_302600_NS4plusIiEEEE10hipError_tPvRmT2_T3_mT4_P12ihipStream_tbEUlmE_iEESD_NS0_8identityIvEEEESI_SL_SM_mSN_SP_bEUlT_E_NS1_11comp_targetILNS1_3genE5ELNS1_11target_archE942ELNS1_3gpuE9ELNS1_3repE0EEENS1_30default_config_static_selectorELNS0_4arch9wavefront6targetE0EEEvT1_,"axG",@progbits,_ZN7rocprim17ROCPRIM_400000_NS6detail17trampoline_kernelINS0_14default_configENS1_25transform_config_selectorIiLb0EEEZNS1_14transform_implILb0ES3_S5_NS0_18transform_iteratorINS0_17counting_iteratorImlEEZNS1_24adjacent_difference_implIS3_Lb1ELb0EPKiPiN6thrust23THRUST_200600_302600_NS4plusIiEEEE10hipError_tPvRmT2_T3_mT4_P12ihipStream_tbEUlmE_iEESD_NS0_8identityIvEEEESI_SL_SM_mSN_SP_bEUlT_E_NS1_11comp_targetILNS1_3genE5ELNS1_11target_archE942ELNS1_3gpuE9ELNS1_3repE0EEENS1_30default_config_static_selectorELNS0_4arch9wavefront6targetE0EEEvT1_,comdat
.Lfunc_end732:
	.size	_ZN7rocprim17ROCPRIM_400000_NS6detail17trampoline_kernelINS0_14default_configENS1_25transform_config_selectorIiLb0EEEZNS1_14transform_implILb0ES3_S5_NS0_18transform_iteratorINS0_17counting_iteratorImlEEZNS1_24adjacent_difference_implIS3_Lb1ELb0EPKiPiN6thrust23THRUST_200600_302600_NS4plusIiEEEE10hipError_tPvRmT2_T3_mT4_P12ihipStream_tbEUlmE_iEESD_NS0_8identityIvEEEESI_SL_SM_mSN_SP_bEUlT_E_NS1_11comp_targetILNS1_3genE5ELNS1_11target_archE942ELNS1_3gpuE9ELNS1_3repE0EEENS1_30default_config_static_selectorELNS0_4arch9wavefront6targetE0EEEvT1_, .Lfunc_end732-_ZN7rocprim17ROCPRIM_400000_NS6detail17trampoline_kernelINS0_14default_configENS1_25transform_config_selectorIiLb0EEEZNS1_14transform_implILb0ES3_S5_NS0_18transform_iteratorINS0_17counting_iteratorImlEEZNS1_24adjacent_difference_implIS3_Lb1ELb0EPKiPiN6thrust23THRUST_200600_302600_NS4plusIiEEEE10hipError_tPvRmT2_T3_mT4_P12ihipStream_tbEUlmE_iEESD_NS0_8identityIvEEEESI_SL_SM_mSN_SP_bEUlT_E_NS1_11comp_targetILNS1_3genE5ELNS1_11target_archE942ELNS1_3gpuE9ELNS1_3repE0EEENS1_30default_config_static_selectorELNS0_4arch9wavefront6targetE0EEEvT1_
                                        ; -- End function
	.section	.AMDGPU.csdata,"",@progbits
; Kernel info:
; codeLenInByte = 0
; NumSgprs: 0
; NumVgprs: 0
; ScratchSize: 0
; MemoryBound: 0
; FloatMode: 240
; IeeeMode: 1
; LDSByteSize: 0 bytes/workgroup (compile time only)
; SGPRBlocks: 0
; VGPRBlocks: 0
; NumSGPRsForWavesPerEU: 1
; NumVGPRsForWavesPerEU: 1
; Occupancy: 16
; WaveLimiterHint : 0
; COMPUTE_PGM_RSRC2:SCRATCH_EN: 0
; COMPUTE_PGM_RSRC2:USER_SGPR: 15
; COMPUTE_PGM_RSRC2:TRAP_HANDLER: 0
; COMPUTE_PGM_RSRC2:TGID_X_EN: 1
; COMPUTE_PGM_RSRC2:TGID_Y_EN: 0
; COMPUTE_PGM_RSRC2:TGID_Z_EN: 0
; COMPUTE_PGM_RSRC2:TIDIG_COMP_CNT: 0
	.section	.text._ZN7rocprim17ROCPRIM_400000_NS6detail17trampoline_kernelINS0_14default_configENS1_25transform_config_selectorIiLb0EEEZNS1_14transform_implILb0ES3_S5_NS0_18transform_iteratorINS0_17counting_iteratorImlEEZNS1_24adjacent_difference_implIS3_Lb1ELb0EPKiPiN6thrust23THRUST_200600_302600_NS4plusIiEEEE10hipError_tPvRmT2_T3_mT4_P12ihipStream_tbEUlmE_iEESD_NS0_8identityIvEEEESI_SL_SM_mSN_SP_bEUlT_E_NS1_11comp_targetILNS1_3genE4ELNS1_11target_archE910ELNS1_3gpuE8ELNS1_3repE0EEENS1_30default_config_static_selectorELNS0_4arch9wavefront6targetE0EEEvT1_,"axG",@progbits,_ZN7rocprim17ROCPRIM_400000_NS6detail17trampoline_kernelINS0_14default_configENS1_25transform_config_selectorIiLb0EEEZNS1_14transform_implILb0ES3_S5_NS0_18transform_iteratorINS0_17counting_iteratorImlEEZNS1_24adjacent_difference_implIS3_Lb1ELb0EPKiPiN6thrust23THRUST_200600_302600_NS4plusIiEEEE10hipError_tPvRmT2_T3_mT4_P12ihipStream_tbEUlmE_iEESD_NS0_8identityIvEEEESI_SL_SM_mSN_SP_bEUlT_E_NS1_11comp_targetILNS1_3genE4ELNS1_11target_archE910ELNS1_3gpuE8ELNS1_3repE0EEENS1_30default_config_static_selectorELNS0_4arch9wavefront6targetE0EEEvT1_,comdat
	.protected	_ZN7rocprim17ROCPRIM_400000_NS6detail17trampoline_kernelINS0_14default_configENS1_25transform_config_selectorIiLb0EEEZNS1_14transform_implILb0ES3_S5_NS0_18transform_iteratorINS0_17counting_iteratorImlEEZNS1_24adjacent_difference_implIS3_Lb1ELb0EPKiPiN6thrust23THRUST_200600_302600_NS4plusIiEEEE10hipError_tPvRmT2_T3_mT4_P12ihipStream_tbEUlmE_iEESD_NS0_8identityIvEEEESI_SL_SM_mSN_SP_bEUlT_E_NS1_11comp_targetILNS1_3genE4ELNS1_11target_archE910ELNS1_3gpuE8ELNS1_3repE0EEENS1_30default_config_static_selectorELNS0_4arch9wavefront6targetE0EEEvT1_ ; -- Begin function _ZN7rocprim17ROCPRIM_400000_NS6detail17trampoline_kernelINS0_14default_configENS1_25transform_config_selectorIiLb0EEEZNS1_14transform_implILb0ES3_S5_NS0_18transform_iteratorINS0_17counting_iteratorImlEEZNS1_24adjacent_difference_implIS3_Lb1ELb0EPKiPiN6thrust23THRUST_200600_302600_NS4plusIiEEEE10hipError_tPvRmT2_T3_mT4_P12ihipStream_tbEUlmE_iEESD_NS0_8identityIvEEEESI_SL_SM_mSN_SP_bEUlT_E_NS1_11comp_targetILNS1_3genE4ELNS1_11target_archE910ELNS1_3gpuE8ELNS1_3repE0EEENS1_30default_config_static_selectorELNS0_4arch9wavefront6targetE0EEEvT1_
	.globl	_ZN7rocprim17ROCPRIM_400000_NS6detail17trampoline_kernelINS0_14default_configENS1_25transform_config_selectorIiLb0EEEZNS1_14transform_implILb0ES3_S5_NS0_18transform_iteratorINS0_17counting_iteratorImlEEZNS1_24adjacent_difference_implIS3_Lb1ELb0EPKiPiN6thrust23THRUST_200600_302600_NS4plusIiEEEE10hipError_tPvRmT2_T3_mT4_P12ihipStream_tbEUlmE_iEESD_NS0_8identityIvEEEESI_SL_SM_mSN_SP_bEUlT_E_NS1_11comp_targetILNS1_3genE4ELNS1_11target_archE910ELNS1_3gpuE8ELNS1_3repE0EEENS1_30default_config_static_selectorELNS0_4arch9wavefront6targetE0EEEvT1_
	.p2align	8
	.type	_ZN7rocprim17ROCPRIM_400000_NS6detail17trampoline_kernelINS0_14default_configENS1_25transform_config_selectorIiLb0EEEZNS1_14transform_implILb0ES3_S5_NS0_18transform_iteratorINS0_17counting_iteratorImlEEZNS1_24adjacent_difference_implIS3_Lb1ELb0EPKiPiN6thrust23THRUST_200600_302600_NS4plusIiEEEE10hipError_tPvRmT2_T3_mT4_P12ihipStream_tbEUlmE_iEESD_NS0_8identityIvEEEESI_SL_SM_mSN_SP_bEUlT_E_NS1_11comp_targetILNS1_3genE4ELNS1_11target_archE910ELNS1_3gpuE8ELNS1_3repE0EEENS1_30default_config_static_selectorELNS0_4arch9wavefront6targetE0EEEvT1_,@function
_ZN7rocprim17ROCPRIM_400000_NS6detail17trampoline_kernelINS0_14default_configENS1_25transform_config_selectorIiLb0EEEZNS1_14transform_implILb0ES3_S5_NS0_18transform_iteratorINS0_17counting_iteratorImlEEZNS1_24adjacent_difference_implIS3_Lb1ELb0EPKiPiN6thrust23THRUST_200600_302600_NS4plusIiEEEE10hipError_tPvRmT2_T3_mT4_P12ihipStream_tbEUlmE_iEESD_NS0_8identityIvEEEESI_SL_SM_mSN_SP_bEUlT_E_NS1_11comp_targetILNS1_3genE4ELNS1_11target_archE910ELNS1_3gpuE8ELNS1_3repE0EEENS1_30default_config_static_selectorELNS0_4arch9wavefront6targetE0EEEvT1_: ; @_ZN7rocprim17ROCPRIM_400000_NS6detail17trampoline_kernelINS0_14default_configENS1_25transform_config_selectorIiLb0EEEZNS1_14transform_implILb0ES3_S5_NS0_18transform_iteratorINS0_17counting_iteratorImlEEZNS1_24adjacent_difference_implIS3_Lb1ELb0EPKiPiN6thrust23THRUST_200600_302600_NS4plusIiEEEE10hipError_tPvRmT2_T3_mT4_P12ihipStream_tbEUlmE_iEESD_NS0_8identityIvEEEESI_SL_SM_mSN_SP_bEUlT_E_NS1_11comp_targetILNS1_3genE4ELNS1_11target_archE910ELNS1_3gpuE8ELNS1_3repE0EEENS1_30default_config_static_selectorELNS0_4arch9wavefront6targetE0EEEvT1_
; %bb.0:
	.section	.rodata,"a",@progbits
	.p2align	6, 0x0
	.amdhsa_kernel _ZN7rocprim17ROCPRIM_400000_NS6detail17trampoline_kernelINS0_14default_configENS1_25transform_config_selectorIiLb0EEEZNS1_14transform_implILb0ES3_S5_NS0_18transform_iteratorINS0_17counting_iteratorImlEEZNS1_24adjacent_difference_implIS3_Lb1ELb0EPKiPiN6thrust23THRUST_200600_302600_NS4plusIiEEEE10hipError_tPvRmT2_T3_mT4_P12ihipStream_tbEUlmE_iEESD_NS0_8identityIvEEEESI_SL_SM_mSN_SP_bEUlT_E_NS1_11comp_targetILNS1_3genE4ELNS1_11target_archE910ELNS1_3gpuE8ELNS1_3repE0EEENS1_30default_config_static_selectorELNS0_4arch9wavefront6targetE0EEEvT1_
		.amdhsa_group_segment_fixed_size 0
		.amdhsa_private_segment_fixed_size 0
		.amdhsa_kernarg_size 56
		.amdhsa_user_sgpr_count 15
		.amdhsa_user_sgpr_dispatch_ptr 0
		.amdhsa_user_sgpr_queue_ptr 0
		.amdhsa_user_sgpr_kernarg_segment_ptr 1
		.amdhsa_user_sgpr_dispatch_id 0
		.amdhsa_user_sgpr_private_segment_size 0
		.amdhsa_wavefront_size32 1
		.amdhsa_uses_dynamic_stack 0
		.amdhsa_enable_private_segment 0
		.amdhsa_system_sgpr_workgroup_id_x 1
		.amdhsa_system_sgpr_workgroup_id_y 0
		.amdhsa_system_sgpr_workgroup_id_z 0
		.amdhsa_system_sgpr_workgroup_info 0
		.amdhsa_system_vgpr_workitem_id 0
		.amdhsa_next_free_vgpr 1
		.amdhsa_next_free_sgpr 1
		.amdhsa_reserve_vcc 0
		.amdhsa_float_round_mode_32 0
		.amdhsa_float_round_mode_16_64 0
		.amdhsa_float_denorm_mode_32 3
		.amdhsa_float_denorm_mode_16_64 3
		.amdhsa_dx10_clamp 1
		.amdhsa_ieee_mode 1
		.amdhsa_fp16_overflow 0
		.amdhsa_workgroup_processor_mode 1
		.amdhsa_memory_ordered 1
		.amdhsa_forward_progress 0
		.amdhsa_shared_vgpr_count 0
		.amdhsa_exception_fp_ieee_invalid_op 0
		.amdhsa_exception_fp_denorm_src 0
		.amdhsa_exception_fp_ieee_div_zero 0
		.amdhsa_exception_fp_ieee_overflow 0
		.amdhsa_exception_fp_ieee_underflow 0
		.amdhsa_exception_fp_ieee_inexact 0
		.amdhsa_exception_int_div_zero 0
	.end_amdhsa_kernel
	.section	.text._ZN7rocprim17ROCPRIM_400000_NS6detail17trampoline_kernelINS0_14default_configENS1_25transform_config_selectorIiLb0EEEZNS1_14transform_implILb0ES3_S5_NS0_18transform_iteratorINS0_17counting_iteratorImlEEZNS1_24adjacent_difference_implIS3_Lb1ELb0EPKiPiN6thrust23THRUST_200600_302600_NS4plusIiEEEE10hipError_tPvRmT2_T3_mT4_P12ihipStream_tbEUlmE_iEESD_NS0_8identityIvEEEESI_SL_SM_mSN_SP_bEUlT_E_NS1_11comp_targetILNS1_3genE4ELNS1_11target_archE910ELNS1_3gpuE8ELNS1_3repE0EEENS1_30default_config_static_selectorELNS0_4arch9wavefront6targetE0EEEvT1_,"axG",@progbits,_ZN7rocprim17ROCPRIM_400000_NS6detail17trampoline_kernelINS0_14default_configENS1_25transform_config_selectorIiLb0EEEZNS1_14transform_implILb0ES3_S5_NS0_18transform_iteratorINS0_17counting_iteratorImlEEZNS1_24adjacent_difference_implIS3_Lb1ELb0EPKiPiN6thrust23THRUST_200600_302600_NS4plusIiEEEE10hipError_tPvRmT2_T3_mT4_P12ihipStream_tbEUlmE_iEESD_NS0_8identityIvEEEESI_SL_SM_mSN_SP_bEUlT_E_NS1_11comp_targetILNS1_3genE4ELNS1_11target_archE910ELNS1_3gpuE8ELNS1_3repE0EEENS1_30default_config_static_selectorELNS0_4arch9wavefront6targetE0EEEvT1_,comdat
.Lfunc_end733:
	.size	_ZN7rocprim17ROCPRIM_400000_NS6detail17trampoline_kernelINS0_14default_configENS1_25transform_config_selectorIiLb0EEEZNS1_14transform_implILb0ES3_S5_NS0_18transform_iteratorINS0_17counting_iteratorImlEEZNS1_24adjacent_difference_implIS3_Lb1ELb0EPKiPiN6thrust23THRUST_200600_302600_NS4plusIiEEEE10hipError_tPvRmT2_T3_mT4_P12ihipStream_tbEUlmE_iEESD_NS0_8identityIvEEEESI_SL_SM_mSN_SP_bEUlT_E_NS1_11comp_targetILNS1_3genE4ELNS1_11target_archE910ELNS1_3gpuE8ELNS1_3repE0EEENS1_30default_config_static_selectorELNS0_4arch9wavefront6targetE0EEEvT1_, .Lfunc_end733-_ZN7rocprim17ROCPRIM_400000_NS6detail17trampoline_kernelINS0_14default_configENS1_25transform_config_selectorIiLb0EEEZNS1_14transform_implILb0ES3_S5_NS0_18transform_iteratorINS0_17counting_iteratorImlEEZNS1_24adjacent_difference_implIS3_Lb1ELb0EPKiPiN6thrust23THRUST_200600_302600_NS4plusIiEEEE10hipError_tPvRmT2_T3_mT4_P12ihipStream_tbEUlmE_iEESD_NS0_8identityIvEEEESI_SL_SM_mSN_SP_bEUlT_E_NS1_11comp_targetILNS1_3genE4ELNS1_11target_archE910ELNS1_3gpuE8ELNS1_3repE0EEENS1_30default_config_static_selectorELNS0_4arch9wavefront6targetE0EEEvT1_
                                        ; -- End function
	.section	.AMDGPU.csdata,"",@progbits
; Kernel info:
; codeLenInByte = 0
; NumSgprs: 0
; NumVgprs: 0
; ScratchSize: 0
; MemoryBound: 0
; FloatMode: 240
; IeeeMode: 1
; LDSByteSize: 0 bytes/workgroup (compile time only)
; SGPRBlocks: 0
; VGPRBlocks: 0
; NumSGPRsForWavesPerEU: 1
; NumVGPRsForWavesPerEU: 1
; Occupancy: 16
; WaveLimiterHint : 0
; COMPUTE_PGM_RSRC2:SCRATCH_EN: 0
; COMPUTE_PGM_RSRC2:USER_SGPR: 15
; COMPUTE_PGM_RSRC2:TRAP_HANDLER: 0
; COMPUTE_PGM_RSRC2:TGID_X_EN: 1
; COMPUTE_PGM_RSRC2:TGID_Y_EN: 0
; COMPUTE_PGM_RSRC2:TGID_Z_EN: 0
; COMPUTE_PGM_RSRC2:TIDIG_COMP_CNT: 0
	.section	.text._ZN7rocprim17ROCPRIM_400000_NS6detail17trampoline_kernelINS0_14default_configENS1_25transform_config_selectorIiLb0EEEZNS1_14transform_implILb0ES3_S5_NS0_18transform_iteratorINS0_17counting_iteratorImlEEZNS1_24adjacent_difference_implIS3_Lb1ELb0EPKiPiN6thrust23THRUST_200600_302600_NS4plusIiEEEE10hipError_tPvRmT2_T3_mT4_P12ihipStream_tbEUlmE_iEESD_NS0_8identityIvEEEESI_SL_SM_mSN_SP_bEUlT_E_NS1_11comp_targetILNS1_3genE3ELNS1_11target_archE908ELNS1_3gpuE7ELNS1_3repE0EEENS1_30default_config_static_selectorELNS0_4arch9wavefront6targetE0EEEvT1_,"axG",@progbits,_ZN7rocprim17ROCPRIM_400000_NS6detail17trampoline_kernelINS0_14default_configENS1_25transform_config_selectorIiLb0EEEZNS1_14transform_implILb0ES3_S5_NS0_18transform_iteratorINS0_17counting_iteratorImlEEZNS1_24adjacent_difference_implIS3_Lb1ELb0EPKiPiN6thrust23THRUST_200600_302600_NS4plusIiEEEE10hipError_tPvRmT2_T3_mT4_P12ihipStream_tbEUlmE_iEESD_NS0_8identityIvEEEESI_SL_SM_mSN_SP_bEUlT_E_NS1_11comp_targetILNS1_3genE3ELNS1_11target_archE908ELNS1_3gpuE7ELNS1_3repE0EEENS1_30default_config_static_selectorELNS0_4arch9wavefront6targetE0EEEvT1_,comdat
	.protected	_ZN7rocprim17ROCPRIM_400000_NS6detail17trampoline_kernelINS0_14default_configENS1_25transform_config_selectorIiLb0EEEZNS1_14transform_implILb0ES3_S5_NS0_18transform_iteratorINS0_17counting_iteratorImlEEZNS1_24adjacent_difference_implIS3_Lb1ELb0EPKiPiN6thrust23THRUST_200600_302600_NS4plusIiEEEE10hipError_tPvRmT2_T3_mT4_P12ihipStream_tbEUlmE_iEESD_NS0_8identityIvEEEESI_SL_SM_mSN_SP_bEUlT_E_NS1_11comp_targetILNS1_3genE3ELNS1_11target_archE908ELNS1_3gpuE7ELNS1_3repE0EEENS1_30default_config_static_selectorELNS0_4arch9wavefront6targetE0EEEvT1_ ; -- Begin function _ZN7rocprim17ROCPRIM_400000_NS6detail17trampoline_kernelINS0_14default_configENS1_25transform_config_selectorIiLb0EEEZNS1_14transform_implILb0ES3_S5_NS0_18transform_iteratorINS0_17counting_iteratorImlEEZNS1_24adjacent_difference_implIS3_Lb1ELb0EPKiPiN6thrust23THRUST_200600_302600_NS4plusIiEEEE10hipError_tPvRmT2_T3_mT4_P12ihipStream_tbEUlmE_iEESD_NS0_8identityIvEEEESI_SL_SM_mSN_SP_bEUlT_E_NS1_11comp_targetILNS1_3genE3ELNS1_11target_archE908ELNS1_3gpuE7ELNS1_3repE0EEENS1_30default_config_static_selectorELNS0_4arch9wavefront6targetE0EEEvT1_
	.globl	_ZN7rocprim17ROCPRIM_400000_NS6detail17trampoline_kernelINS0_14default_configENS1_25transform_config_selectorIiLb0EEEZNS1_14transform_implILb0ES3_S5_NS0_18transform_iteratorINS0_17counting_iteratorImlEEZNS1_24adjacent_difference_implIS3_Lb1ELb0EPKiPiN6thrust23THRUST_200600_302600_NS4plusIiEEEE10hipError_tPvRmT2_T3_mT4_P12ihipStream_tbEUlmE_iEESD_NS0_8identityIvEEEESI_SL_SM_mSN_SP_bEUlT_E_NS1_11comp_targetILNS1_3genE3ELNS1_11target_archE908ELNS1_3gpuE7ELNS1_3repE0EEENS1_30default_config_static_selectorELNS0_4arch9wavefront6targetE0EEEvT1_
	.p2align	8
	.type	_ZN7rocprim17ROCPRIM_400000_NS6detail17trampoline_kernelINS0_14default_configENS1_25transform_config_selectorIiLb0EEEZNS1_14transform_implILb0ES3_S5_NS0_18transform_iteratorINS0_17counting_iteratorImlEEZNS1_24adjacent_difference_implIS3_Lb1ELb0EPKiPiN6thrust23THRUST_200600_302600_NS4plusIiEEEE10hipError_tPvRmT2_T3_mT4_P12ihipStream_tbEUlmE_iEESD_NS0_8identityIvEEEESI_SL_SM_mSN_SP_bEUlT_E_NS1_11comp_targetILNS1_3genE3ELNS1_11target_archE908ELNS1_3gpuE7ELNS1_3repE0EEENS1_30default_config_static_selectorELNS0_4arch9wavefront6targetE0EEEvT1_,@function
_ZN7rocprim17ROCPRIM_400000_NS6detail17trampoline_kernelINS0_14default_configENS1_25transform_config_selectorIiLb0EEEZNS1_14transform_implILb0ES3_S5_NS0_18transform_iteratorINS0_17counting_iteratorImlEEZNS1_24adjacent_difference_implIS3_Lb1ELb0EPKiPiN6thrust23THRUST_200600_302600_NS4plusIiEEEE10hipError_tPvRmT2_T3_mT4_P12ihipStream_tbEUlmE_iEESD_NS0_8identityIvEEEESI_SL_SM_mSN_SP_bEUlT_E_NS1_11comp_targetILNS1_3genE3ELNS1_11target_archE908ELNS1_3gpuE7ELNS1_3repE0EEENS1_30default_config_static_selectorELNS0_4arch9wavefront6targetE0EEEvT1_: ; @_ZN7rocprim17ROCPRIM_400000_NS6detail17trampoline_kernelINS0_14default_configENS1_25transform_config_selectorIiLb0EEEZNS1_14transform_implILb0ES3_S5_NS0_18transform_iteratorINS0_17counting_iteratorImlEEZNS1_24adjacent_difference_implIS3_Lb1ELb0EPKiPiN6thrust23THRUST_200600_302600_NS4plusIiEEEE10hipError_tPvRmT2_T3_mT4_P12ihipStream_tbEUlmE_iEESD_NS0_8identityIvEEEESI_SL_SM_mSN_SP_bEUlT_E_NS1_11comp_targetILNS1_3genE3ELNS1_11target_archE908ELNS1_3gpuE7ELNS1_3repE0EEENS1_30default_config_static_selectorELNS0_4arch9wavefront6targetE0EEEvT1_
; %bb.0:
	.section	.rodata,"a",@progbits
	.p2align	6, 0x0
	.amdhsa_kernel _ZN7rocprim17ROCPRIM_400000_NS6detail17trampoline_kernelINS0_14default_configENS1_25transform_config_selectorIiLb0EEEZNS1_14transform_implILb0ES3_S5_NS0_18transform_iteratorINS0_17counting_iteratorImlEEZNS1_24adjacent_difference_implIS3_Lb1ELb0EPKiPiN6thrust23THRUST_200600_302600_NS4plusIiEEEE10hipError_tPvRmT2_T3_mT4_P12ihipStream_tbEUlmE_iEESD_NS0_8identityIvEEEESI_SL_SM_mSN_SP_bEUlT_E_NS1_11comp_targetILNS1_3genE3ELNS1_11target_archE908ELNS1_3gpuE7ELNS1_3repE0EEENS1_30default_config_static_selectorELNS0_4arch9wavefront6targetE0EEEvT1_
		.amdhsa_group_segment_fixed_size 0
		.amdhsa_private_segment_fixed_size 0
		.amdhsa_kernarg_size 56
		.amdhsa_user_sgpr_count 15
		.amdhsa_user_sgpr_dispatch_ptr 0
		.amdhsa_user_sgpr_queue_ptr 0
		.amdhsa_user_sgpr_kernarg_segment_ptr 1
		.amdhsa_user_sgpr_dispatch_id 0
		.amdhsa_user_sgpr_private_segment_size 0
		.amdhsa_wavefront_size32 1
		.amdhsa_uses_dynamic_stack 0
		.amdhsa_enable_private_segment 0
		.amdhsa_system_sgpr_workgroup_id_x 1
		.amdhsa_system_sgpr_workgroup_id_y 0
		.amdhsa_system_sgpr_workgroup_id_z 0
		.amdhsa_system_sgpr_workgroup_info 0
		.amdhsa_system_vgpr_workitem_id 0
		.amdhsa_next_free_vgpr 1
		.amdhsa_next_free_sgpr 1
		.amdhsa_reserve_vcc 0
		.amdhsa_float_round_mode_32 0
		.amdhsa_float_round_mode_16_64 0
		.amdhsa_float_denorm_mode_32 3
		.amdhsa_float_denorm_mode_16_64 3
		.amdhsa_dx10_clamp 1
		.amdhsa_ieee_mode 1
		.amdhsa_fp16_overflow 0
		.amdhsa_workgroup_processor_mode 1
		.amdhsa_memory_ordered 1
		.amdhsa_forward_progress 0
		.amdhsa_shared_vgpr_count 0
		.amdhsa_exception_fp_ieee_invalid_op 0
		.amdhsa_exception_fp_denorm_src 0
		.amdhsa_exception_fp_ieee_div_zero 0
		.amdhsa_exception_fp_ieee_overflow 0
		.amdhsa_exception_fp_ieee_underflow 0
		.amdhsa_exception_fp_ieee_inexact 0
		.amdhsa_exception_int_div_zero 0
	.end_amdhsa_kernel
	.section	.text._ZN7rocprim17ROCPRIM_400000_NS6detail17trampoline_kernelINS0_14default_configENS1_25transform_config_selectorIiLb0EEEZNS1_14transform_implILb0ES3_S5_NS0_18transform_iteratorINS0_17counting_iteratorImlEEZNS1_24adjacent_difference_implIS3_Lb1ELb0EPKiPiN6thrust23THRUST_200600_302600_NS4plusIiEEEE10hipError_tPvRmT2_T3_mT4_P12ihipStream_tbEUlmE_iEESD_NS0_8identityIvEEEESI_SL_SM_mSN_SP_bEUlT_E_NS1_11comp_targetILNS1_3genE3ELNS1_11target_archE908ELNS1_3gpuE7ELNS1_3repE0EEENS1_30default_config_static_selectorELNS0_4arch9wavefront6targetE0EEEvT1_,"axG",@progbits,_ZN7rocprim17ROCPRIM_400000_NS6detail17trampoline_kernelINS0_14default_configENS1_25transform_config_selectorIiLb0EEEZNS1_14transform_implILb0ES3_S5_NS0_18transform_iteratorINS0_17counting_iteratorImlEEZNS1_24adjacent_difference_implIS3_Lb1ELb0EPKiPiN6thrust23THRUST_200600_302600_NS4plusIiEEEE10hipError_tPvRmT2_T3_mT4_P12ihipStream_tbEUlmE_iEESD_NS0_8identityIvEEEESI_SL_SM_mSN_SP_bEUlT_E_NS1_11comp_targetILNS1_3genE3ELNS1_11target_archE908ELNS1_3gpuE7ELNS1_3repE0EEENS1_30default_config_static_selectorELNS0_4arch9wavefront6targetE0EEEvT1_,comdat
.Lfunc_end734:
	.size	_ZN7rocprim17ROCPRIM_400000_NS6detail17trampoline_kernelINS0_14default_configENS1_25transform_config_selectorIiLb0EEEZNS1_14transform_implILb0ES3_S5_NS0_18transform_iteratorINS0_17counting_iteratorImlEEZNS1_24adjacent_difference_implIS3_Lb1ELb0EPKiPiN6thrust23THRUST_200600_302600_NS4plusIiEEEE10hipError_tPvRmT2_T3_mT4_P12ihipStream_tbEUlmE_iEESD_NS0_8identityIvEEEESI_SL_SM_mSN_SP_bEUlT_E_NS1_11comp_targetILNS1_3genE3ELNS1_11target_archE908ELNS1_3gpuE7ELNS1_3repE0EEENS1_30default_config_static_selectorELNS0_4arch9wavefront6targetE0EEEvT1_, .Lfunc_end734-_ZN7rocprim17ROCPRIM_400000_NS6detail17trampoline_kernelINS0_14default_configENS1_25transform_config_selectorIiLb0EEEZNS1_14transform_implILb0ES3_S5_NS0_18transform_iteratorINS0_17counting_iteratorImlEEZNS1_24adjacent_difference_implIS3_Lb1ELb0EPKiPiN6thrust23THRUST_200600_302600_NS4plusIiEEEE10hipError_tPvRmT2_T3_mT4_P12ihipStream_tbEUlmE_iEESD_NS0_8identityIvEEEESI_SL_SM_mSN_SP_bEUlT_E_NS1_11comp_targetILNS1_3genE3ELNS1_11target_archE908ELNS1_3gpuE7ELNS1_3repE0EEENS1_30default_config_static_selectorELNS0_4arch9wavefront6targetE0EEEvT1_
                                        ; -- End function
	.section	.AMDGPU.csdata,"",@progbits
; Kernel info:
; codeLenInByte = 0
; NumSgprs: 0
; NumVgprs: 0
; ScratchSize: 0
; MemoryBound: 0
; FloatMode: 240
; IeeeMode: 1
; LDSByteSize: 0 bytes/workgroup (compile time only)
; SGPRBlocks: 0
; VGPRBlocks: 0
; NumSGPRsForWavesPerEU: 1
; NumVGPRsForWavesPerEU: 1
; Occupancy: 16
; WaveLimiterHint : 0
; COMPUTE_PGM_RSRC2:SCRATCH_EN: 0
; COMPUTE_PGM_RSRC2:USER_SGPR: 15
; COMPUTE_PGM_RSRC2:TRAP_HANDLER: 0
; COMPUTE_PGM_RSRC2:TGID_X_EN: 1
; COMPUTE_PGM_RSRC2:TGID_Y_EN: 0
; COMPUTE_PGM_RSRC2:TGID_Z_EN: 0
; COMPUTE_PGM_RSRC2:TIDIG_COMP_CNT: 0
	.section	.text._ZN7rocprim17ROCPRIM_400000_NS6detail17trampoline_kernelINS0_14default_configENS1_25transform_config_selectorIiLb0EEEZNS1_14transform_implILb0ES3_S5_NS0_18transform_iteratorINS0_17counting_iteratorImlEEZNS1_24adjacent_difference_implIS3_Lb1ELb0EPKiPiN6thrust23THRUST_200600_302600_NS4plusIiEEEE10hipError_tPvRmT2_T3_mT4_P12ihipStream_tbEUlmE_iEESD_NS0_8identityIvEEEESI_SL_SM_mSN_SP_bEUlT_E_NS1_11comp_targetILNS1_3genE2ELNS1_11target_archE906ELNS1_3gpuE6ELNS1_3repE0EEENS1_30default_config_static_selectorELNS0_4arch9wavefront6targetE0EEEvT1_,"axG",@progbits,_ZN7rocprim17ROCPRIM_400000_NS6detail17trampoline_kernelINS0_14default_configENS1_25transform_config_selectorIiLb0EEEZNS1_14transform_implILb0ES3_S5_NS0_18transform_iteratorINS0_17counting_iteratorImlEEZNS1_24adjacent_difference_implIS3_Lb1ELb0EPKiPiN6thrust23THRUST_200600_302600_NS4plusIiEEEE10hipError_tPvRmT2_T3_mT4_P12ihipStream_tbEUlmE_iEESD_NS0_8identityIvEEEESI_SL_SM_mSN_SP_bEUlT_E_NS1_11comp_targetILNS1_3genE2ELNS1_11target_archE906ELNS1_3gpuE6ELNS1_3repE0EEENS1_30default_config_static_selectorELNS0_4arch9wavefront6targetE0EEEvT1_,comdat
	.protected	_ZN7rocprim17ROCPRIM_400000_NS6detail17trampoline_kernelINS0_14default_configENS1_25transform_config_selectorIiLb0EEEZNS1_14transform_implILb0ES3_S5_NS0_18transform_iteratorINS0_17counting_iteratorImlEEZNS1_24adjacent_difference_implIS3_Lb1ELb0EPKiPiN6thrust23THRUST_200600_302600_NS4plusIiEEEE10hipError_tPvRmT2_T3_mT4_P12ihipStream_tbEUlmE_iEESD_NS0_8identityIvEEEESI_SL_SM_mSN_SP_bEUlT_E_NS1_11comp_targetILNS1_3genE2ELNS1_11target_archE906ELNS1_3gpuE6ELNS1_3repE0EEENS1_30default_config_static_selectorELNS0_4arch9wavefront6targetE0EEEvT1_ ; -- Begin function _ZN7rocprim17ROCPRIM_400000_NS6detail17trampoline_kernelINS0_14default_configENS1_25transform_config_selectorIiLb0EEEZNS1_14transform_implILb0ES3_S5_NS0_18transform_iteratorINS0_17counting_iteratorImlEEZNS1_24adjacent_difference_implIS3_Lb1ELb0EPKiPiN6thrust23THRUST_200600_302600_NS4plusIiEEEE10hipError_tPvRmT2_T3_mT4_P12ihipStream_tbEUlmE_iEESD_NS0_8identityIvEEEESI_SL_SM_mSN_SP_bEUlT_E_NS1_11comp_targetILNS1_3genE2ELNS1_11target_archE906ELNS1_3gpuE6ELNS1_3repE0EEENS1_30default_config_static_selectorELNS0_4arch9wavefront6targetE0EEEvT1_
	.globl	_ZN7rocprim17ROCPRIM_400000_NS6detail17trampoline_kernelINS0_14default_configENS1_25transform_config_selectorIiLb0EEEZNS1_14transform_implILb0ES3_S5_NS0_18transform_iteratorINS0_17counting_iteratorImlEEZNS1_24adjacent_difference_implIS3_Lb1ELb0EPKiPiN6thrust23THRUST_200600_302600_NS4plusIiEEEE10hipError_tPvRmT2_T3_mT4_P12ihipStream_tbEUlmE_iEESD_NS0_8identityIvEEEESI_SL_SM_mSN_SP_bEUlT_E_NS1_11comp_targetILNS1_3genE2ELNS1_11target_archE906ELNS1_3gpuE6ELNS1_3repE0EEENS1_30default_config_static_selectorELNS0_4arch9wavefront6targetE0EEEvT1_
	.p2align	8
	.type	_ZN7rocprim17ROCPRIM_400000_NS6detail17trampoline_kernelINS0_14default_configENS1_25transform_config_selectorIiLb0EEEZNS1_14transform_implILb0ES3_S5_NS0_18transform_iteratorINS0_17counting_iteratorImlEEZNS1_24adjacent_difference_implIS3_Lb1ELb0EPKiPiN6thrust23THRUST_200600_302600_NS4plusIiEEEE10hipError_tPvRmT2_T3_mT4_P12ihipStream_tbEUlmE_iEESD_NS0_8identityIvEEEESI_SL_SM_mSN_SP_bEUlT_E_NS1_11comp_targetILNS1_3genE2ELNS1_11target_archE906ELNS1_3gpuE6ELNS1_3repE0EEENS1_30default_config_static_selectorELNS0_4arch9wavefront6targetE0EEEvT1_,@function
_ZN7rocprim17ROCPRIM_400000_NS6detail17trampoline_kernelINS0_14default_configENS1_25transform_config_selectorIiLb0EEEZNS1_14transform_implILb0ES3_S5_NS0_18transform_iteratorINS0_17counting_iteratorImlEEZNS1_24adjacent_difference_implIS3_Lb1ELb0EPKiPiN6thrust23THRUST_200600_302600_NS4plusIiEEEE10hipError_tPvRmT2_T3_mT4_P12ihipStream_tbEUlmE_iEESD_NS0_8identityIvEEEESI_SL_SM_mSN_SP_bEUlT_E_NS1_11comp_targetILNS1_3genE2ELNS1_11target_archE906ELNS1_3gpuE6ELNS1_3repE0EEENS1_30default_config_static_selectorELNS0_4arch9wavefront6targetE0EEEvT1_: ; @_ZN7rocprim17ROCPRIM_400000_NS6detail17trampoline_kernelINS0_14default_configENS1_25transform_config_selectorIiLb0EEEZNS1_14transform_implILb0ES3_S5_NS0_18transform_iteratorINS0_17counting_iteratorImlEEZNS1_24adjacent_difference_implIS3_Lb1ELb0EPKiPiN6thrust23THRUST_200600_302600_NS4plusIiEEEE10hipError_tPvRmT2_T3_mT4_P12ihipStream_tbEUlmE_iEESD_NS0_8identityIvEEEESI_SL_SM_mSN_SP_bEUlT_E_NS1_11comp_targetILNS1_3genE2ELNS1_11target_archE906ELNS1_3gpuE6ELNS1_3repE0EEENS1_30default_config_static_selectorELNS0_4arch9wavefront6targetE0EEEvT1_
; %bb.0:
	.section	.rodata,"a",@progbits
	.p2align	6, 0x0
	.amdhsa_kernel _ZN7rocprim17ROCPRIM_400000_NS6detail17trampoline_kernelINS0_14default_configENS1_25transform_config_selectorIiLb0EEEZNS1_14transform_implILb0ES3_S5_NS0_18transform_iteratorINS0_17counting_iteratorImlEEZNS1_24adjacent_difference_implIS3_Lb1ELb0EPKiPiN6thrust23THRUST_200600_302600_NS4plusIiEEEE10hipError_tPvRmT2_T3_mT4_P12ihipStream_tbEUlmE_iEESD_NS0_8identityIvEEEESI_SL_SM_mSN_SP_bEUlT_E_NS1_11comp_targetILNS1_3genE2ELNS1_11target_archE906ELNS1_3gpuE6ELNS1_3repE0EEENS1_30default_config_static_selectorELNS0_4arch9wavefront6targetE0EEEvT1_
		.amdhsa_group_segment_fixed_size 0
		.amdhsa_private_segment_fixed_size 0
		.amdhsa_kernarg_size 56
		.amdhsa_user_sgpr_count 15
		.amdhsa_user_sgpr_dispatch_ptr 0
		.amdhsa_user_sgpr_queue_ptr 0
		.amdhsa_user_sgpr_kernarg_segment_ptr 1
		.amdhsa_user_sgpr_dispatch_id 0
		.amdhsa_user_sgpr_private_segment_size 0
		.amdhsa_wavefront_size32 1
		.amdhsa_uses_dynamic_stack 0
		.amdhsa_enable_private_segment 0
		.amdhsa_system_sgpr_workgroup_id_x 1
		.amdhsa_system_sgpr_workgroup_id_y 0
		.amdhsa_system_sgpr_workgroup_id_z 0
		.amdhsa_system_sgpr_workgroup_info 0
		.amdhsa_system_vgpr_workitem_id 0
		.amdhsa_next_free_vgpr 1
		.amdhsa_next_free_sgpr 1
		.amdhsa_reserve_vcc 0
		.amdhsa_float_round_mode_32 0
		.amdhsa_float_round_mode_16_64 0
		.amdhsa_float_denorm_mode_32 3
		.amdhsa_float_denorm_mode_16_64 3
		.amdhsa_dx10_clamp 1
		.amdhsa_ieee_mode 1
		.amdhsa_fp16_overflow 0
		.amdhsa_workgroup_processor_mode 1
		.amdhsa_memory_ordered 1
		.amdhsa_forward_progress 0
		.amdhsa_shared_vgpr_count 0
		.amdhsa_exception_fp_ieee_invalid_op 0
		.amdhsa_exception_fp_denorm_src 0
		.amdhsa_exception_fp_ieee_div_zero 0
		.amdhsa_exception_fp_ieee_overflow 0
		.amdhsa_exception_fp_ieee_underflow 0
		.amdhsa_exception_fp_ieee_inexact 0
		.amdhsa_exception_int_div_zero 0
	.end_amdhsa_kernel
	.section	.text._ZN7rocprim17ROCPRIM_400000_NS6detail17trampoline_kernelINS0_14default_configENS1_25transform_config_selectorIiLb0EEEZNS1_14transform_implILb0ES3_S5_NS0_18transform_iteratorINS0_17counting_iteratorImlEEZNS1_24adjacent_difference_implIS3_Lb1ELb0EPKiPiN6thrust23THRUST_200600_302600_NS4plusIiEEEE10hipError_tPvRmT2_T3_mT4_P12ihipStream_tbEUlmE_iEESD_NS0_8identityIvEEEESI_SL_SM_mSN_SP_bEUlT_E_NS1_11comp_targetILNS1_3genE2ELNS1_11target_archE906ELNS1_3gpuE6ELNS1_3repE0EEENS1_30default_config_static_selectorELNS0_4arch9wavefront6targetE0EEEvT1_,"axG",@progbits,_ZN7rocprim17ROCPRIM_400000_NS6detail17trampoline_kernelINS0_14default_configENS1_25transform_config_selectorIiLb0EEEZNS1_14transform_implILb0ES3_S5_NS0_18transform_iteratorINS0_17counting_iteratorImlEEZNS1_24adjacent_difference_implIS3_Lb1ELb0EPKiPiN6thrust23THRUST_200600_302600_NS4plusIiEEEE10hipError_tPvRmT2_T3_mT4_P12ihipStream_tbEUlmE_iEESD_NS0_8identityIvEEEESI_SL_SM_mSN_SP_bEUlT_E_NS1_11comp_targetILNS1_3genE2ELNS1_11target_archE906ELNS1_3gpuE6ELNS1_3repE0EEENS1_30default_config_static_selectorELNS0_4arch9wavefront6targetE0EEEvT1_,comdat
.Lfunc_end735:
	.size	_ZN7rocprim17ROCPRIM_400000_NS6detail17trampoline_kernelINS0_14default_configENS1_25transform_config_selectorIiLb0EEEZNS1_14transform_implILb0ES3_S5_NS0_18transform_iteratorINS0_17counting_iteratorImlEEZNS1_24adjacent_difference_implIS3_Lb1ELb0EPKiPiN6thrust23THRUST_200600_302600_NS4plusIiEEEE10hipError_tPvRmT2_T3_mT4_P12ihipStream_tbEUlmE_iEESD_NS0_8identityIvEEEESI_SL_SM_mSN_SP_bEUlT_E_NS1_11comp_targetILNS1_3genE2ELNS1_11target_archE906ELNS1_3gpuE6ELNS1_3repE0EEENS1_30default_config_static_selectorELNS0_4arch9wavefront6targetE0EEEvT1_, .Lfunc_end735-_ZN7rocprim17ROCPRIM_400000_NS6detail17trampoline_kernelINS0_14default_configENS1_25transform_config_selectorIiLb0EEEZNS1_14transform_implILb0ES3_S5_NS0_18transform_iteratorINS0_17counting_iteratorImlEEZNS1_24adjacent_difference_implIS3_Lb1ELb0EPKiPiN6thrust23THRUST_200600_302600_NS4plusIiEEEE10hipError_tPvRmT2_T3_mT4_P12ihipStream_tbEUlmE_iEESD_NS0_8identityIvEEEESI_SL_SM_mSN_SP_bEUlT_E_NS1_11comp_targetILNS1_3genE2ELNS1_11target_archE906ELNS1_3gpuE6ELNS1_3repE0EEENS1_30default_config_static_selectorELNS0_4arch9wavefront6targetE0EEEvT1_
                                        ; -- End function
	.section	.AMDGPU.csdata,"",@progbits
; Kernel info:
; codeLenInByte = 0
; NumSgprs: 0
; NumVgprs: 0
; ScratchSize: 0
; MemoryBound: 0
; FloatMode: 240
; IeeeMode: 1
; LDSByteSize: 0 bytes/workgroup (compile time only)
; SGPRBlocks: 0
; VGPRBlocks: 0
; NumSGPRsForWavesPerEU: 1
; NumVGPRsForWavesPerEU: 1
; Occupancy: 16
; WaveLimiterHint : 0
; COMPUTE_PGM_RSRC2:SCRATCH_EN: 0
; COMPUTE_PGM_RSRC2:USER_SGPR: 15
; COMPUTE_PGM_RSRC2:TRAP_HANDLER: 0
; COMPUTE_PGM_RSRC2:TGID_X_EN: 1
; COMPUTE_PGM_RSRC2:TGID_Y_EN: 0
; COMPUTE_PGM_RSRC2:TGID_Z_EN: 0
; COMPUTE_PGM_RSRC2:TIDIG_COMP_CNT: 0
	.section	.text._ZN7rocprim17ROCPRIM_400000_NS6detail17trampoline_kernelINS0_14default_configENS1_25transform_config_selectorIiLb0EEEZNS1_14transform_implILb0ES3_S5_NS0_18transform_iteratorINS0_17counting_iteratorImlEEZNS1_24adjacent_difference_implIS3_Lb1ELb0EPKiPiN6thrust23THRUST_200600_302600_NS4plusIiEEEE10hipError_tPvRmT2_T3_mT4_P12ihipStream_tbEUlmE_iEESD_NS0_8identityIvEEEESI_SL_SM_mSN_SP_bEUlT_E_NS1_11comp_targetILNS1_3genE10ELNS1_11target_archE1201ELNS1_3gpuE5ELNS1_3repE0EEENS1_30default_config_static_selectorELNS0_4arch9wavefront6targetE0EEEvT1_,"axG",@progbits,_ZN7rocprim17ROCPRIM_400000_NS6detail17trampoline_kernelINS0_14default_configENS1_25transform_config_selectorIiLb0EEEZNS1_14transform_implILb0ES3_S5_NS0_18transform_iteratorINS0_17counting_iteratorImlEEZNS1_24adjacent_difference_implIS3_Lb1ELb0EPKiPiN6thrust23THRUST_200600_302600_NS4plusIiEEEE10hipError_tPvRmT2_T3_mT4_P12ihipStream_tbEUlmE_iEESD_NS0_8identityIvEEEESI_SL_SM_mSN_SP_bEUlT_E_NS1_11comp_targetILNS1_3genE10ELNS1_11target_archE1201ELNS1_3gpuE5ELNS1_3repE0EEENS1_30default_config_static_selectorELNS0_4arch9wavefront6targetE0EEEvT1_,comdat
	.protected	_ZN7rocprim17ROCPRIM_400000_NS6detail17trampoline_kernelINS0_14default_configENS1_25transform_config_selectorIiLb0EEEZNS1_14transform_implILb0ES3_S5_NS0_18transform_iteratorINS0_17counting_iteratorImlEEZNS1_24adjacent_difference_implIS3_Lb1ELb0EPKiPiN6thrust23THRUST_200600_302600_NS4plusIiEEEE10hipError_tPvRmT2_T3_mT4_P12ihipStream_tbEUlmE_iEESD_NS0_8identityIvEEEESI_SL_SM_mSN_SP_bEUlT_E_NS1_11comp_targetILNS1_3genE10ELNS1_11target_archE1201ELNS1_3gpuE5ELNS1_3repE0EEENS1_30default_config_static_selectorELNS0_4arch9wavefront6targetE0EEEvT1_ ; -- Begin function _ZN7rocprim17ROCPRIM_400000_NS6detail17trampoline_kernelINS0_14default_configENS1_25transform_config_selectorIiLb0EEEZNS1_14transform_implILb0ES3_S5_NS0_18transform_iteratorINS0_17counting_iteratorImlEEZNS1_24adjacent_difference_implIS3_Lb1ELb0EPKiPiN6thrust23THRUST_200600_302600_NS4plusIiEEEE10hipError_tPvRmT2_T3_mT4_P12ihipStream_tbEUlmE_iEESD_NS0_8identityIvEEEESI_SL_SM_mSN_SP_bEUlT_E_NS1_11comp_targetILNS1_3genE10ELNS1_11target_archE1201ELNS1_3gpuE5ELNS1_3repE0EEENS1_30default_config_static_selectorELNS0_4arch9wavefront6targetE0EEEvT1_
	.globl	_ZN7rocprim17ROCPRIM_400000_NS6detail17trampoline_kernelINS0_14default_configENS1_25transform_config_selectorIiLb0EEEZNS1_14transform_implILb0ES3_S5_NS0_18transform_iteratorINS0_17counting_iteratorImlEEZNS1_24adjacent_difference_implIS3_Lb1ELb0EPKiPiN6thrust23THRUST_200600_302600_NS4plusIiEEEE10hipError_tPvRmT2_T3_mT4_P12ihipStream_tbEUlmE_iEESD_NS0_8identityIvEEEESI_SL_SM_mSN_SP_bEUlT_E_NS1_11comp_targetILNS1_3genE10ELNS1_11target_archE1201ELNS1_3gpuE5ELNS1_3repE0EEENS1_30default_config_static_selectorELNS0_4arch9wavefront6targetE0EEEvT1_
	.p2align	8
	.type	_ZN7rocprim17ROCPRIM_400000_NS6detail17trampoline_kernelINS0_14default_configENS1_25transform_config_selectorIiLb0EEEZNS1_14transform_implILb0ES3_S5_NS0_18transform_iteratorINS0_17counting_iteratorImlEEZNS1_24adjacent_difference_implIS3_Lb1ELb0EPKiPiN6thrust23THRUST_200600_302600_NS4plusIiEEEE10hipError_tPvRmT2_T3_mT4_P12ihipStream_tbEUlmE_iEESD_NS0_8identityIvEEEESI_SL_SM_mSN_SP_bEUlT_E_NS1_11comp_targetILNS1_3genE10ELNS1_11target_archE1201ELNS1_3gpuE5ELNS1_3repE0EEENS1_30default_config_static_selectorELNS0_4arch9wavefront6targetE0EEEvT1_,@function
_ZN7rocprim17ROCPRIM_400000_NS6detail17trampoline_kernelINS0_14default_configENS1_25transform_config_selectorIiLb0EEEZNS1_14transform_implILb0ES3_S5_NS0_18transform_iteratorINS0_17counting_iteratorImlEEZNS1_24adjacent_difference_implIS3_Lb1ELb0EPKiPiN6thrust23THRUST_200600_302600_NS4plusIiEEEE10hipError_tPvRmT2_T3_mT4_P12ihipStream_tbEUlmE_iEESD_NS0_8identityIvEEEESI_SL_SM_mSN_SP_bEUlT_E_NS1_11comp_targetILNS1_3genE10ELNS1_11target_archE1201ELNS1_3gpuE5ELNS1_3repE0EEENS1_30default_config_static_selectorELNS0_4arch9wavefront6targetE0EEEvT1_: ; @_ZN7rocprim17ROCPRIM_400000_NS6detail17trampoline_kernelINS0_14default_configENS1_25transform_config_selectorIiLb0EEEZNS1_14transform_implILb0ES3_S5_NS0_18transform_iteratorINS0_17counting_iteratorImlEEZNS1_24adjacent_difference_implIS3_Lb1ELb0EPKiPiN6thrust23THRUST_200600_302600_NS4plusIiEEEE10hipError_tPvRmT2_T3_mT4_P12ihipStream_tbEUlmE_iEESD_NS0_8identityIvEEEESI_SL_SM_mSN_SP_bEUlT_E_NS1_11comp_targetILNS1_3genE10ELNS1_11target_archE1201ELNS1_3gpuE5ELNS1_3repE0EEENS1_30default_config_static_selectorELNS0_4arch9wavefront6targetE0EEEvT1_
; %bb.0:
	.section	.rodata,"a",@progbits
	.p2align	6, 0x0
	.amdhsa_kernel _ZN7rocprim17ROCPRIM_400000_NS6detail17trampoline_kernelINS0_14default_configENS1_25transform_config_selectorIiLb0EEEZNS1_14transform_implILb0ES3_S5_NS0_18transform_iteratorINS0_17counting_iteratorImlEEZNS1_24adjacent_difference_implIS3_Lb1ELb0EPKiPiN6thrust23THRUST_200600_302600_NS4plusIiEEEE10hipError_tPvRmT2_T3_mT4_P12ihipStream_tbEUlmE_iEESD_NS0_8identityIvEEEESI_SL_SM_mSN_SP_bEUlT_E_NS1_11comp_targetILNS1_3genE10ELNS1_11target_archE1201ELNS1_3gpuE5ELNS1_3repE0EEENS1_30default_config_static_selectorELNS0_4arch9wavefront6targetE0EEEvT1_
		.amdhsa_group_segment_fixed_size 0
		.amdhsa_private_segment_fixed_size 0
		.amdhsa_kernarg_size 56
		.amdhsa_user_sgpr_count 15
		.amdhsa_user_sgpr_dispatch_ptr 0
		.amdhsa_user_sgpr_queue_ptr 0
		.amdhsa_user_sgpr_kernarg_segment_ptr 1
		.amdhsa_user_sgpr_dispatch_id 0
		.amdhsa_user_sgpr_private_segment_size 0
		.amdhsa_wavefront_size32 1
		.amdhsa_uses_dynamic_stack 0
		.amdhsa_enable_private_segment 0
		.amdhsa_system_sgpr_workgroup_id_x 1
		.amdhsa_system_sgpr_workgroup_id_y 0
		.amdhsa_system_sgpr_workgroup_id_z 0
		.amdhsa_system_sgpr_workgroup_info 0
		.amdhsa_system_vgpr_workitem_id 0
		.amdhsa_next_free_vgpr 1
		.amdhsa_next_free_sgpr 1
		.amdhsa_reserve_vcc 0
		.amdhsa_float_round_mode_32 0
		.amdhsa_float_round_mode_16_64 0
		.amdhsa_float_denorm_mode_32 3
		.amdhsa_float_denorm_mode_16_64 3
		.amdhsa_dx10_clamp 1
		.amdhsa_ieee_mode 1
		.amdhsa_fp16_overflow 0
		.amdhsa_workgroup_processor_mode 1
		.amdhsa_memory_ordered 1
		.amdhsa_forward_progress 0
		.amdhsa_shared_vgpr_count 0
		.amdhsa_exception_fp_ieee_invalid_op 0
		.amdhsa_exception_fp_denorm_src 0
		.amdhsa_exception_fp_ieee_div_zero 0
		.amdhsa_exception_fp_ieee_overflow 0
		.amdhsa_exception_fp_ieee_underflow 0
		.amdhsa_exception_fp_ieee_inexact 0
		.amdhsa_exception_int_div_zero 0
	.end_amdhsa_kernel
	.section	.text._ZN7rocprim17ROCPRIM_400000_NS6detail17trampoline_kernelINS0_14default_configENS1_25transform_config_selectorIiLb0EEEZNS1_14transform_implILb0ES3_S5_NS0_18transform_iteratorINS0_17counting_iteratorImlEEZNS1_24adjacent_difference_implIS3_Lb1ELb0EPKiPiN6thrust23THRUST_200600_302600_NS4plusIiEEEE10hipError_tPvRmT2_T3_mT4_P12ihipStream_tbEUlmE_iEESD_NS0_8identityIvEEEESI_SL_SM_mSN_SP_bEUlT_E_NS1_11comp_targetILNS1_3genE10ELNS1_11target_archE1201ELNS1_3gpuE5ELNS1_3repE0EEENS1_30default_config_static_selectorELNS0_4arch9wavefront6targetE0EEEvT1_,"axG",@progbits,_ZN7rocprim17ROCPRIM_400000_NS6detail17trampoline_kernelINS0_14default_configENS1_25transform_config_selectorIiLb0EEEZNS1_14transform_implILb0ES3_S5_NS0_18transform_iteratorINS0_17counting_iteratorImlEEZNS1_24adjacent_difference_implIS3_Lb1ELb0EPKiPiN6thrust23THRUST_200600_302600_NS4plusIiEEEE10hipError_tPvRmT2_T3_mT4_P12ihipStream_tbEUlmE_iEESD_NS0_8identityIvEEEESI_SL_SM_mSN_SP_bEUlT_E_NS1_11comp_targetILNS1_3genE10ELNS1_11target_archE1201ELNS1_3gpuE5ELNS1_3repE0EEENS1_30default_config_static_selectorELNS0_4arch9wavefront6targetE0EEEvT1_,comdat
.Lfunc_end736:
	.size	_ZN7rocprim17ROCPRIM_400000_NS6detail17trampoline_kernelINS0_14default_configENS1_25transform_config_selectorIiLb0EEEZNS1_14transform_implILb0ES3_S5_NS0_18transform_iteratorINS0_17counting_iteratorImlEEZNS1_24adjacent_difference_implIS3_Lb1ELb0EPKiPiN6thrust23THRUST_200600_302600_NS4plusIiEEEE10hipError_tPvRmT2_T3_mT4_P12ihipStream_tbEUlmE_iEESD_NS0_8identityIvEEEESI_SL_SM_mSN_SP_bEUlT_E_NS1_11comp_targetILNS1_3genE10ELNS1_11target_archE1201ELNS1_3gpuE5ELNS1_3repE0EEENS1_30default_config_static_selectorELNS0_4arch9wavefront6targetE0EEEvT1_, .Lfunc_end736-_ZN7rocprim17ROCPRIM_400000_NS6detail17trampoline_kernelINS0_14default_configENS1_25transform_config_selectorIiLb0EEEZNS1_14transform_implILb0ES3_S5_NS0_18transform_iteratorINS0_17counting_iteratorImlEEZNS1_24adjacent_difference_implIS3_Lb1ELb0EPKiPiN6thrust23THRUST_200600_302600_NS4plusIiEEEE10hipError_tPvRmT2_T3_mT4_P12ihipStream_tbEUlmE_iEESD_NS0_8identityIvEEEESI_SL_SM_mSN_SP_bEUlT_E_NS1_11comp_targetILNS1_3genE10ELNS1_11target_archE1201ELNS1_3gpuE5ELNS1_3repE0EEENS1_30default_config_static_selectorELNS0_4arch9wavefront6targetE0EEEvT1_
                                        ; -- End function
	.section	.AMDGPU.csdata,"",@progbits
; Kernel info:
; codeLenInByte = 0
; NumSgprs: 0
; NumVgprs: 0
; ScratchSize: 0
; MemoryBound: 0
; FloatMode: 240
; IeeeMode: 1
; LDSByteSize: 0 bytes/workgroup (compile time only)
; SGPRBlocks: 0
; VGPRBlocks: 0
; NumSGPRsForWavesPerEU: 1
; NumVGPRsForWavesPerEU: 1
; Occupancy: 16
; WaveLimiterHint : 0
; COMPUTE_PGM_RSRC2:SCRATCH_EN: 0
; COMPUTE_PGM_RSRC2:USER_SGPR: 15
; COMPUTE_PGM_RSRC2:TRAP_HANDLER: 0
; COMPUTE_PGM_RSRC2:TGID_X_EN: 1
; COMPUTE_PGM_RSRC2:TGID_Y_EN: 0
; COMPUTE_PGM_RSRC2:TGID_Z_EN: 0
; COMPUTE_PGM_RSRC2:TIDIG_COMP_CNT: 0
	.section	.text._ZN7rocprim17ROCPRIM_400000_NS6detail17trampoline_kernelINS0_14default_configENS1_25transform_config_selectorIiLb0EEEZNS1_14transform_implILb0ES3_S5_NS0_18transform_iteratorINS0_17counting_iteratorImlEEZNS1_24adjacent_difference_implIS3_Lb1ELb0EPKiPiN6thrust23THRUST_200600_302600_NS4plusIiEEEE10hipError_tPvRmT2_T3_mT4_P12ihipStream_tbEUlmE_iEESD_NS0_8identityIvEEEESI_SL_SM_mSN_SP_bEUlT_E_NS1_11comp_targetILNS1_3genE10ELNS1_11target_archE1200ELNS1_3gpuE4ELNS1_3repE0EEENS1_30default_config_static_selectorELNS0_4arch9wavefront6targetE0EEEvT1_,"axG",@progbits,_ZN7rocprim17ROCPRIM_400000_NS6detail17trampoline_kernelINS0_14default_configENS1_25transform_config_selectorIiLb0EEEZNS1_14transform_implILb0ES3_S5_NS0_18transform_iteratorINS0_17counting_iteratorImlEEZNS1_24adjacent_difference_implIS3_Lb1ELb0EPKiPiN6thrust23THRUST_200600_302600_NS4plusIiEEEE10hipError_tPvRmT2_T3_mT4_P12ihipStream_tbEUlmE_iEESD_NS0_8identityIvEEEESI_SL_SM_mSN_SP_bEUlT_E_NS1_11comp_targetILNS1_3genE10ELNS1_11target_archE1200ELNS1_3gpuE4ELNS1_3repE0EEENS1_30default_config_static_selectorELNS0_4arch9wavefront6targetE0EEEvT1_,comdat
	.protected	_ZN7rocprim17ROCPRIM_400000_NS6detail17trampoline_kernelINS0_14default_configENS1_25transform_config_selectorIiLb0EEEZNS1_14transform_implILb0ES3_S5_NS0_18transform_iteratorINS0_17counting_iteratorImlEEZNS1_24adjacent_difference_implIS3_Lb1ELb0EPKiPiN6thrust23THRUST_200600_302600_NS4plusIiEEEE10hipError_tPvRmT2_T3_mT4_P12ihipStream_tbEUlmE_iEESD_NS0_8identityIvEEEESI_SL_SM_mSN_SP_bEUlT_E_NS1_11comp_targetILNS1_3genE10ELNS1_11target_archE1200ELNS1_3gpuE4ELNS1_3repE0EEENS1_30default_config_static_selectorELNS0_4arch9wavefront6targetE0EEEvT1_ ; -- Begin function _ZN7rocprim17ROCPRIM_400000_NS6detail17trampoline_kernelINS0_14default_configENS1_25transform_config_selectorIiLb0EEEZNS1_14transform_implILb0ES3_S5_NS0_18transform_iteratorINS0_17counting_iteratorImlEEZNS1_24adjacent_difference_implIS3_Lb1ELb0EPKiPiN6thrust23THRUST_200600_302600_NS4plusIiEEEE10hipError_tPvRmT2_T3_mT4_P12ihipStream_tbEUlmE_iEESD_NS0_8identityIvEEEESI_SL_SM_mSN_SP_bEUlT_E_NS1_11comp_targetILNS1_3genE10ELNS1_11target_archE1200ELNS1_3gpuE4ELNS1_3repE0EEENS1_30default_config_static_selectorELNS0_4arch9wavefront6targetE0EEEvT1_
	.globl	_ZN7rocprim17ROCPRIM_400000_NS6detail17trampoline_kernelINS0_14default_configENS1_25transform_config_selectorIiLb0EEEZNS1_14transform_implILb0ES3_S5_NS0_18transform_iteratorINS0_17counting_iteratorImlEEZNS1_24adjacent_difference_implIS3_Lb1ELb0EPKiPiN6thrust23THRUST_200600_302600_NS4plusIiEEEE10hipError_tPvRmT2_T3_mT4_P12ihipStream_tbEUlmE_iEESD_NS0_8identityIvEEEESI_SL_SM_mSN_SP_bEUlT_E_NS1_11comp_targetILNS1_3genE10ELNS1_11target_archE1200ELNS1_3gpuE4ELNS1_3repE0EEENS1_30default_config_static_selectorELNS0_4arch9wavefront6targetE0EEEvT1_
	.p2align	8
	.type	_ZN7rocprim17ROCPRIM_400000_NS6detail17trampoline_kernelINS0_14default_configENS1_25transform_config_selectorIiLb0EEEZNS1_14transform_implILb0ES3_S5_NS0_18transform_iteratorINS0_17counting_iteratorImlEEZNS1_24adjacent_difference_implIS3_Lb1ELb0EPKiPiN6thrust23THRUST_200600_302600_NS4plusIiEEEE10hipError_tPvRmT2_T3_mT4_P12ihipStream_tbEUlmE_iEESD_NS0_8identityIvEEEESI_SL_SM_mSN_SP_bEUlT_E_NS1_11comp_targetILNS1_3genE10ELNS1_11target_archE1200ELNS1_3gpuE4ELNS1_3repE0EEENS1_30default_config_static_selectorELNS0_4arch9wavefront6targetE0EEEvT1_,@function
_ZN7rocprim17ROCPRIM_400000_NS6detail17trampoline_kernelINS0_14default_configENS1_25transform_config_selectorIiLb0EEEZNS1_14transform_implILb0ES3_S5_NS0_18transform_iteratorINS0_17counting_iteratorImlEEZNS1_24adjacent_difference_implIS3_Lb1ELb0EPKiPiN6thrust23THRUST_200600_302600_NS4plusIiEEEE10hipError_tPvRmT2_T3_mT4_P12ihipStream_tbEUlmE_iEESD_NS0_8identityIvEEEESI_SL_SM_mSN_SP_bEUlT_E_NS1_11comp_targetILNS1_3genE10ELNS1_11target_archE1200ELNS1_3gpuE4ELNS1_3repE0EEENS1_30default_config_static_selectorELNS0_4arch9wavefront6targetE0EEEvT1_: ; @_ZN7rocprim17ROCPRIM_400000_NS6detail17trampoline_kernelINS0_14default_configENS1_25transform_config_selectorIiLb0EEEZNS1_14transform_implILb0ES3_S5_NS0_18transform_iteratorINS0_17counting_iteratorImlEEZNS1_24adjacent_difference_implIS3_Lb1ELb0EPKiPiN6thrust23THRUST_200600_302600_NS4plusIiEEEE10hipError_tPvRmT2_T3_mT4_P12ihipStream_tbEUlmE_iEESD_NS0_8identityIvEEEESI_SL_SM_mSN_SP_bEUlT_E_NS1_11comp_targetILNS1_3genE10ELNS1_11target_archE1200ELNS1_3gpuE4ELNS1_3repE0EEENS1_30default_config_static_selectorELNS0_4arch9wavefront6targetE0EEEvT1_
; %bb.0:
	.section	.rodata,"a",@progbits
	.p2align	6, 0x0
	.amdhsa_kernel _ZN7rocprim17ROCPRIM_400000_NS6detail17trampoline_kernelINS0_14default_configENS1_25transform_config_selectorIiLb0EEEZNS1_14transform_implILb0ES3_S5_NS0_18transform_iteratorINS0_17counting_iteratorImlEEZNS1_24adjacent_difference_implIS3_Lb1ELb0EPKiPiN6thrust23THRUST_200600_302600_NS4plusIiEEEE10hipError_tPvRmT2_T3_mT4_P12ihipStream_tbEUlmE_iEESD_NS0_8identityIvEEEESI_SL_SM_mSN_SP_bEUlT_E_NS1_11comp_targetILNS1_3genE10ELNS1_11target_archE1200ELNS1_3gpuE4ELNS1_3repE0EEENS1_30default_config_static_selectorELNS0_4arch9wavefront6targetE0EEEvT1_
		.amdhsa_group_segment_fixed_size 0
		.amdhsa_private_segment_fixed_size 0
		.amdhsa_kernarg_size 56
		.amdhsa_user_sgpr_count 15
		.amdhsa_user_sgpr_dispatch_ptr 0
		.amdhsa_user_sgpr_queue_ptr 0
		.amdhsa_user_sgpr_kernarg_segment_ptr 1
		.amdhsa_user_sgpr_dispatch_id 0
		.amdhsa_user_sgpr_private_segment_size 0
		.amdhsa_wavefront_size32 1
		.amdhsa_uses_dynamic_stack 0
		.amdhsa_enable_private_segment 0
		.amdhsa_system_sgpr_workgroup_id_x 1
		.amdhsa_system_sgpr_workgroup_id_y 0
		.amdhsa_system_sgpr_workgroup_id_z 0
		.amdhsa_system_sgpr_workgroup_info 0
		.amdhsa_system_vgpr_workitem_id 0
		.amdhsa_next_free_vgpr 1
		.amdhsa_next_free_sgpr 1
		.amdhsa_reserve_vcc 0
		.amdhsa_float_round_mode_32 0
		.amdhsa_float_round_mode_16_64 0
		.amdhsa_float_denorm_mode_32 3
		.amdhsa_float_denorm_mode_16_64 3
		.amdhsa_dx10_clamp 1
		.amdhsa_ieee_mode 1
		.amdhsa_fp16_overflow 0
		.amdhsa_workgroup_processor_mode 1
		.amdhsa_memory_ordered 1
		.amdhsa_forward_progress 0
		.amdhsa_shared_vgpr_count 0
		.amdhsa_exception_fp_ieee_invalid_op 0
		.amdhsa_exception_fp_denorm_src 0
		.amdhsa_exception_fp_ieee_div_zero 0
		.amdhsa_exception_fp_ieee_overflow 0
		.amdhsa_exception_fp_ieee_underflow 0
		.amdhsa_exception_fp_ieee_inexact 0
		.amdhsa_exception_int_div_zero 0
	.end_amdhsa_kernel
	.section	.text._ZN7rocprim17ROCPRIM_400000_NS6detail17trampoline_kernelINS0_14default_configENS1_25transform_config_selectorIiLb0EEEZNS1_14transform_implILb0ES3_S5_NS0_18transform_iteratorINS0_17counting_iteratorImlEEZNS1_24adjacent_difference_implIS3_Lb1ELb0EPKiPiN6thrust23THRUST_200600_302600_NS4plusIiEEEE10hipError_tPvRmT2_T3_mT4_P12ihipStream_tbEUlmE_iEESD_NS0_8identityIvEEEESI_SL_SM_mSN_SP_bEUlT_E_NS1_11comp_targetILNS1_3genE10ELNS1_11target_archE1200ELNS1_3gpuE4ELNS1_3repE0EEENS1_30default_config_static_selectorELNS0_4arch9wavefront6targetE0EEEvT1_,"axG",@progbits,_ZN7rocprim17ROCPRIM_400000_NS6detail17trampoline_kernelINS0_14default_configENS1_25transform_config_selectorIiLb0EEEZNS1_14transform_implILb0ES3_S5_NS0_18transform_iteratorINS0_17counting_iteratorImlEEZNS1_24adjacent_difference_implIS3_Lb1ELb0EPKiPiN6thrust23THRUST_200600_302600_NS4plusIiEEEE10hipError_tPvRmT2_T3_mT4_P12ihipStream_tbEUlmE_iEESD_NS0_8identityIvEEEESI_SL_SM_mSN_SP_bEUlT_E_NS1_11comp_targetILNS1_3genE10ELNS1_11target_archE1200ELNS1_3gpuE4ELNS1_3repE0EEENS1_30default_config_static_selectorELNS0_4arch9wavefront6targetE0EEEvT1_,comdat
.Lfunc_end737:
	.size	_ZN7rocprim17ROCPRIM_400000_NS6detail17trampoline_kernelINS0_14default_configENS1_25transform_config_selectorIiLb0EEEZNS1_14transform_implILb0ES3_S5_NS0_18transform_iteratorINS0_17counting_iteratorImlEEZNS1_24adjacent_difference_implIS3_Lb1ELb0EPKiPiN6thrust23THRUST_200600_302600_NS4plusIiEEEE10hipError_tPvRmT2_T3_mT4_P12ihipStream_tbEUlmE_iEESD_NS0_8identityIvEEEESI_SL_SM_mSN_SP_bEUlT_E_NS1_11comp_targetILNS1_3genE10ELNS1_11target_archE1200ELNS1_3gpuE4ELNS1_3repE0EEENS1_30default_config_static_selectorELNS0_4arch9wavefront6targetE0EEEvT1_, .Lfunc_end737-_ZN7rocprim17ROCPRIM_400000_NS6detail17trampoline_kernelINS0_14default_configENS1_25transform_config_selectorIiLb0EEEZNS1_14transform_implILb0ES3_S5_NS0_18transform_iteratorINS0_17counting_iteratorImlEEZNS1_24adjacent_difference_implIS3_Lb1ELb0EPKiPiN6thrust23THRUST_200600_302600_NS4plusIiEEEE10hipError_tPvRmT2_T3_mT4_P12ihipStream_tbEUlmE_iEESD_NS0_8identityIvEEEESI_SL_SM_mSN_SP_bEUlT_E_NS1_11comp_targetILNS1_3genE10ELNS1_11target_archE1200ELNS1_3gpuE4ELNS1_3repE0EEENS1_30default_config_static_selectorELNS0_4arch9wavefront6targetE0EEEvT1_
                                        ; -- End function
	.section	.AMDGPU.csdata,"",@progbits
; Kernel info:
; codeLenInByte = 0
; NumSgprs: 0
; NumVgprs: 0
; ScratchSize: 0
; MemoryBound: 0
; FloatMode: 240
; IeeeMode: 1
; LDSByteSize: 0 bytes/workgroup (compile time only)
; SGPRBlocks: 0
; VGPRBlocks: 0
; NumSGPRsForWavesPerEU: 1
; NumVGPRsForWavesPerEU: 1
; Occupancy: 16
; WaveLimiterHint : 0
; COMPUTE_PGM_RSRC2:SCRATCH_EN: 0
; COMPUTE_PGM_RSRC2:USER_SGPR: 15
; COMPUTE_PGM_RSRC2:TRAP_HANDLER: 0
; COMPUTE_PGM_RSRC2:TGID_X_EN: 1
; COMPUTE_PGM_RSRC2:TGID_Y_EN: 0
; COMPUTE_PGM_RSRC2:TGID_Z_EN: 0
; COMPUTE_PGM_RSRC2:TIDIG_COMP_CNT: 0
	.section	.text._ZN7rocprim17ROCPRIM_400000_NS6detail17trampoline_kernelINS0_14default_configENS1_25transform_config_selectorIiLb0EEEZNS1_14transform_implILb0ES3_S5_NS0_18transform_iteratorINS0_17counting_iteratorImlEEZNS1_24adjacent_difference_implIS3_Lb1ELb0EPKiPiN6thrust23THRUST_200600_302600_NS4plusIiEEEE10hipError_tPvRmT2_T3_mT4_P12ihipStream_tbEUlmE_iEESD_NS0_8identityIvEEEESI_SL_SM_mSN_SP_bEUlT_E_NS1_11comp_targetILNS1_3genE9ELNS1_11target_archE1100ELNS1_3gpuE3ELNS1_3repE0EEENS1_30default_config_static_selectorELNS0_4arch9wavefront6targetE0EEEvT1_,"axG",@progbits,_ZN7rocprim17ROCPRIM_400000_NS6detail17trampoline_kernelINS0_14default_configENS1_25transform_config_selectorIiLb0EEEZNS1_14transform_implILb0ES3_S5_NS0_18transform_iteratorINS0_17counting_iteratorImlEEZNS1_24adjacent_difference_implIS3_Lb1ELb0EPKiPiN6thrust23THRUST_200600_302600_NS4plusIiEEEE10hipError_tPvRmT2_T3_mT4_P12ihipStream_tbEUlmE_iEESD_NS0_8identityIvEEEESI_SL_SM_mSN_SP_bEUlT_E_NS1_11comp_targetILNS1_3genE9ELNS1_11target_archE1100ELNS1_3gpuE3ELNS1_3repE0EEENS1_30default_config_static_selectorELNS0_4arch9wavefront6targetE0EEEvT1_,comdat
	.protected	_ZN7rocprim17ROCPRIM_400000_NS6detail17trampoline_kernelINS0_14default_configENS1_25transform_config_selectorIiLb0EEEZNS1_14transform_implILb0ES3_S5_NS0_18transform_iteratorINS0_17counting_iteratorImlEEZNS1_24adjacent_difference_implIS3_Lb1ELb0EPKiPiN6thrust23THRUST_200600_302600_NS4plusIiEEEE10hipError_tPvRmT2_T3_mT4_P12ihipStream_tbEUlmE_iEESD_NS0_8identityIvEEEESI_SL_SM_mSN_SP_bEUlT_E_NS1_11comp_targetILNS1_3genE9ELNS1_11target_archE1100ELNS1_3gpuE3ELNS1_3repE0EEENS1_30default_config_static_selectorELNS0_4arch9wavefront6targetE0EEEvT1_ ; -- Begin function _ZN7rocprim17ROCPRIM_400000_NS6detail17trampoline_kernelINS0_14default_configENS1_25transform_config_selectorIiLb0EEEZNS1_14transform_implILb0ES3_S5_NS0_18transform_iteratorINS0_17counting_iteratorImlEEZNS1_24adjacent_difference_implIS3_Lb1ELb0EPKiPiN6thrust23THRUST_200600_302600_NS4plusIiEEEE10hipError_tPvRmT2_T3_mT4_P12ihipStream_tbEUlmE_iEESD_NS0_8identityIvEEEESI_SL_SM_mSN_SP_bEUlT_E_NS1_11comp_targetILNS1_3genE9ELNS1_11target_archE1100ELNS1_3gpuE3ELNS1_3repE0EEENS1_30default_config_static_selectorELNS0_4arch9wavefront6targetE0EEEvT1_
	.globl	_ZN7rocprim17ROCPRIM_400000_NS6detail17trampoline_kernelINS0_14default_configENS1_25transform_config_selectorIiLb0EEEZNS1_14transform_implILb0ES3_S5_NS0_18transform_iteratorINS0_17counting_iteratorImlEEZNS1_24adjacent_difference_implIS3_Lb1ELb0EPKiPiN6thrust23THRUST_200600_302600_NS4plusIiEEEE10hipError_tPvRmT2_T3_mT4_P12ihipStream_tbEUlmE_iEESD_NS0_8identityIvEEEESI_SL_SM_mSN_SP_bEUlT_E_NS1_11comp_targetILNS1_3genE9ELNS1_11target_archE1100ELNS1_3gpuE3ELNS1_3repE0EEENS1_30default_config_static_selectorELNS0_4arch9wavefront6targetE0EEEvT1_
	.p2align	8
	.type	_ZN7rocprim17ROCPRIM_400000_NS6detail17trampoline_kernelINS0_14default_configENS1_25transform_config_selectorIiLb0EEEZNS1_14transform_implILb0ES3_S5_NS0_18transform_iteratorINS0_17counting_iteratorImlEEZNS1_24adjacent_difference_implIS3_Lb1ELb0EPKiPiN6thrust23THRUST_200600_302600_NS4plusIiEEEE10hipError_tPvRmT2_T3_mT4_P12ihipStream_tbEUlmE_iEESD_NS0_8identityIvEEEESI_SL_SM_mSN_SP_bEUlT_E_NS1_11comp_targetILNS1_3genE9ELNS1_11target_archE1100ELNS1_3gpuE3ELNS1_3repE0EEENS1_30default_config_static_selectorELNS0_4arch9wavefront6targetE0EEEvT1_,@function
_ZN7rocprim17ROCPRIM_400000_NS6detail17trampoline_kernelINS0_14default_configENS1_25transform_config_selectorIiLb0EEEZNS1_14transform_implILb0ES3_S5_NS0_18transform_iteratorINS0_17counting_iteratorImlEEZNS1_24adjacent_difference_implIS3_Lb1ELb0EPKiPiN6thrust23THRUST_200600_302600_NS4plusIiEEEE10hipError_tPvRmT2_T3_mT4_P12ihipStream_tbEUlmE_iEESD_NS0_8identityIvEEEESI_SL_SM_mSN_SP_bEUlT_E_NS1_11comp_targetILNS1_3genE9ELNS1_11target_archE1100ELNS1_3gpuE3ELNS1_3repE0EEENS1_30default_config_static_selectorELNS0_4arch9wavefront6targetE0EEEvT1_: ; @_ZN7rocprim17ROCPRIM_400000_NS6detail17trampoline_kernelINS0_14default_configENS1_25transform_config_selectorIiLb0EEEZNS1_14transform_implILb0ES3_S5_NS0_18transform_iteratorINS0_17counting_iteratorImlEEZNS1_24adjacent_difference_implIS3_Lb1ELb0EPKiPiN6thrust23THRUST_200600_302600_NS4plusIiEEEE10hipError_tPvRmT2_T3_mT4_P12ihipStream_tbEUlmE_iEESD_NS0_8identityIvEEEESI_SL_SM_mSN_SP_bEUlT_E_NS1_11comp_targetILNS1_3genE9ELNS1_11target_archE1100ELNS1_3gpuE3ELNS1_3repE0EEENS1_30default_config_static_selectorELNS0_4arch9wavefront6targetE0EEEvT1_
; %bb.0:
	s_clause 0x4
	s_load_b128 s[4:7], s[0:1], 0x0
	s_load_b64 s[2:3], s[0:1], 0x18
	s_load_b64 s[12:13], s[0:1], 0x28
	s_load_b32 s11, s[0:1], 0x38
	s_load_b32 s8, s[0:1], 0x10
	s_waitcnt lgkmcnt(0)
	s_add_u32 s9, s2, s4
	s_addc_u32 s10, s3, s5
	s_lshl_b64 s[2:3], s[2:3], 2
	s_delay_alu instid0(SALU_CYCLE_1)
	s_add_u32 s4, s12, s2
	s_addc_u32 s5, s13, s3
	s_add_i32 s11, s11, -1
	s_lshl_b32 s2, s15, 6
	s_mov_b32 s3, 0
	s_cmp_lg_u32 s15, s11
	s_mov_b32 s11, -1
	s_cbranch_scc0 .LBB738_2
; %bb.1:
	s_add_u32 s11, s9, s2
	s_addc_u32 s12, s10, 0
	v_add_co_u32 v3, s11, s11, v0
	s_delay_alu instid0(VALU_DEP_1) | instskip(SKIP_1) | instid1(VALU_DEP_2)
	v_add_co_ci_u32_e64 v5, null, s12, 0, s11
	s_lshl_b64 s[12:13], s[2:3], 2
	v_mad_u64_u32 v[1:2], null, v3, s8, 0
	s_add_u32 s12, s4, s12
	s_addc_u32 s13, s5, s13
	s_mov_b32 s11, s3
	s_delay_alu instid0(VALU_DEP_1) | instskip(NEXT) | instid1(VALU_DEP_1)
	v_mad_u64_u32 v[3:4], null, v5, s8, v[2:3]
	v_mov_b32_e32 v2, v3
	s_delay_alu instid0(VALU_DEP_1) | instskip(NEXT) | instid1(VALU_DEP_1)
	v_lshlrev_b64 v[1:2], 2, v[1:2]
	v_add_co_u32 v1, vcc_lo, s6, v1
	s_delay_alu instid0(VALU_DEP_2)
	v_add_co_ci_u32_e32 v2, vcc_lo, s7, v2, vcc_lo
	global_load_b32 v1, v[1:2], off
	v_lshlrev_b32_e32 v2, 2, v0
	s_waitcnt vmcnt(0)
	global_store_b32 v2, v1, s[12:13]
.LBB738_2:
	s_and_not1_b32 vcc_lo, exec_lo, s11
	s_cbranch_vccnz .LBB738_7
; %bb.3:
	s_load_b32 s0, s[0:1], 0x20
                                        ; implicit-def: $vgpr1
	s_waitcnt lgkmcnt(0)
	s_sub_i32 s0, s0, s2
	s_delay_alu instid0(SALU_CYCLE_1)
	v_cmp_gt_u32_e32 vcc_lo, s0, v0
	s_and_saveexec_b32 s1, vcc_lo
	s_cbranch_execz .LBB738_5
; %bb.4:
	s_add_u32 s0, s9, s2
	s_addc_u32 s9, s10, 0
	v_add_co_u32 v3, s0, s0, v0
	s_delay_alu instid0(VALU_DEP_1) | instskip(NEXT) | instid1(VALU_DEP_2)
	v_add_co_ci_u32_e64 v5, null, s9, 0, s0
	v_mad_u64_u32 v[1:2], null, v3, s8, 0
	s_delay_alu instid0(VALU_DEP_1) | instskip(NEXT) | instid1(VALU_DEP_1)
	v_mad_u64_u32 v[3:4], null, v5, s8, v[2:3]
	v_mov_b32_e32 v2, v3
	s_delay_alu instid0(VALU_DEP_1) | instskip(NEXT) | instid1(VALU_DEP_1)
	v_lshlrev_b64 v[1:2], 2, v[1:2]
	v_add_co_u32 v1, s0, s6, v1
	s_delay_alu instid0(VALU_DEP_1)
	v_add_co_ci_u32_e64 v2, s0, s7, v2, s0
	global_load_b32 v1, v[1:2], off
.LBB738_5:
	s_or_b32 exec_lo, exec_lo, s1
	s_and_saveexec_b32 s0, vcc_lo
	s_cbranch_execz .LBB738_7
; %bb.6:
	s_lshl_b64 s[0:1], s[2:3], 2
	v_lshlrev_b32_e32 v0, 2, v0
	s_add_u32 s0, s4, s0
	s_addc_u32 s1, s5, s1
	s_waitcnt vmcnt(0)
	global_store_b32 v0, v1, s[0:1]
.LBB738_7:
	s_nop 0
	s_sendmsg sendmsg(MSG_DEALLOC_VGPRS)
	s_endpgm
	.section	.rodata,"a",@progbits
	.p2align	6, 0x0
	.amdhsa_kernel _ZN7rocprim17ROCPRIM_400000_NS6detail17trampoline_kernelINS0_14default_configENS1_25transform_config_selectorIiLb0EEEZNS1_14transform_implILb0ES3_S5_NS0_18transform_iteratorINS0_17counting_iteratorImlEEZNS1_24adjacent_difference_implIS3_Lb1ELb0EPKiPiN6thrust23THRUST_200600_302600_NS4plusIiEEEE10hipError_tPvRmT2_T3_mT4_P12ihipStream_tbEUlmE_iEESD_NS0_8identityIvEEEESI_SL_SM_mSN_SP_bEUlT_E_NS1_11comp_targetILNS1_3genE9ELNS1_11target_archE1100ELNS1_3gpuE3ELNS1_3repE0EEENS1_30default_config_static_selectorELNS0_4arch9wavefront6targetE0EEEvT1_
		.amdhsa_group_segment_fixed_size 0
		.amdhsa_private_segment_fixed_size 0
		.amdhsa_kernarg_size 312
		.amdhsa_user_sgpr_count 15
		.amdhsa_user_sgpr_dispatch_ptr 0
		.amdhsa_user_sgpr_queue_ptr 0
		.amdhsa_user_sgpr_kernarg_segment_ptr 1
		.amdhsa_user_sgpr_dispatch_id 0
		.amdhsa_user_sgpr_private_segment_size 0
		.amdhsa_wavefront_size32 1
		.amdhsa_uses_dynamic_stack 0
		.amdhsa_enable_private_segment 0
		.amdhsa_system_sgpr_workgroup_id_x 1
		.amdhsa_system_sgpr_workgroup_id_y 0
		.amdhsa_system_sgpr_workgroup_id_z 0
		.amdhsa_system_sgpr_workgroup_info 0
		.amdhsa_system_vgpr_workitem_id 0
		.amdhsa_next_free_vgpr 6
		.amdhsa_next_free_sgpr 16
		.amdhsa_reserve_vcc 1
		.amdhsa_float_round_mode_32 0
		.amdhsa_float_round_mode_16_64 0
		.amdhsa_float_denorm_mode_32 3
		.amdhsa_float_denorm_mode_16_64 3
		.amdhsa_dx10_clamp 1
		.amdhsa_ieee_mode 1
		.amdhsa_fp16_overflow 0
		.amdhsa_workgroup_processor_mode 1
		.amdhsa_memory_ordered 1
		.amdhsa_forward_progress 0
		.amdhsa_shared_vgpr_count 0
		.amdhsa_exception_fp_ieee_invalid_op 0
		.amdhsa_exception_fp_denorm_src 0
		.amdhsa_exception_fp_ieee_div_zero 0
		.amdhsa_exception_fp_ieee_overflow 0
		.amdhsa_exception_fp_ieee_underflow 0
		.amdhsa_exception_fp_ieee_inexact 0
		.amdhsa_exception_int_div_zero 0
	.end_amdhsa_kernel
	.section	.text._ZN7rocprim17ROCPRIM_400000_NS6detail17trampoline_kernelINS0_14default_configENS1_25transform_config_selectorIiLb0EEEZNS1_14transform_implILb0ES3_S5_NS0_18transform_iteratorINS0_17counting_iteratorImlEEZNS1_24adjacent_difference_implIS3_Lb1ELb0EPKiPiN6thrust23THRUST_200600_302600_NS4plusIiEEEE10hipError_tPvRmT2_T3_mT4_P12ihipStream_tbEUlmE_iEESD_NS0_8identityIvEEEESI_SL_SM_mSN_SP_bEUlT_E_NS1_11comp_targetILNS1_3genE9ELNS1_11target_archE1100ELNS1_3gpuE3ELNS1_3repE0EEENS1_30default_config_static_selectorELNS0_4arch9wavefront6targetE0EEEvT1_,"axG",@progbits,_ZN7rocprim17ROCPRIM_400000_NS6detail17trampoline_kernelINS0_14default_configENS1_25transform_config_selectorIiLb0EEEZNS1_14transform_implILb0ES3_S5_NS0_18transform_iteratorINS0_17counting_iteratorImlEEZNS1_24adjacent_difference_implIS3_Lb1ELb0EPKiPiN6thrust23THRUST_200600_302600_NS4plusIiEEEE10hipError_tPvRmT2_T3_mT4_P12ihipStream_tbEUlmE_iEESD_NS0_8identityIvEEEESI_SL_SM_mSN_SP_bEUlT_E_NS1_11comp_targetILNS1_3genE9ELNS1_11target_archE1100ELNS1_3gpuE3ELNS1_3repE0EEENS1_30default_config_static_selectorELNS0_4arch9wavefront6targetE0EEEvT1_,comdat
.Lfunc_end738:
	.size	_ZN7rocprim17ROCPRIM_400000_NS6detail17trampoline_kernelINS0_14default_configENS1_25transform_config_selectorIiLb0EEEZNS1_14transform_implILb0ES3_S5_NS0_18transform_iteratorINS0_17counting_iteratorImlEEZNS1_24adjacent_difference_implIS3_Lb1ELb0EPKiPiN6thrust23THRUST_200600_302600_NS4plusIiEEEE10hipError_tPvRmT2_T3_mT4_P12ihipStream_tbEUlmE_iEESD_NS0_8identityIvEEEESI_SL_SM_mSN_SP_bEUlT_E_NS1_11comp_targetILNS1_3genE9ELNS1_11target_archE1100ELNS1_3gpuE3ELNS1_3repE0EEENS1_30default_config_static_selectorELNS0_4arch9wavefront6targetE0EEEvT1_, .Lfunc_end738-_ZN7rocprim17ROCPRIM_400000_NS6detail17trampoline_kernelINS0_14default_configENS1_25transform_config_selectorIiLb0EEEZNS1_14transform_implILb0ES3_S5_NS0_18transform_iteratorINS0_17counting_iteratorImlEEZNS1_24adjacent_difference_implIS3_Lb1ELb0EPKiPiN6thrust23THRUST_200600_302600_NS4plusIiEEEE10hipError_tPvRmT2_T3_mT4_P12ihipStream_tbEUlmE_iEESD_NS0_8identityIvEEEESI_SL_SM_mSN_SP_bEUlT_E_NS1_11comp_targetILNS1_3genE9ELNS1_11target_archE1100ELNS1_3gpuE3ELNS1_3repE0EEENS1_30default_config_static_selectorELNS0_4arch9wavefront6targetE0EEEvT1_
                                        ; -- End function
	.section	.AMDGPU.csdata,"",@progbits
; Kernel info:
; codeLenInByte = 400
; NumSgprs: 18
; NumVgprs: 6
; ScratchSize: 0
; MemoryBound: 0
; FloatMode: 240
; IeeeMode: 1
; LDSByteSize: 0 bytes/workgroup (compile time only)
; SGPRBlocks: 2
; VGPRBlocks: 0
; NumSGPRsForWavesPerEU: 18
; NumVGPRsForWavesPerEU: 6
; Occupancy: 16
; WaveLimiterHint : 0
; COMPUTE_PGM_RSRC2:SCRATCH_EN: 0
; COMPUTE_PGM_RSRC2:USER_SGPR: 15
; COMPUTE_PGM_RSRC2:TRAP_HANDLER: 0
; COMPUTE_PGM_RSRC2:TGID_X_EN: 1
; COMPUTE_PGM_RSRC2:TGID_Y_EN: 0
; COMPUTE_PGM_RSRC2:TGID_Z_EN: 0
; COMPUTE_PGM_RSRC2:TIDIG_COMP_CNT: 0
	.section	.text._ZN7rocprim17ROCPRIM_400000_NS6detail17trampoline_kernelINS0_14default_configENS1_25transform_config_selectorIiLb0EEEZNS1_14transform_implILb0ES3_S5_NS0_18transform_iteratorINS0_17counting_iteratorImlEEZNS1_24adjacent_difference_implIS3_Lb1ELb0EPKiPiN6thrust23THRUST_200600_302600_NS4plusIiEEEE10hipError_tPvRmT2_T3_mT4_P12ihipStream_tbEUlmE_iEESD_NS0_8identityIvEEEESI_SL_SM_mSN_SP_bEUlT_E_NS1_11comp_targetILNS1_3genE8ELNS1_11target_archE1030ELNS1_3gpuE2ELNS1_3repE0EEENS1_30default_config_static_selectorELNS0_4arch9wavefront6targetE0EEEvT1_,"axG",@progbits,_ZN7rocprim17ROCPRIM_400000_NS6detail17trampoline_kernelINS0_14default_configENS1_25transform_config_selectorIiLb0EEEZNS1_14transform_implILb0ES3_S5_NS0_18transform_iteratorINS0_17counting_iteratorImlEEZNS1_24adjacent_difference_implIS3_Lb1ELb0EPKiPiN6thrust23THRUST_200600_302600_NS4plusIiEEEE10hipError_tPvRmT2_T3_mT4_P12ihipStream_tbEUlmE_iEESD_NS0_8identityIvEEEESI_SL_SM_mSN_SP_bEUlT_E_NS1_11comp_targetILNS1_3genE8ELNS1_11target_archE1030ELNS1_3gpuE2ELNS1_3repE0EEENS1_30default_config_static_selectorELNS0_4arch9wavefront6targetE0EEEvT1_,comdat
	.protected	_ZN7rocprim17ROCPRIM_400000_NS6detail17trampoline_kernelINS0_14default_configENS1_25transform_config_selectorIiLb0EEEZNS1_14transform_implILb0ES3_S5_NS0_18transform_iteratorINS0_17counting_iteratorImlEEZNS1_24adjacent_difference_implIS3_Lb1ELb0EPKiPiN6thrust23THRUST_200600_302600_NS4plusIiEEEE10hipError_tPvRmT2_T3_mT4_P12ihipStream_tbEUlmE_iEESD_NS0_8identityIvEEEESI_SL_SM_mSN_SP_bEUlT_E_NS1_11comp_targetILNS1_3genE8ELNS1_11target_archE1030ELNS1_3gpuE2ELNS1_3repE0EEENS1_30default_config_static_selectorELNS0_4arch9wavefront6targetE0EEEvT1_ ; -- Begin function _ZN7rocprim17ROCPRIM_400000_NS6detail17trampoline_kernelINS0_14default_configENS1_25transform_config_selectorIiLb0EEEZNS1_14transform_implILb0ES3_S5_NS0_18transform_iteratorINS0_17counting_iteratorImlEEZNS1_24adjacent_difference_implIS3_Lb1ELb0EPKiPiN6thrust23THRUST_200600_302600_NS4plusIiEEEE10hipError_tPvRmT2_T3_mT4_P12ihipStream_tbEUlmE_iEESD_NS0_8identityIvEEEESI_SL_SM_mSN_SP_bEUlT_E_NS1_11comp_targetILNS1_3genE8ELNS1_11target_archE1030ELNS1_3gpuE2ELNS1_3repE0EEENS1_30default_config_static_selectorELNS0_4arch9wavefront6targetE0EEEvT1_
	.globl	_ZN7rocprim17ROCPRIM_400000_NS6detail17trampoline_kernelINS0_14default_configENS1_25transform_config_selectorIiLb0EEEZNS1_14transform_implILb0ES3_S5_NS0_18transform_iteratorINS0_17counting_iteratorImlEEZNS1_24adjacent_difference_implIS3_Lb1ELb0EPKiPiN6thrust23THRUST_200600_302600_NS4plusIiEEEE10hipError_tPvRmT2_T3_mT4_P12ihipStream_tbEUlmE_iEESD_NS0_8identityIvEEEESI_SL_SM_mSN_SP_bEUlT_E_NS1_11comp_targetILNS1_3genE8ELNS1_11target_archE1030ELNS1_3gpuE2ELNS1_3repE0EEENS1_30default_config_static_selectorELNS0_4arch9wavefront6targetE0EEEvT1_
	.p2align	8
	.type	_ZN7rocprim17ROCPRIM_400000_NS6detail17trampoline_kernelINS0_14default_configENS1_25transform_config_selectorIiLb0EEEZNS1_14transform_implILb0ES3_S5_NS0_18transform_iteratorINS0_17counting_iteratorImlEEZNS1_24adjacent_difference_implIS3_Lb1ELb0EPKiPiN6thrust23THRUST_200600_302600_NS4plusIiEEEE10hipError_tPvRmT2_T3_mT4_P12ihipStream_tbEUlmE_iEESD_NS0_8identityIvEEEESI_SL_SM_mSN_SP_bEUlT_E_NS1_11comp_targetILNS1_3genE8ELNS1_11target_archE1030ELNS1_3gpuE2ELNS1_3repE0EEENS1_30default_config_static_selectorELNS0_4arch9wavefront6targetE0EEEvT1_,@function
_ZN7rocprim17ROCPRIM_400000_NS6detail17trampoline_kernelINS0_14default_configENS1_25transform_config_selectorIiLb0EEEZNS1_14transform_implILb0ES3_S5_NS0_18transform_iteratorINS0_17counting_iteratorImlEEZNS1_24adjacent_difference_implIS3_Lb1ELb0EPKiPiN6thrust23THRUST_200600_302600_NS4plusIiEEEE10hipError_tPvRmT2_T3_mT4_P12ihipStream_tbEUlmE_iEESD_NS0_8identityIvEEEESI_SL_SM_mSN_SP_bEUlT_E_NS1_11comp_targetILNS1_3genE8ELNS1_11target_archE1030ELNS1_3gpuE2ELNS1_3repE0EEENS1_30default_config_static_selectorELNS0_4arch9wavefront6targetE0EEEvT1_: ; @_ZN7rocprim17ROCPRIM_400000_NS6detail17trampoline_kernelINS0_14default_configENS1_25transform_config_selectorIiLb0EEEZNS1_14transform_implILb0ES3_S5_NS0_18transform_iteratorINS0_17counting_iteratorImlEEZNS1_24adjacent_difference_implIS3_Lb1ELb0EPKiPiN6thrust23THRUST_200600_302600_NS4plusIiEEEE10hipError_tPvRmT2_T3_mT4_P12ihipStream_tbEUlmE_iEESD_NS0_8identityIvEEEESI_SL_SM_mSN_SP_bEUlT_E_NS1_11comp_targetILNS1_3genE8ELNS1_11target_archE1030ELNS1_3gpuE2ELNS1_3repE0EEENS1_30default_config_static_selectorELNS0_4arch9wavefront6targetE0EEEvT1_
; %bb.0:
	.section	.rodata,"a",@progbits
	.p2align	6, 0x0
	.amdhsa_kernel _ZN7rocprim17ROCPRIM_400000_NS6detail17trampoline_kernelINS0_14default_configENS1_25transform_config_selectorIiLb0EEEZNS1_14transform_implILb0ES3_S5_NS0_18transform_iteratorINS0_17counting_iteratorImlEEZNS1_24adjacent_difference_implIS3_Lb1ELb0EPKiPiN6thrust23THRUST_200600_302600_NS4plusIiEEEE10hipError_tPvRmT2_T3_mT4_P12ihipStream_tbEUlmE_iEESD_NS0_8identityIvEEEESI_SL_SM_mSN_SP_bEUlT_E_NS1_11comp_targetILNS1_3genE8ELNS1_11target_archE1030ELNS1_3gpuE2ELNS1_3repE0EEENS1_30default_config_static_selectorELNS0_4arch9wavefront6targetE0EEEvT1_
		.amdhsa_group_segment_fixed_size 0
		.amdhsa_private_segment_fixed_size 0
		.amdhsa_kernarg_size 56
		.amdhsa_user_sgpr_count 15
		.amdhsa_user_sgpr_dispatch_ptr 0
		.amdhsa_user_sgpr_queue_ptr 0
		.amdhsa_user_sgpr_kernarg_segment_ptr 1
		.amdhsa_user_sgpr_dispatch_id 0
		.amdhsa_user_sgpr_private_segment_size 0
		.amdhsa_wavefront_size32 1
		.amdhsa_uses_dynamic_stack 0
		.amdhsa_enable_private_segment 0
		.amdhsa_system_sgpr_workgroup_id_x 1
		.amdhsa_system_sgpr_workgroup_id_y 0
		.amdhsa_system_sgpr_workgroup_id_z 0
		.amdhsa_system_sgpr_workgroup_info 0
		.amdhsa_system_vgpr_workitem_id 0
		.amdhsa_next_free_vgpr 1
		.amdhsa_next_free_sgpr 1
		.amdhsa_reserve_vcc 0
		.amdhsa_float_round_mode_32 0
		.amdhsa_float_round_mode_16_64 0
		.amdhsa_float_denorm_mode_32 3
		.amdhsa_float_denorm_mode_16_64 3
		.amdhsa_dx10_clamp 1
		.amdhsa_ieee_mode 1
		.amdhsa_fp16_overflow 0
		.amdhsa_workgroup_processor_mode 1
		.amdhsa_memory_ordered 1
		.amdhsa_forward_progress 0
		.amdhsa_shared_vgpr_count 0
		.amdhsa_exception_fp_ieee_invalid_op 0
		.amdhsa_exception_fp_denorm_src 0
		.amdhsa_exception_fp_ieee_div_zero 0
		.amdhsa_exception_fp_ieee_overflow 0
		.amdhsa_exception_fp_ieee_underflow 0
		.amdhsa_exception_fp_ieee_inexact 0
		.amdhsa_exception_int_div_zero 0
	.end_amdhsa_kernel
	.section	.text._ZN7rocprim17ROCPRIM_400000_NS6detail17trampoline_kernelINS0_14default_configENS1_25transform_config_selectorIiLb0EEEZNS1_14transform_implILb0ES3_S5_NS0_18transform_iteratorINS0_17counting_iteratorImlEEZNS1_24adjacent_difference_implIS3_Lb1ELb0EPKiPiN6thrust23THRUST_200600_302600_NS4plusIiEEEE10hipError_tPvRmT2_T3_mT4_P12ihipStream_tbEUlmE_iEESD_NS0_8identityIvEEEESI_SL_SM_mSN_SP_bEUlT_E_NS1_11comp_targetILNS1_3genE8ELNS1_11target_archE1030ELNS1_3gpuE2ELNS1_3repE0EEENS1_30default_config_static_selectorELNS0_4arch9wavefront6targetE0EEEvT1_,"axG",@progbits,_ZN7rocprim17ROCPRIM_400000_NS6detail17trampoline_kernelINS0_14default_configENS1_25transform_config_selectorIiLb0EEEZNS1_14transform_implILb0ES3_S5_NS0_18transform_iteratorINS0_17counting_iteratorImlEEZNS1_24adjacent_difference_implIS3_Lb1ELb0EPKiPiN6thrust23THRUST_200600_302600_NS4plusIiEEEE10hipError_tPvRmT2_T3_mT4_P12ihipStream_tbEUlmE_iEESD_NS0_8identityIvEEEESI_SL_SM_mSN_SP_bEUlT_E_NS1_11comp_targetILNS1_3genE8ELNS1_11target_archE1030ELNS1_3gpuE2ELNS1_3repE0EEENS1_30default_config_static_selectorELNS0_4arch9wavefront6targetE0EEEvT1_,comdat
.Lfunc_end739:
	.size	_ZN7rocprim17ROCPRIM_400000_NS6detail17trampoline_kernelINS0_14default_configENS1_25transform_config_selectorIiLb0EEEZNS1_14transform_implILb0ES3_S5_NS0_18transform_iteratorINS0_17counting_iteratorImlEEZNS1_24adjacent_difference_implIS3_Lb1ELb0EPKiPiN6thrust23THRUST_200600_302600_NS4plusIiEEEE10hipError_tPvRmT2_T3_mT4_P12ihipStream_tbEUlmE_iEESD_NS0_8identityIvEEEESI_SL_SM_mSN_SP_bEUlT_E_NS1_11comp_targetILNS1_3genE8ELNS1_11target_archE1030ELNS1_3gpuE2ELNS1_3repE0EEENS1_30default_config_static_selectorELNS0_4arch9wavefront6targetE0EEEvT1_, .Lfunc_end739-_ZN7rocprim17ROCPRIM_400000_NS6detail17trampoline_kernelINS0_14default_configENS1_25transform_config_selectorIiLb0EEEZNS1_14transform_implILb0ES3_S5_NS0_18transform_iteratorINS0_17counting_iteratorImlEEZNS1_24adjacent_difference_implIS3_Lb1ELb0EPKiPiN6thrust23THRUST_200600_302600_NS4plusIiEEEE10hipError_tPvRmT2_T3_mT4_P12ihipStream_tbEUlmE_iEESD_NS0_8identityIvEEEESI_SL_SM_mSN_SP_bEUlT_E_NS1_11comp_targetILNS1_3genE8ELNS1_11target_archE1030ELNS1_3gpuE2ELNS1_3repE0EEENS1_30default_config_static_selectorELNS0_4arch9wavefront6targetE0EEEvT1_
                                        ; -- End function
	.section	.AMDGPU.csdata,"",@progbits
; Kernel info:
; codeLenInByte = 0
; NumSgprs: 0
; NumVgprs: 0
; ScratchSize: 0
; MemoryBound: 0
; FloatMode: 240
; IeeeMode: 1
; LDSByteSize: 0 bytes/workgroup (compile time only)
; SGPRBlocks: 0
; VGPRBlocks: 0
; NumSGPRsForWavesPerEU: 1
; NumVGPRsForWavesPerEU: 1
; Occupancy: 16
; WaveLimiterHint : 0
; COMPUTE_PGM_RSRC2:SCRATCH_EN: 0
; COMPUTE_PGM_RSRC2:USER_SGPR: 15
; COMPUTE_PGM_RSRC2:TRAP_HANDLER: 0
; COMPUTE_PGM_RSRC2:TGID_X_EN: 1
; COMPUTE_PGM_RSRC2:TGID_Y_EN: 0
; COMPUTE_PGM_RSRC2:TGID_Z_EN: 0
; COMPUTE_PGM_RSRC2:TIDIG_COMP_CNT: 0
	.section	.text._ZN7rocprim17ROCPRIM_400000_NS6detail17trampoline_kernelINS0_14default_configENS1_35adjacent_difference_config_selectorILb1EiEEZNS1_24adjacent_difference_implIS3_Lb1ELb0EPKiPiN6thrust23THRUST_200600_302600_NS4plusIiEEEE10hipError_tPvRmT2_T3_mT4_P12ihipStream_tbEUlT_E_NS1_11comp_targetILNS1_3genE0ELNS1_11target_archE4294967295ELNS1_3gpuE0ELNS1_3repE0EEENS1_30default_config_static_selectorELNS0_4arch9wavefront6targetE0EEEvT1_,"axG",@progbits,_ZN7rocprim17ROCPRIM_400000_NS6detail17trampoline_kernelINS0_14default_configENS1_35adjacent_difference_config_selectorILb1EiEEZNS1_24adjacent_difference_implIS3_Lb1ELb0EPKiPiN6thrust23THRUST_200600_302600_NS4plusIiEEEE10hipError_tPvRmT2_T3_mT4_P12ihipStream_tbEUlT_E_NS1_11comp_targetILNS1_3genE0ELNS1_11target_archE4294967295ELNS1_3gpuE0ELNS1_3repE0EEENS1_30default_config_static_selectorELNS0_4arch9wavefront6targetE0EEEvT1_,comdat
	.protected	_ZN7rocprim17ROCPRIM_400000_NS6detail17trampoline_kernelINS0_14default_configENS1_35adjacent_difference_config_selectorILb1EiEEZNS1_24adjacent_difference_implIS3_Lb1ELb0EPKiPiN6thrust23THRUST_200600_302600_NS4plusIiEEEE10hipError_tPvRmT2_T3_mT4_P12ihipStream_tbEUlT_E_NS1_11comp_targetILNS1_3genE0ELNS1_11target_archE4294967295ELNS1_3gpuE0ELNS1_3repE0EEENS1_30default_config_static_selectorELNS0_4arch9wavefront6targetE0EEEvT1_ ; -- Begin function _ZN7rocprim17ROCPRIM_400000_NS6detail17trampoline_kernelINS0_14default_configENS1_35adjacent_difference_config_selectorILb1EiEEZNS1_24adjacent_difference_implIS3_Lb1ELb0EPKiPiN6thrust23THRUST_200600_302600_NS4plusIiEEEE10hipError_tPvRmT2_T3_mT4_P12ihipStream_tbEUlT_E_NS1_11comp_targetILNS1_3genE0ELNS1_11target_archE4294967295ELNS1_3gpuE0ELNS1_3repE0EEENS1_30default_config_static_selectorELNS0_4arch9wavefront6targetE0EEEvT1_
	.globl	_ZN7rocprim17ROCPRIM_400000_NS6detail17trampoline_kernelINS0_14default_configENS1_35adjacent_difference_config_selectorILb1EiEEZNS1_24adjacent_difference_implIS3_Lb1ELb0EPKiPiN6thrust23THRUST_200600_302600_NS4plusIiEEEE10hipError_tPvRmT2_T3_mT4_P12ihipStream_tbEUlT_E_NS1_11comp_targetILNS1_3genE0ELNS1_11target_archE4294967295ELNS1_3gpuE0ELNS1_3repE0EEENS1_30default_config_static_selectorELNS0_4arch9wavefront6targetE0EEEvT1_
	.p2align	8
	.type	_ZN7rocprim17ROCPRIM_400000_NS6detail17trampoline_kernelINS0_14default_configENS1_35adjacent_difference_config_selectorILb1EiEEZNS1_24adjacent_difference_implIS3_Lb1ELb0EPKiPiN6thrust23THRUST_200600_302600_NS4plusIiEEEE10hipError_tPvRmT2_T3_mT4_P12ihipStream_tbEUlT_E_NS1_11comp_targetILNS1_3genE0ELNS1_11target_archE4294967295ELNS1_3gpuE0ELNS1_3repE0EEENS1_30default_config_static_selectorELNS0_4arch9wavefront6targetE0EEEvT1_,@function
_ZN7rocprim17ROCPRIM_400000_NS6detail17trampoline_kernelINS0_14default_configENS1_35adjacent_difference_config_selectorILb1EiEEZNS1_24adjacent_difference_implIS3_Lb1ELb0EPKiPiN6thrust23THRUST_200600_302600_NS4plusIiEEEE10hipError_tPvRmT2_T3_mT4_P12ihipStream_tbEUlT_E_NS1_11comp_targetILNS1_3genE0ELNS1_11target_archE4294967295ELNS1_3gpuE0ELNS1_3repE0EEENS1_30default_config_static_selectorELNS0_4arch9wavefront6targetE0EEEvT1_: ; @_ZN7rocprim17ROCPRIM_400000_NS6detail17trampoline_kernelINS0_14default_configENS1_35adjacent_difference_config_selectorILb1EiEEZNS1_24adjacent_difference_implIS3_Lb1ELb0EPKiPiN6thrust23THRUST_200600_302600_NS4plusIiEEEE10hipError_tPvRmT2_T3_mT4_P12ihipStream_tbEUlT_E_NS1_11comp_targetILNS1_3genE0ELNS1_11target_archE4294967295ELNS1_3gpuE0ELNS1_3repE0EEENS1_30default_config_static_selectorELNS0_4arch9wavefront6targetE0EEEvT1_
; %bb.0:
	.section	.rodata,"a",@progbits
	.p2align	6, 0x0
	.amdhsa_kernel _ZN7rocprim17ROCPRIM_400000_NS6detail17trampoline_kernelINS0_14default_configENS1_35adjacent_difference_config_selectorILb1EiEEZNS1_24adjacent_difference_implIS3_Lb1ELb0EPKiPiN6thrust23THRUST_200600_302600_NS4plusIiEEEE10hipError_tPvRmT2_T3_mT4_P12ihipStream_tbEUlT_E_NS1_11comp_targetILNS1_3genE0ELNS1_11target_archE4294967295ELNS1_3gpuE0ELNS1_3repE0EEENS1_30default_config_static_selectorELNS0_4arch9wavefront6targetE0EEEvT1_
		.amdhsa_group_segment_fixed_size 0
		.amdhsa_private_segment_fixed_size 0
		.amdhsa_kernarg_size 56
		.amdhsa_user_sgpr_count 15
		.amdhsa_user_sgpr_dispatch_ptr 0
		.amdhsa_user_sgpr_queue_ptr 0
		.amdhsa_user_sgpr_kernarg_segment_ptr 1
		.amdhsa_user_sgpr_dispatch_id 0
		.amdhsa_user_sgpr_private_segment_size 0
		.amdhsa_wavefront_size32 1
		.amdhsa_uses_dynamic_stack 0
		.amdhsa_enable_private_segment 0
		.amdhsa_system_sgpr_workgroup_id_x 1
		.amdhsa_system_sgpr_workgroup_id_y 0
		.amdhsa_system_sgpr_workgroup_id_z 0
		.amdhsa_system_sgpr_workgroup_info 0
		.amdhsa_system_vgpr_workitem_id 0
		.amdhsa_next_free_vgpr 1
		.amdhsa_next_free_sgpr 1
		.amdhsa_reserve_vcc 0
		.amdhsa_float_round_mode_32 0
		.amdhsa_float_round_mode_16_64 0
		.amdhsa_float_denorm_mode_32 3
		.amdhsa_float_denorm_mode_16_64 3
		.amdhsa_dx10_clamp 1
		.amdhsa_ieee_mode 1
		.amdhsa_fp16_overflow 0
		.amdhsa_workgroup_processor_mode 1
		.amdhsa_memory_ordered 1
		.amdhsa_forward_progress 0
		.amdhsa_shared_vgpr_count 0
		.amdhsa_exception_fp_ieee_invalid_op 0
		.amdhsa_exception_fp_denorm_src 0
		.amdhsa_exception_fp_ieee_div_zero 0
		.amdhsa_exception_fp_ieee_overflow 0
		.amdhsa_exception_fp_ieee_underflow 0
		.amdhsa_exception_fp_ieee_inexact 0
		.amdhsa_exception_int_div_zero 0
	.end_amdhsa_kernel
	.section	.text._ZN7rocprim17ROCPRIM_400000_NS6detail17trampoline_kernelINS0_14default_configENS1_35adjacent_difference_config_selectorILb1EiEEZNS1_24adjacent_difference_implIS3_Lb1ELb0EPKiPiN6thrust23THRUST_200600_302600_NS4plusIiEEEE10hipError_tPvRmT2_T3_mT4_P12ihipStream_tbEUlT_E_NS1_11comp_targetILNS1_3genE0ELNS1_11target_archE4294967295ELNS1_3gpuE0ELNS1_3repE0EEENS1_30default_config_static_selectorELNS0_4arch9wavefront6targetE0EEEvT1_,"axG",@progbits,_ZN7rocprim17ROCPRIM_400000_NS6detail17trampoline_kernelINS0_14default_configENS1_35adjacent_difference_config_selectorILb1EiEEZNS1_24adjacent_difference_implIS3_Lb1ELb0EPKiPiN6thrust23THRUST_200600_302600_NS4plusIiEEEE10hipError_tPvRmT2_T3_mT4_P12ihipStream_tbEUlT_E_NS1_11comp_targetILNS1_3genE0ELNS1_11target_archE4294967295ELNS1_3gpuE0ELNS1_3repE0EEENS1_30default_config_static_selectorELNS0_4arch9wavefront6targetE0EEEvT1_,comdat
.Lfunc_end740:
	.size	_ZN7rocprim17ROCPRIM_400000_NS6detail17trampoline_kernelINS0_14default_configENS1_35adjacent_difference_config_selectorILb1EiEEZNS1_24adjacent_difference_implIS3_Lb1ELb0EPKiPiN6thrust23THRUST_200600_302600_NS4plusIiEEEE10hipError_tPvRmT2_T3_mT4_P12ihipStream_tbEUlT_E_NS1_11comp_targetILNS1_3genE0ELNS1_11target_archE4294967295ELNS1_3gpuE0ELNS1_3repE0EEENS1_30default_config_static_selectorELNS0_4arch9wavefront6targetE0EEEvT1_, .Lfunc_end740-_ZN7rocprim17ROCPRIM_400000_NS6detail17trampoline_kernelINS0_14default_configENS1_35adjacent_difference_config_selectorILb1EiEEZNS1_24adjacent_difference_implIS3_Lb1ELb0EPKiPiN6thrust23THRUST_200600_302600_NS4plusIiEEEE10hipError_tPvRmT2_T3_mT4_P12ihipStream_tbEUlT_E_NS1_11comp_targetILNS1_3genE0ELNS1_11target_archE4294967295ELNS1_3gpuE0ELNS1_3repE0EEENS1_30default_config_static_selectorELNS0_4arch9wavefront6targetE0EEEvT1_
                                        ; -- End function
	.section	.AMDGPU.csdata,"",@progbits
; Kernel info:
; codeLenInByte = 0
; NumSgprs: 0
; NumVgprs: 0
; ScratchSize: 0
; MemoryBound: 0
; FloatMode: 240
; IeeeMode: 1
; LDSByteSize: 0 bytes/workgroup (compile time only)
; SGPRBlocks: 0
; VGPRBlocks: 0
; NumSGPRsForWavesPerEU: 1
; NumVGPRsForWavesPerEU: 1
; Occupancy: 16
; WaveLimiterHint : 0
; COMPUTE_PGM_RSRC2:SCRATCH_EN: 0
; COMPUTE_PGM_RSRC2:USER_SGPR: 15
; COMPUTE_PGM_RSRC2:TRAP_HANDLER: 0
; COMPUTE_PGM_RSRC2:TGID_X_EN: 1
; COMPUTE_PGM_RSRC2:TGID_Y_EN: 0
; COMPUTE_PGM_RSRC2:TGID_Z_EN: 0
; COMPUTE_PGM_RSRC2:TIDIG_COMP_CNT: 0
	.section	.text._ZN7rocprim17ROCPRIM_400000_NS6detail17trampoline_kernelINS0_14default_configENS1_35adjacent_difference_config_selectorILb1EiEEZNS1_24adjacent_difference_implIS3_Lb1ELb0EPKiPiN6thrust23THRUST_200600_302600_NS4plusIiEEEE10hipError_tPvRmT2_T3_mT4_P12ihipStream_tbEUlT_E_NS1_11comp_targetILNS1_3genE10ELNS1_11target_archE1201ELNS1_3gpuE5ELNS1_3repE0EEENS1_30default_config_static_selectorELNS0_4arch9wavefront6targetE0EEEvT1_,"axG",@progbits,_ZN7rocprim17ROCPRIM_400000_NS6detail17trampoline_kernelINS0_14default_configENS1_35adjacent_difference_config_selectorILb1EiEEZNS1_24adjacent_difference_implIS3_Lb1ELb0EPKiPiN6thrust23THRUST_200600_302600_NS4plusIiEEEE10hipError_tPvRmT2_T3_mT4_P12ihipStream_tbEUlT_E_NS1_11comp_targetILNS1_3genE10ELNS1_11target_archE1201ELNS1_3gpuE5ELNS1_3repE0EEENS1_30default_config_static_selectorELNS0_4arch9wavefront6targetE0EEEvT1_,comdat
	.protected	_ZN7rocprim17ROCPRIM_400000_NS6detail17trampoline_kernelINS0_14default_configENS1_35adjacent_difference_config_selectorILb1EiEEZNS1_24adjacent_difference_implIS3_Lb1ELb0EPKiPiN6thrust23THRUST_200600_302600_NS4plusIiEEEE10hipError_tPvRmT2_T3_mT4_P12ihipStream_tbEUlT_E_NS1_11comp_targetILNS1_3genE10ELNS1_11target_archE1201ELNS1_3gpuE5ELNS1_3repE0EEENS1_30default_config_static_selectorELNS0_4arch9wavefront6targetE0EEEvT1_ ; -- Begin function _ZN7rocprim17ROCPRIM_400000_NS6detail17trampoline_kernelINS0_14default_configENS1_35adjacent_difference_config_selectorILb1EiEEZNS1_24adjacent_difference_implIS3_Lb1ELb0EPKiPiN6thrust23THRUST_200600_302600_NS4plusIiEEEE10hipError_tPvRmT2_T3_mT4_P12ihipStream_tbEUlT_E_NS1_11comp_targetILNS1_3genE10ELNS1_11target_archE1201ELNS1_3gpuE5ELNS1_3repE0EEENS1_30default_config_static_selectorELNS0_4arch9wavefront6targetE0EEEvT1_
	.globl	_ZN7rocprim17ROCPRIM_400000_NS6detail17trampoline_kernelINS0_14default_configENS1_35adjacent_difference_config_selectorILb1EiEEZNS1_24adjacent_difference_implIS3_Lb1ELb0EPKiPiN6thrust23THRUST_200600_302600_NS4plusIiEEEE10hipError_tPvRmT2_T3_mT4_P12ihipStream_tbEUlT_E_NS1_11comp_targetILNS1_3genE10ELNS1_11target_archE1201ELNS1_3gpuE5ELNS1_3repE0EEENS1_30default_config_static_selectorELNS0_4arch9wavefront6targetE0EEEvT1_
	.p2align	8
	.type	_ZN7rocprim17ROCPRIM_400000_NS6detail17trampoline_kernelINS0_14default_configENS1_35adjacent_difference_config_selectorILb1EiEEZNS1_24adjacent_difference_implIS3_Lb1ELb0EPKiPiN6thrust23THRUST_200600_302600_NS4plusIiEEEE10hipError_tPvRmT2_T3_mT4_P12ihipStream_tbEUlT_E_NS1_11comp_targetILNS1_3genE10ELNS1_11target_archE1201ELNS1_3gpuE5ELNS1_3repE0EEENS1_30default_config_static_selectorELNS0_4arch9wavefront6targetE0EEEvT1_,@function
_ZN7rocprim17ROCPRIM_400000_NS6detail17trampoline_kernelINS0_14default_configENS1_35adjacent_difference_config_selectorILb1EiEEZNS1_24adjacent_difference_implIS3_Lb1ELb0EPKiPiN6thrust23THRUST_200600_302600_NS4plusIiEEEE10hipError_tPvRmT2_T3_mT4_P12ihipStream_tbEUlT_E_NS1_11comp_targetILNS1_3genE10ELNS1_11target_archE1201ELNS1_3gpuE5ELNS1_3repE0EEENS1_30default_config_static_selectorELNS0_4arch9wavefront6targetE0EEEvT1_: ; @_ZN7rocprim17ROCPRIM_400000_NS6detail17trampoline_kernelINS0_14default_configENS1_35adjacent_difference_config_selectorILb1EiEEZNS1_24adjacent_difference_implIS3_Lb1ELb0EPKiPiN6thrust23THRUST_200600_302600_NS4plusIiEEEE10hipError_tPvRmT2_T3_mT4_P12ihipStream_tbEUlT_E_NS1_11comp_targetILNS1_3genE10ELNS1_11target_archE1201ELNS1_3gpuE5ELNS1_3repE0EEENS1_30default_config_static_selectorELNS0_4arch9wavefront6targetE0EEEvT1_
; %bb.0:
	.section	.rodata,"a",@progbits
	.p2align	6, 0x0
	.amdhsa_kernel _ZN7rocprim17ROCPRIM_400000_NS6detail17trampoline_kernelINS0_14default_configENS1_35adjacent_difference_config_selectorILb1EiEEZNS1_24adjacent_difference_implIS3_Lb1ELb0EPKiPiN6thrust23THRUST_200600_302600_NS4plusIiEEEE10hipError_tPvRmT2_T3_mT4_P12ihipStream_tbEUlT_E_NS1_11comp_targetILNS1_3genE10ELNS1_11target_archE1201ELNS1_3gpuE5ELNS1_3repE0EEENS1_30default_config_static_selectorELNS0_4arch9wavefront6targetE0EEEvT1_
		.amdhsa_group_segment_fixed_size 0
		.amdhsa_private_segment_fixed_size 0
		.amdhsa_kernarg_size 56
		.amdhsa_user_sgpr_count 15
		.amdhsa_user_sgpr_dispatch_ptr 0
		.amdhsa_user_sgpr_queue_ptr 0
		.amdhsa_user_sgpr_kernarg_segment_ptr 1
		.amdhsa_user_sgpr_dispatch_id 0
		.amdhsa_user_sgpr_private_segment_size 0
		.amdhsa_wavefront_size32 1
		.amdhsa_uses_dynamic_stack 0
		.amdhsa_enable_private_segment 0
		.amdhsa_system_sgpr_workgroup_id_x 1
		.amdhsa_system_sgpr_workgroup_id_y 0
		.amdhsa_system_sgpr_workgroup_id_z 0
		.amdhsa_system_sgpr_workgroup_info 0
		.amdhsa_system_vgpr_workitem_id 0
		.amdhsa_next_free_vgpr 1
		.amdhsa_next_free_sgpr 1
		.amdhsa_reserve_vcc 0
		.amdhsa_float_round_mode_32 0
		.amdhsa_float_round_mode_16_64 0
		.amdhsa_float_denorm_mode_32 3
		.amdhsa_float_denorm_mode_16_64 3
		.amdhsa_dx10_clamp 1
		.amdhsa_ieee_mode 1
		.amdhsa_fp16_overflow 0
		.amdhsa_workgroup_processor_mode 1
		.amdhsa_memory_ordered 1
		.amdhsa_forward_progress 0
		.amdhsa_shared_vgpr_count 0
		.amdhsa_exception_fp_ieee_invalid_op 0
		.amdhsa_exception_fp_denorm_src 0
		.amdhsa_exception_fp_ieee_div_zero 0
		.amdhsa_exception_fp_ieee_overflow 0
		.amdhsa_exception_fp_ieee_underflow 0
		.amdhsa_exception_fp_ieee_inexact 0
		.amdhsa_exception_int_div_zero 0
	.end_amdhsa_kernel
	.section	.text._ZN7rocprim17ROCPRIM_400000_NS6detail17trampoline_kernelINS0_14default_configENS1_35adjacent_difference_config_selectorILb1EiEEZNS1_24adjacent_difference_implIS3_Lb1ELb0EPKiPiN6thrust23THRUST_200600_302600_NS4plusIiEEEE10hipError_tPvRmT2_T3_mT4_P12ihipStream_tbEUlT_E_NS1_11comp_targetILNS1_3genE10ELNS1_11target_archE1201ELNS1_3gpuE5ELNS1_3repE0EEENS1_30default_config_static_selectorELNS0_4arch9wavefront6targetE0EEEvT1_,"axG",@progbits,_ZN7rocprim17ROCPRIM_400000_NS6detail17trampoline_kernelINS0_14default_configENS1_35adjacent_difference_config_selectorILb1EiEEZNS1_24adjacent_difference_implIS3_Lb1ELb0EPKiPiN6thrust23THRUST_200600_302600_NS4plusIiEEEE10hipError_tPvRmT2_T3_mT4_P12ihipStream_tbEUlT_E_NS1_11comp_targetILNS1_3genE10ELNS1_11target_archE1201ELNS1_3gpuE5ELNS1_3repE0EEENS1_30default_config_static_selectorELNS0_4arch9wavefront6targetE0EEEvT1_,comdat
.Lfunc_end741:
	.size	_ZN7rocprim17ROCPRIM_400000_NS6detail17trampoline_kernelINS0_14default_configENS1_35adjacent_difference_config_selectorILb1EiEEZNS1_24adjacent_difference_implIS3_Lb1ELb0EPKiPiN6thrust23THRUST_200600_302600_NS4plusIiEEEE10hipError_tPvRmT2_T3_mT4_P12ihipStream_tbEUlT_E_NS1_11comp_targetILNS1_3genE10ELNS1_11target_archE1201ELNS1_3gpuE5ELNS1_3repE0EEENS1_30default_config_static_selectorELNS0_4arch9wavefront6targetE0EEEvT1_, .Lfunc_end741-_ZN7rocprim17ROCPRIM_400000_NS6detail17trampoline_kernelINS0_14default_configENS1_35adjacent_difference_config_selectorILb1EiEEZNS1_24adjacent_difference_implIS3_Lb1ELb0EPKiPiN6thrust23THRUST_200600_302600_NS4plusIiEEEE10hipError_tPvRmT2_T3_mT4_P12ihipStream_tbEUlT_E_NS1_11comp_targetILNS1_3genE10ELNS1_11target_archE1201ELNS1_3gpuE5ELNS1_3repE0EEENS1_30default_config_static_selectorELNS0_4arch9wavefront6targetE0EEEvT1_
                                        ; -- End function
	.section	.AMDGPU.csdata,"",@progbits
; Kernel info:
; codeLenInByte = 0
; NumSgprs: 0
; NumVgprs: 0
; ScratchSize: 0
; MemoryBound: 0
; FloatMode: 240
; IeeeMode: 1
; LDSByteSize: 0 bytes/workgroup (compile time only)
; SGPRBlocks: 0
; VGPRBlocks: 0
; NumSGPRsForWavesPerEU: 1
; NumVGPRsForWavesPerEU: 1
; Occupancy: 16
; WaveLimiterHint : 0
; COMPUTE_PGM_RSRC2:SCRATCH_EN: 0
; COMPUTE_PGM_RSRC2:USER_SGPR: 15
; COMPUTE_PGM_RSRC2:TRAP_HANDLER: 0
; COMPUTE_PGM_RSRC2:TGID_X_EN: 1
; COMPUTE_PGM_RSRC2:TGID_Y_EN: 0
; COMPUTE_PGM_RSRC2:TGID_Z_EN: 0
; COMPUTE_PGM_RSRC2:TIDIG_COMP_CNT: 0
	.section	.text._ZN7rocprim17ROCPRIM_400000_NS6detail17trampoline_kernelINS0_14default_configENS1_35adjacent_difference_config_selectorILb1EiEEZNS1_24adjacent_difference_implIS3_Lb1ELb0EPKiPiN6thrust23THRUST_200600_302600_NS4plusIiEEEE10hipError_tPvRmT2_T3_mT4_P12ihipStream_tbEUlT_E_NS1_11comp_targetILNS1_3genE5ELNS1_11target_archE942ELNS1_3gpuE9ELNS1_3repE0EEENS1_30default_config_static_selectorELNS0_4arch9wavefront6targetE0EEEvT1_,"axG",@progbits,_ZN7rocprim17ROCPRIM_400000_NS6detail17trampoline_kernelINS0_14default_configENS1_35adjacent_difference_config_selectorILb1EiEEZNS1_24adjacent_difference_implIS3_Lb1ELb0EPKiPiN6thrust23THRUST_200600_302600_NS4plusIiEEEE10hipError_tPvRmT2_T3_mT4_P12ihipStream_tbEUlT_E_NS1_11comp_targetILNS1_3genE5ELNS1_11target_archE942ELNS1_3gpuE9ELNS1_3repE0EEENS1_30default_config_static_selectorELNS0_4arch9wavefront6targetE0EEEvT1_,comdat
	.protected	_ZN7rocprim17ROCPRIM_400000_NS6detail17trampoline_kernelINS0_14default_configENS1_35adjacent_difference_config_selectorILb1EiEEZNS1_24adjacent_difference_implIS3_Lb1ELb0EPKiPiN6thrust23THRUST_200600_302600_NS4plusIiEEEE10hipError_tPvRmT2_T3_mT4_P12ihipStream_tbEUlT_E_NS1_11comp_targetILNS1_3genE5ELNS1_11target_archE942ELNS1_3gpuE9ELNS1_3repE0EEENS1_30default_config_static_selectorELNS0_4arch9wavefront6targetE0EEEvT1_ ; -- Begin function _ZN7rocprim17ROCPRIM_400000_NS6detail17trampoline_kernelINS0_14default_configENS1_35adjacent_difference_config_selectorILb1EiEEZNS1_24adjacent_difference_implIS3_Lb1ELb0EPKiPiN6thrust23THRUST_200600_302600_NS4plusIiEEEE10hipError_tPvRmT2_T3_mT4_P12ihipStream_tbEUlT_E_NS1_11comp_targetILNS1_3genE5ELNS1_11target_archE942ELNS1_3gpuE9ELNS1_3repE0EEENS1_30default_config_static_selectorELNS0_4arch9wavefront6targetE0EEEvT1_
	.globl	_ZN7rocprim17ROCPRIM_400000_NS6detail17trampoline_kernelINS0_14default_configENS1_35adjacent_difference_config_selectorILb1EiEEZNS1_24adjacent_difference_implIS3_Lb1ELb0EPKiPiN6thrust23THRUST_200600_302600_NS4plusIiEEEE10hipError_tPvRmT2_T3_mT4_P12ihipStream_tbEUlT_E_NS1_11comp_targetILNS1_3genE5ELNS1_11target_archE942ELNS1_3gpuE9ELNS1_3repE0EEENS1_30default_config_static_selectorELNS0_4arch9wavefront6targetE0EEEvT1_
	.p2align	8
	.type	_ZN7rocprim17ROCPRIM_400000_NS6detail17trampoline_kernelINS0_14default_configENS1_35adjacent_difference_config_selectorILb1EiEEZNS1_24adjacent_difference_implIS3_Lb1ELb0EPKiPiN6thrust23THRUST_200600_302600_NS4plusIiEEEE10hipError_tPvRmT2_T3_mT4_P12ihipStream_tbEUlT_E_NS1_11comp_targetILNS1_3genE5ELNS1_11target_archE942ELNS1_3gpuE9ELNS1_3repE0EEENS1_30default_config_static_selectorELNS0_4arch9wavefront6targetE0EEEvT1_,@function
_ZN7rocprim17ROCPRIM_400000_NS6detail17trampoline_kernelINS0_14default_configENS1_35adjacent_difference_config_selectorILb1EiEEZNS1_24adjacent_difference_implIS3_Lb1ELb0EPKiPiN6thrust23THRUST_200600_302600_NS4plusIiEEEE10hipError_tPvRmT2_T3_mT4_P12ihipStream_tbEUlT_E_NS1_11comp_targetILNS1_3genE5ELNS1_11target_archE942ELNS1_3gpuE9ELNS1_3repE0EEENS1_30default_config_static_selectorELNS0_4arch9wavefront6targetE0EEEvT1_: ; @_ZN7rocprim17ROCPRIM_400000_NS6detail17trampoline_kernelINS0_14default_configENS1_35adjacent_difference_config_selectorILb1EiEEZNS1_24adjacent_difference_implIS3_Lb1ELb0EPKiPiN6thrust23THRUST_200600_302600_NS4plusIiEEEE10hipError_tPvRmT2_T3_mT4_P12ihipStream_tbEUlT_E_NS1_11comp_targetILNS1_3genE5ELNS1_11target_archE942ELNS1_3gpuE9ELNS1_3repE0EEENS1_30default_config_static_selectorELNS0_4arch9wavefront6targetE0EEEvT1_
; %bb.0:
	.section	.rodata,"a",@progbits
	.p2align	6, 0x0
	.amdhsa_kernel _ZN7rocprim17ROCPRIM_400000_NS6detail17trampoline_kernelINS0_14default_configENS1_35adjacent_difference_config_selectorILb1EiEEZNS1_24adjacent_difference_implIS3_Lb1ELb0EPKiPiN6thrust23THRUST_200600_302600_NS4plusIiEEEE10hipError_tPvRmT2_T3_mT4_P12ihipStream_tbEUlT_E_NS1_11comp_targetILNS1_3genE5ELNS1_11target_archE942ELNS1_3gpuE9ELNS1_3repE0EEENS1_30default_config_static_selectorELNS0_4arch9wavefront6targetE0EEEvT1_
		.amdhsa_group_segment_fixed_size 0
		.amdhsa_private_segment_fixed_size 0
		.amdhsa_kernarg_size 56
		.amdhsa_user_sgpr_count 15
		.amdhsa_user_sgpr_dispatch_ptr 0
		.amdhsa_user_sgpr_queue_ptr 0
		.amdhsa_user_sgpr_kernarg_segment_ptr 1
		.amdhsa_user_sgpr_dispatch_id 0
		.amdhsa_user_sgpr_private_segment_size 0
		.amdhsa_wavefront_size32 1
		.amdhsa_uses_dynamic_stack 0
		.amdhsa_enable_private_segment 0
		.amdhsa_system_sgpr_workgroup_id_x 1
		.amdhsa_system_sgpr_workgroup_id_y 0
		.amdhsa_system_sgpr_workgroup_id_z 0
		.amdhsa_system_sgpr_workgroup_info 0
		.amdhsa_system_vgpr_workitem_id 0
		.amdhsa_next_free_vgpr 1
		.amdhsa_next_free_sgpr 1
		.amdhsa_reserve_vcc 0
		.amdhsa_float_round_mode_32 0
		.amdhsa_float_round_mode_16_64 0
		.amdhsa_float_denorm_mode_32 3
		.amdhsa_float_denorm_mode_16_64 3
		.amdhsa_dx10_clamp 1
		.amdhsa_ieee_mode 1
		.amdhsa_fp16_overflow 0
		.amdhsa_workgroup_processor_mode 1
		.amdhsa_memory_ordered 1
		.amdhsa_forward_progress 0
		.amdhsa_shared_vgpr_count 0
		.amdhsa_exception_fp_ieee_invalid_op 0
		.amdhsa_exception_fp_denorm_src 0
		.amdhsa_exception_fp_ieee_div_zero 0
		.amdhsa_exception_fp_ieee_overflow 0
		.amdhsa_exception_fp_ieee_underflow 0
		.amdhsa_exception_fp_ieee_inexact 0
		.amdhsa_exception_int_div_zero 0
	.end_amdhsa_kernel
	.section	.text._ZN7rocprim17ROCPRIM_400000_NS6detail17trampoline_kernelINS0_14default_configENS1_35adjacent_difference_config_selectorILb1EiEEZNS1_24adjacent_difference_implIS3_Lb1ELb0EPKiPiN6thrust23THRUST_200600_302600_NS4plusIiEEEE10hipError_tPvRmT2_T3_mT4_P12ihipStream_tbEUlT_E_NS1_11comp_targetILNS1_3genE5ELNS1_11target_archE942ELNS1_3gpuE9ELNS1_3repE0EEENS1_30default_config_static_selectorELNS0_4arch9wavefront6targetE0EEEvT1_,"axG",@progbits,_ZN7rocprim17ROCPRIM_400000_NS6detail17trampoline_kernelINS0_14default_configENS1_35adjacent_difference_config_selectorILb1EiEEZNS1_24adjacent_difference_implIS3_Lb1ELb0EPKiPiN6thrust23THRUST_200600_302600_NS4plusIiEEEE10hipError_tPvRmT2_T3_mT4_P12ihipStream_tbEUlT_E_NS1_11comp_targetILNS1_3genE5ELNS1_11target_archE942ELNS1_3gpuE9ELNS1_3repE0EEENS1_30default_config_static_selectorELNS0_4arch9wavefront6targetE0EEEvT1_,comdat
.Lfunc_end742:
	.size	_ZN7rocprim17ROCPRIM_400000_NS6detail17trampoline_kernelINS0_14default_configENS1_35adjacent_difference_config_selectorILb1EiEEZNS1_24adjacent_difference_implIS3_Lb1ELb0EPKiPiN6thrust23THRUST_200600_302600_NS4plusIiEEEE10hipError_tPvRmT2_T3_mT4_P12ihipStream_tbEUlT_E_NS1_11comp_targetILNS1_3genE5ELNS1_11target_archE942ELNS1_3gpuE9ELNS1_3repE0EEENS1_30default_config_static_selectorELNS0_4arch9wavefront6targetE0EEEvT1_, .Lfunc_end742-_ZN7rocprim17ROCPRIM_400000_NS6detail17trampoline_kernelINS0_14default_configENS1_35adjacent_difference_config_selectorILb1EiEEZNS1_24adjacent_difference_implIS3_Lb1ELb0EPKiPiN6thrust23THRUST_200600_302600_NS4plusIiEEEE10hipError_tPvRmT2_T3_mT4_P12ihipStream_tbEUlT_E_NS1_11comp_targetILNS1_3genE5ELNS1_11target_archE942ELNS1_3gpuE9ELNS1_3repE0EEENS1_30default_config_static_selectorELNS0_4arch9wavefront6targetE0EEEvT1_
                                        ; -- End function
	.section	.AMDGPU.csdata,"",@progbits
; Kernel info:
; codeLenInByte = 0
; NumSgprs: 0
; NumVgprs: 0
; ScratchSize: 0
; MemoryBound: 0
; FloatMode: 240
; IeeeMode: 1
; LDSByteSize: 0 bytes/workgroup (compile time only)
; SGPRBlocks: 0
; VGPRBlocks: 0
; NumSGPRsForWavesPerEU: 1
; NumVGPRsForWavesPerEU: 1
; Occupancy: 16
; WaveLimiterHint : 0
; COMPUTE_PGM_RSRC2:SCRATCH_EN: 0
; COMPUTE_PGM_RSRC2:USER_SGPR: 15
; COMPUTE_PGM_RSRC2:TRAP_HANDLER: 0
; COMPUTE_PGM_RSRC2:TGID_X_EN: 1
; COMPUTE_PGM_RSRC2:TGID_Y_EN: 0
; COMPUTE_PGM_RSRC2:TGID_Z_EN: 0
; COMPUTE_PGM_RSRC2:TIDIG_COMP_CNT: 0
	.section	.text._ZN7rocprim17ROCPRIM_400000_NS6detail17trampoline_kernelINS0_14default_configENS1_35adjacent_difference_config_selectorILb1EiEEZNS1_24adjacent_difference_implIS3_Lb1ELb0EPKiPiN6thrust23THRUST_200600_302600_NS4plusIiEEEE10hipError_tPvRmT2_T3_mT4_P12ihipStream_tbEUlT_E_NS1_11comp_targetILNS1_3genE4ELNS1_11target_archE910ELNS1_3gpuE8ELNS1_3repE0EEENS1_30default_config_static_selectorELNS0_4arch9wavefront6targetE0EEEvT1_,"axG",@progbits,_ZN7rocprim17ROCPRIM_400000_NS6detail17trampoline_kernelINS0_14default_configENS1_35adjacent_difference_config_selectorILb1EiEEZNS1_24adjacent_difference_implIS3_Lb1ELb0EPKiPiN6thrust23THRUST_200600_302600_NS4plusIiEEEE10hipError_tPvRmT2_T3_mT4_P12ihipStream_tbEUlT_E_NS1_11comp_targetILNS1_3genE4ELNS1_11target_archE910ELNS1_3gpuE8ELNS1_3repE0EEENS1_30default_config_static_selectorELNS0_4arch9wavefront6targetE0EEEvT1_,comdat
	.protected	_ZN7rocprim17ROCPRIM_400000_NS6detail17trampoline_kernelINS0_14default_configENS1_35adjacent_difference_config_selectorILb1EiEEZNS1_24adjacent_difference_implIS3_Lb1ELb0EPKiPiN6thrust23THRUST_200600_302600_NS4plusIiEEEE10hipError_tPvRmT2_T3_mT4_P12ihipStream_tbEUlT_E_NS1_11comp_targetILNS1_3genE4ELNS1_11target_archE910ELNS1_3gpuE8ELNS1_3repE0EEENS1_30default_config_static_selectorELNS0_4arch9wavefront6targetE0EEEvT1_ ; -- Begin function _ZN7rocprim17ROCPRIM_400000_NS6detail17trampoline_kernelINS0_14default_configENS1_35adjacent_difference_config_selectorILb1EiEEZNS1_24adjacent_difference_implIS3_Lb1ELb0EPKiPiN6thrust23THRUST_200600_302600_NS4plusIiEEEE10hipError_tPvRmT2_T3_mT4_P12ihipStream_tbEUlT_E_NS1_11comp_targetILNS1_3genE4ELNS1_11target_archE910ELNS1_3gpuE8ELNS1_3repE0EEENS1_30default_config_static_selectorELNS0_4arch9wavefront6targetE0EEEvT1_
	.globl	_ZN7rocprim17ROCPRIM_400000_NS6detail17trampoline_kernelINS0_14default_configENS1_35adjacent_difference_config_selectorILb1EiEEZNS1_24adjacent_difference_implIS3_Lb1ELb0EPKiPiN6thrust23THRUST_200600_302600_NS4plusIiEEEE10hipError_tPvRmT2_T3_mT4_P12ihipStream_tbEUlT_E_NS1_11comp_targetILNS1_3genE4ELNS1_11target_archE910ELNS1_3gpuE8ELNS1_3repE0EEENS1_30default_config_static_selectorELNS0_4arch9wavefront6targetE0EEEvT1_
	.p2align	8
	.type	_ZN7rocprim17ROCPRIM_400000_NS6detail17trampoline_kernelINS0_14default_configENS1_35adjacent_difference_config_selectorILb1EiEEZNS1_24adjacent_difference_implIS3_Lb1ELb0EPKiPiN6thrust23THRUST_200600_302600_NS4plusIiEEEE10hipError_tPvRmT2_T3_mT4_P12ihipStream_tbEUlT_E_NS1_11comp_targetILNS1_3genE4ELNS1_11target_archE910ELNS1_3gpuE8ELNS1_3repE0EEENS1_30default_config_static_selectorELNS0_4arch9wavefront6targetE0EEEvT1_,@function
_ZN7rocprim17ROCPRIM_400000_NS6detail17trampoline_kernelINS0_14default_configENS1_35adjacent_difference_config_selectorILb1EiEEZNS1_24adjacent_difference_implIS3_Lb1ELb0EPKiPiN6thrust23THRUST_200600_302600_NS4plusIiEEEE10hipError_tPvRmT2_T3_mT4_P12ihipStream_tbEUlT_E_NS1_11comp_targetILNS1_3genE4ELNS1_11target_archE910ELNS1_3gpuE8ELNS1_3repE0EEENS1_30default_config_static_selectorELNS0_4arch9wavefront6targetE0EEEvT1_: ; @_ZN7rocprim17ROCPRIM_400000_NS6detail17trampoline_kernelINS0_14default_configENS1_35adjacent_difference_config_selectorILb1EiEEZNS1_24adjacent_difference_implIS3_Lb1ELb0EPKiPiN6thrust23THRUST_200600_302600_NS4plusIiEEEE10hipError_tPvRmT2_T3_mT4_P12ihipStream_tbEUlT_E_NS1_11comp_targetILNS1_3genE4ELNS1_11target_archE910ELNS1_3gpuE8ELNS1_3repE0EEENS1_30default_config_static_selectorELNS0_4arch9wavefront6targetE0EEEvT1_
; %bb.0:
	.section	.rodata,"a",@progbits
	.p2align	6, 0x0
	.amdhsa_kernel _ZN7rocprim17ROCPRIM_400000_NS6detail17trampoline_kernelINS0_14default_configENS1_35adjacent_difference_config_selectorILb1EiEEZNS1_24adjacent_difference_implIS3_Lb1ELb0EPKiPiN6thrust23THRUST_200600_302600_NS4plusIiEEEE10hipError_tPvRmT2_T3_mT4_P12ihipStream_tbEUlT_E_NS1_11comp_targetILNS1_3genE4ELNS1_11target_archE910ELNS1_3gpuE8ELNS1_3repE0EEENS1_30default_config_static_selectorELNS0_4arch9wavefront6targetE0EEEvT1_
		.amdhsa_group_segment_fixed_size 0
		.amdhsa_private_segment_fixed_size 0
		.amdhsa_kernarg_size 56
		.amdhsa_user_sgpr_count 15
		.amdhsa_user_sgpr_dispatch_ptr 0
		.amdhsa_user_sgpr_queue_ptr 0
		.amdhsa_user_sgpr_kernarg_segment_ptr 1
		.amdhsa_user_sgpr_dispatch_id 0
		.amdhsa_user_sgpr_private_segment_size 0
		.amdhsa_wavefront_size32 1
		.amdhsa_uses_dynamic_stack 0
		.amdhsa_enable_private_segment 0
		.amdhsa_system_sgpr_workgroup_id_x 1
		.amdhsa_system_sgpr_workgroup_id_y 0
		.amdhsa_system_sgpr_workgroup_id_z 0
		.amdhsa_system_sgpr_workgroup_info 0
		.amdhsa_system_vgpr_workitem_id 0
		.amdhsa_next_free_vgpr 1
		.amdhsa_next_free_sgpr 1
		.amdhsa_reserve_vcc 0
		.amdhsa_float_round_mode_32 0
		.amdhsa_float_round_mode_16_64 0
		.amdhsa_float_denorm_mode_32 3
		.amdhsa_float_denorm_mode_16_64 3
		.amdhsa_dx10_clamp 1
		.amdhsa_ieee_mode 1
		.amdhsa_fp16_overflow 0
		.amdhsa_workgroup_processor_mode 1
		.amdhsa_memory_ordered 1
		.amdhsa_forward_progress 0
		.amdhsa_shared_vgpr_count 0
		.amdhsa_exception_fp_ieee_invalid_op 0
		.amdhsa_exception_fp_denorm_src 0
		.amdhsa_exception_fp_ieee_div_zero 0
		.amdhsa_exception_fp_ieee_overflow 0
		.amdhsa_exception_fp_ieee_underflow 0
		.amdhsa_exception_fp_ieee_inexact 0
		.amdhsa_exception_int_div_zero 0
	.end_amdhsa_kernel
	.section	.text._ZN7rocprim17ROCPRIM_400000_NS6detail17trampoline_kernelINS0_14default_configENS1_35adjacent_difference_config_selectorILb1EiEEZNS1_24adjacent_difference_implIS3_Lb1ELb0EPKiPiN6thrust23THRUST_200600_302600_NS4plusIiEEEE10hipError_tPvRmT2_T3_mT4_P12ihipStream_tbEUlT_E_NS1_11comp_targetILNS1_3genE4ELNS1_11target_archE910ELNS1_3gpuE8ELNS1_3repE0EEENS1_30default_config_static_selectorELNS0_4arch9wavefront6targetE0EEEvT1_,"axG",@progbits,_ZN7rocprim17ROCPRIM_400000_NS6detail17trampoline_kernelINS0_14default_configENS1_35adjacent_difference_config_selectorILb1EiEEZNS1_24adjacent_difference_implIS3_Lb1ELb0EPKiPiN6thrust23THRUST_200600_302600_NS4plusIiEEEE10hipError_tPvRmT2_T3_mT4_P12ihipStream_tbEUlT_E_NS1_11comp_targetILNS1_3genE4ELNS1_11target_archE910ELNS1_3gpuE8ELNS1_3repE0EEENS1_30default_config_static_selectorELNS0_4arch9wavefront6targetE0EEEvT1_,comdat
.Lfunc_end743:
	.size	_ZN7rocprim17ROCPRIM_400000_NS6detail17trampoline_kernelINS0_14default_configENS1_35adjacent_difference_config_selectorILb1EiEEZNS1_24adjacent_difference_implIS3_Lb1ELb0EPKiPiN6thrust23THRUST_200600_302600_NS4plusIiEEEE10hipError_tPvRmT2_T3_mT4_P12ihipStream_tbEUlT_E_NS1_11comp_targetILNS1_3genE4ELNS1_11target_archE910ELNS1_3gpuE8ELNS1_3repE0EEENS1_30default_config_static_selectorELNS0_4arch9wavefront6targetE0EEEvT1_, .Lfunc_end743-_ZN7rocprim17ROCPRIM_400000_NS6detail17trampoline_kernelINS0_14default_configENS1_35adjacent_difference_config_selectorILb1EiEEZNS1_24adjacent_difference_implIS3_Lb1ELb0EPKiPiN6thrust23THRUST_200600_302600_NS4plusIiEEEE10hipError_tPvRmT2_T3_mT4_P12ihipStream_tbEUlT_E_NS1_11comp_targetILNS1_3genE4ELNS1_11target_archE910ELNS1_3gpuE8ELNS1_3repE0EEENS1_30default_config_static_selectorELNS0_4arch9wavefront6targetE0EEEvT1_
                                        ; -- End function
	.section	.AMDGPU.csdata,"",@progbits
; Kernel info:
; codeLenInByte = 0
; NumSgprs: 0
; NumVgprs: 0
; ScratchSize: 0
; MemoryBound: 0
; FloatMode: 240
; IeeeMode: 1
; LDSByteSize: 0 bytes/workgroup (compile time only)
; SGPRBlocks: 0
; VGPRBlocks: 0
; NumSGPRsForWavesPerEU: 1
; NumVGPRsForWavesPerEU: 1
; Occupancy: 16
; WaveLimiterHint : 0
; COMPUTE_PGM_RSRC2:SCRATCH_EN: 0
; COMPUTE_PGM_RSRC2:USER_SGPR: 15
; COMPUTE_PGM_RSRC2:TRAP_HANDLER: 0
; COMPUTE_PGM_RSRC2:TGID_X_EN: 1
; COMPUTE_PGM_RSRC2:TGID_Y_EN: 0
; COMPUTE_PGM_RSRC2:TGID_Z_EN: 0
; COMPUTE_PGM_RSRC2:TIDIG_COMP_CNT: 0
	.section	.text._ZN7rocprim17ROCPRIM_400000_NS6detail17trampoline_kernelINS0_14default_configENS1_35adjacent_difference_config_selectorILb1EiEEZNS1_24adjacent_difference_implIS3_Lb1ELb0EPKiPiN6thrust23THRUST_200600_302600_NS4plusIiEEEE10hipError_tPvRmT2_T3_mT4_P12ihipStream_tbEUlT_E_NS1_11comp_targetILNS1_3genE3ELNS1_11target_archE908ELNS1_3gpuE7ELNS1_3repE0EEENS1_30default_config_static_selectorELNS0_4arch9wavefront6targetE0EEEvT1_,"axG",@progbits,_ZN7rocprim17ROCPRIM_400000_NS6detail17trampoline_kernelINS0_14default_configENS1_35adjacent_difference_config_selectorILb1EiEEZNS1_24adjacent_difference_implIS3_Lb1ELb0EPKiPiN6thrust23THRUST_200600_302600_NS4plusIiEEEE10hipError_tPvRmT2_T3_mT4_P12ihipStream_tbEUlT_E_NS1_11comp_targetILNS1_3genE3ELNS1_11target_archE908ELNS1_3gpuE7ELNS1_3repE0EEENS1_30default_config_static_selectorELNS0_4arch9wavefront6targetE0EEEvT1_,comdat
	.protected	_ZN7rocprim17ROCPRIM_400000_NS6detail17trampoline_kernelINS0_14default_configENS1_35adjacent_difference_config_selectorILb1EiEEZNS1_24adjacent_difference_implIS3_Lb1ELb0EPKiPiN6thrust23THRUST_200600_302600_NS4plusIiEEEE10hipError_tPvRmT2_T3_mT4_P12ihipStream_tbEUlT_E_NS1_11comp_targetILNS1_3genE3ELNS1_11target_archE908ELNS1_3gpuE7ELNS1_3repE0EEENS1_30default_config_static_selectorELNS0_4arch9wavefront6targetE0EEEvT1_ ; -- Begin function _ZN7rocprim17ROCPRIM_400000_NS6detail17trampoline_kernelINS0_14default_configENS1_35adjacent_difference_config_selectorILb1EiEEZNS1_24adjacent_difference_implIS3_Lb1ELb0EPKiPiN6thrust23THRUST_200600_302600_NS4plusIiEEEE10hipError_tPvRmT2_T3_mT4_P12ihipStream_tbEUlT_E_NS1_11comp_targetILNS1_3genE3ELNS1_11target_archE908ELNS1_3gpuE7ELNS1_3repE0EEENS1_30default_config_static_selectorELNS0_4arch9wavefront6targetE0EEEvT1_
	.globl	_ZN7rocprim17ROCPRIM_400000_NS6detail17trampoline_kernelINS0_14default_configENS1_35adjacent_difference_config_selectorILb1EiEEZNS1_24adjacent_difference_implIS3_Lb1ELb0EPKiPiN6thrust23THRUST_200600_302600_NS4plusIiEEEE10hipError_tPvRmT2_T3_mT4_P12ihipStream_tbEUlT_E_NS1_11comp_targetILNS1_3genE3ELNS1_11target_archE908ELNS1_3gpuE7ELNS1_3repE0EEENS1_30default_config_static_selectorELNS0_4arch9wavefront6targetE0EEEvT1_
	.p2align	8
	.type	_ZN7rocprim17ROCPRIM_400000_NS6detail17trampoline_kernelINS0_14default_configENS1_35adjacent_difference_config_selectorILb1EiEEZNS1_24adjacent_difference_implIS3_Lb1ELb0EPKiPiN6thrust23THRUST_200600_302600_NS4plusIiEEEE10hipError_tPvRmT2_T3_mT4_P12ihipStream_tbEUlT_E_NS1_11comp_targetILNS1_3genE3ELNS1_11target_archE908ELNS1_3gpuE7ELNS1_3repE0EEENS1_30default_config_static_selectorELNS0_4arch9wavefront6targetE0EEEvT1_,@function
_ZN7rocprim17ROCPRIM_400000_NS6detail17trampoline_kernelINS0_14default_configENS1_35adjacent_difference_config_selectorILb1EiEEZNS1_24adjacent_difference_implIS3_Lb1ELb0EPKiPiN6thrust23THRUST_200600_302600_NS4plusIiEEEE10hipError_tPvRmT2_T3_mT4_P12ihipStream_tbEUlT_E_NS1_11comp_targetILNS1_3genE3ELNS1_11target_archE908ELNS1_3gpuE7ELNS1_3repE0EEENS1_30default_config_static_selectorELNS0_4arch9wavefront6targetE0EEEvT1_: ; @_ZN7rocprim17ROCPRIM_400000_NS6detail17trampoline_kernelINS0_14default_configENS1_35adjacent_difference_config_selectorILb1EiEEZNS1_24adjacent_difference_implIS3_Lb1ELb0EPKiPiN6thrust23THRUST_200600_302600_NS4plusIiEEEE10hipError_tPvRmT2_T3_mT4_P12ihipStream_tbEUlT_E_NS1_11comp_targetILNS1_3genE3ELNS1_11target_archE908ELNS1_3gpuE7ELNS1_3repE0EEENS1_30default_config_static_selectorELNS0_4arch9wavefront6targetE0EEEvT1_
; %bb.0:
	.section	.rodata,"a",@progbits
	.p2align	6, 0x0
	.amdhsa_kernel _ZN7rocprim17ROCPRIM_400000_NS6detail17trampoline_kernelINS0_14default_configENS1_35adjacent_difference_config_selectorILb1EiEEZNS1_24adjacent_difference_implIS3_Lb1ELb0EPKiPiN6thrust23THRUST_200600_302600_NS4plusIiEEEE10hipError_tPvRmT2_T3_mT4_P12ihipStream_tbEUlT_E_NS1_11comp_targetILNS1_3genE3ELNS1_11target_archE908ELNS1_3gpuE7ELNS1_3repE0EEENS1_30default_config_static_selectorELNS0_4arch9wavefront6targetE0EEEvT1_
		.amdhsa_group_segment_fixed_size 0
		.amdhsa_private_segment_fixed_size 0
		.amdhsa_kernarg_size 56
		.amdhsa_user_sgpr_count 15
		.amdhsa_user_sgpr_dispatch_ptr 0
		.amdhsa_user_sgpr_queue_ptr 0
		.amdhsa_user_sgpr_kernarg_segment_ptr 1
		.amdhsa_user_sgpr_dispatch_id 0
		.amdhsa_user_sgpr_private_segment_size 0
		.amdhsa_wavefront_size32 1
		.amdhsa_uses_dynamic_stack 0
		.amdhsa_enable_private_segment 0
		.amdhsa_system_sgpr_workgroup_id_x 1
		.amdhsa_system_sgpr_workgroup_id_y 0
		.amdhsa_system_sgpr_workgroup_id_z 0
		.amdhsa_system_sgpr_workgroup_info 0
		.amdhsa_system_vgpr_workitem_id 0
		.amdhsa_next_free_vgpr 1
		.amdhsa_next_free_sgpr 1
		.amdhsa_reserve_vcc 0
		.amdhsa_float_round_mode_32 0
		.amdhsa_float_round_mode_16_64 0
		.amdhsa_float_denorm_mode_32 3
		.amdhsa_float_denorm_mode_16_64 3
		.amdhsa_dx10_clamp 1
		.amdhsa_ieee_mode 1
		.amdhsa_fp16_overflow 0
		.amdhsa_workgroup_processor_mode 1
		.amdhsa_memory_ordered 1
		.amdhsa_forward_progress 0
		.amdhsa_shared_vgpr_count 0
		.amdhsa_exception_fp_ieee_invalid_op 0
		.amdhsa_exception_fp_denorm_src 0
		.amdhsa_exception_fp_ieee_div_zero 0
		.amdhsa_exception_fp_ieee_overflow 0
		.amdhsa_exception_fp_ieee_underflow 0
		.amdhsa_exception_fp_ieee_inexact 0
		.amdhsa_exception_int_div_zero 0
	.end_amdhsa_kernel
	.section	.text._ZN7rocprim17ROCPRIM_400000_NS6detail17trampoline_kernelINS0_14default_configENS1_35adjacent_difference_config_selectorILb1EiEEZNS1_24adjacent_difference_implIS3_Lb1ELb0EPKiPiN6thrust23THRUST_200600_302600_NS4plusIiEEEE10hipError_tPvRmT2_T3_mT4_P12ihipStream_tbEUlT_E_NS1_11comp_targetILNS1_3genE3ELNS1_11target_archE908ELNS1_3gpuE7ELNS1_3repE0EEENS1_30default_config_static_selectorELNS0_4arch9wavefront6targetE0EEEvT1_,"axG",@progbits,_ZN7rocprim17ROCPRIM_400000_NS6detail17trampoline_kernelINS0_14default_configENS1_35adjacent_difference_config_selectorILb1EiEEZNS1_24adjacent_difference_implIS3_Lb1ELb0EPKiPiN6thrust23THRUST_200600_302600_NS4plusIiEEEE10hipError_tPvRmT2_T3_mT4_P12ihipStream_tbEUlT_E_NS1_11comp_targetILNS1_3genE3ELNS1_11target_archE908ELNS1_3gpuE7ELNS1_3repE0EEENS1_30default_config_static_selectorELNS0_4arch9wavefront6targetE0EEEvT1_,comdat
.Lfunc_end744:
	.size	_ZN7rocprim17ROCPRIM_400000_NS6detail17trampoline_kernelINS0_14default_configENS1_35adjacent_difference_config_selectorILb1EiEEZNS1_24adjacent_difference_implIS3_Lb1ELb0EPKiPiN6thrust23THRUST_200600_302600_NS4plusIiEEEE10hipError_tPvRmT2_T3_mT4_P12ihipStream_tbEUlT_E_NS1_11comp_targetILNS1_3genE3ELNS1_11target_archE908ELNS1_3gpuE7ELNS1_3repE0EEENS1_30default_config_static_selectorELNS0_4arch9wavefront6targetE0EEEvT1_, .Lfunc_end744-_ZN7rocprim17ROCPRIM_400000_NS6detail17trampoline_kernelINS0_14default_configENS1_35adjacent_difference_config_selectorILb1EiEEZNS1_24adjacent_difference_implIS3_Lb1ELb0EPKiPiN6thrust23THRUST_200600_302600_NS4plusIiEEEE10hipError_tPvRmT2_T3_mT4_P12ihipStream_tbEUlT_E_NS1_11comp_targetILNS1_3genE3ELNS1_11target_archE908ELNS1_3gpuE7ELNS1_3repE0EEENS1_30default_config_static_selectorELNS0_4arch9wavefront6targetE0EEEvT1_
                                        ; -- End function
	.section	.AMDGPU.csdata,"",@progbits
; Kernel info:
; codeLenInByte = 0
; NumSgprs: 0
; NumVgprs: 0
; ScratchSize: 0
; MemoryBound: 0
; FloatMode: 240
; IeeeMode: 1
; LDSByteSize: 0 bytes/workgroup (compile time only)
; SGPRBlocks: 0
; VGPRBlocks: 0
; NumSGPRsForWavesPerEU: 1
; NumVGPRsForWavesPerEU: 1
; Occupancy: 16
; WaveLimiterHint : 0
; COMPUTE_PGM_RSRC2:SCRATCH_EN: 0
; COMPUTE_PGM_RSRC2:USER_SGPR: 15
; COMPUTE_PGM_RSRC2:TRAP_HANDLER: 0
; COMPUTE_PGM_RSRC2:TGID_X_EN: 1
; COMPUTE_PGM_RSRC2:TGID_Y_EN: 0
; COMPUTE_PGM_RSRC2:TGID_Z_EN: 0
; COMPUTE_PGM_RSRC2:TIDIG_COMP_CNT: 0
	.section	.text._ZN7rocprim17ROCPRIM_400000_NS6detail17trampoline_kernelINS0_14default_configENS1_35adjacent_difference_config_selectorILb1EiEEZNS1_24adjacent_difference_implIS3_Lb1ELb0EPKiPiN6thrust23THRUST_200600_302600_NS4plusIiEEEE10hipError_tPvRmT2_T3_mT4_P12ihipStream_tbEUlT_E_NS1_11comp_targetILNS1_3genE2ELNS1_11target_archE906ELNS1_3gpuE6ELNS1_3repE0EEENS1_30default_config_static_selectorELNS0_4arch9wavefront6targetE0EEEvT1_,"axG",@progbits,_ZN7rocprim17ROCPRIM_400000_NS6detail17trampoline_kernelINS0_14default_configENS1_35adjacent_difference_config_selectorILb1EiEEZNS1_24adjacent_difference_implIS3_Lb1ELb0EPKiPiN6thrust23THRUST_200600_302600_NS4plusIiEEEE10hipError_tPvRmT2_T3_mT4_P12ihipStream_tbEUlT_E_NS1_11comp_targetILNS1_3genE2ELNS1_11target_archE906ELNS1_3gpuE6ELNS1_3repE0EEENS1_30default_config_static_selectorELNS0_4arch9wavefront6targetE0EEEvT1_,comdat
	.protected	_ZN7rocprim17ROCPRIM_400000_NS6detail17trampoline_kernelINS0_14default_configENS1_35adjacent_difference_config_selectorILb1EiEEZNS1_24adjacent_difference_implIS3_Lb1ELb0EPKiPiN6thrust23THRUST_200600_302600_NS4plusIiEEEE10hipError_tPvRmT2_T3_mT4_P12ihipStream_tbEUlT_E_NS1_11comp_targetILNS1_3genE2ELNS1_11target_archE906ELNS1_3gpuE6ELNS1_3repE0EEENS1_30default_config_static_selectorELNS0_4arch9wavefront6targetE0EEEvT1_ ; -- Begin function _ZN7rocprim17ROCPRIM_400000_NS6detail17trampoline_kernelINS0_14default_configENS1_35adjacent_difference_config_selectorILb1EiEEZNS1_24adjacent_difference_implIS3_Lb1ELb0EPKiPiN6thrust23THRUST_200600_302600_NS4plusIiEEEE10hipError_tPvRmT2_T3_mT4_P12ihipStream_tbEUlT_E_NS1_11comp_targetILNS1_3genE2ELNS1_11target_archE906ELNS1_3gpuE6ELNS1_3repE0EEENS1_30default_config_static_selectorELNS0_4arch9wavefront6targetE0EEEvT1_
	.globl	_ZN7rocprim17ROCPRIM_400000_NS6detail17trampoline_kernelINS0_14default_configENS1_35adjacent_difference_config_selectorILb1EiEEZNS1_24adjacent_difference_implIS3_Lb1ELb0EPKiPiN6thrust23THRUST_200600_302600_NS4plusIiEEEE10hipError_tPvRmT2_T3_mT4_P12ihipStream_tbEUlT_E_NS1_11comp_targetILNS1_3genE2ELNS1_11target_archE906ELNS1_3gpuE6ELNS1_3repE0EEENS1_30default_config_static_selectorELNS0_4arch9wavefront6targetE0EEEvT1_
	.p2align	8
	.type	_ZN7rocprim17ROCPRIM_400000_NS6detail17trampoline_kernelINS0_14default_configENS1_35adjacent_difference_config_selectorILb1EiEEZNS1_24adjacent_difference_implIS3_Lb1ELb0EPKiPiN6thrust23THRUST_200600_302600_NS4plusIiEEEE10hipError_tPvRmT2_T3_mT4_P12ihipStream_tbEUlT_E_NS1_11comp_targetILNS1_3genE2ELNS1_11target_archE906ELNS1_3gpuE6ELNS1_3repE0EEENS1_30default_config_static_selectorELNS0_4arch9wavefront6targetE0EEEvT1_,@function
_ZN7rocprim17ROCPRIM_400000_NS6detail17trampoline_kernelINS0_14default_configENS1_35adjacent_difference_config_selectorILb1EiEEZNS1_24adjacent_difference_implIS3_Lb1ELb0EPKiPiN6thrust23THRUST_200600_302600_NS4plusIiEEEE10hipError_tPvRmT2_T3_mT4_P12ihipStream_tbEUlT_E_NS1_11comp_targetILNS1_3genE2ELNS1_11target_archE906ELNS1_3gpuE6ELNS1_3repE0EEENS1_30default_config_static_selectorELNS0_4arch9wavefront6targetE0EEEvT1_: ; @_ZN7rocprim17ROCPRIM_400000_NS6detail17trampoline_kernelINS0_14default_configENS1_35adjacent_difference_config_selectorILb1EiEEZNS1_24adjacent_difference_implIS3_Lb1ELb0EPKiPiN6thrust23THRUST_200600_302600_NS4plusIiEEEE10hipError_tPvRmT2_T3_mT4_P12ihipStream_tbEUlT_E_NS1_11comp_targetILNS1_3genE2ELNS1_11target_archE906ELNS1_3gpuE6ELNS1_3repE0EEENS1_30default_config_static_selectorELNS0_4arch9wavefront6targetE0EEEvT1_
; %bb.0:
	.section	.rodata,"a",@progbits
	.p2align	6, 0x0
	.amdhsa_kernel _ZN7rocprim17ROCPRIM_400000_NS6detail17trampoline_kernelINS0_14default_configENS1_35adjacent_difference_config_selectorILb1EiEEZNS1_24adjacent_difference_implIS3_Lb1ELb0EPKiPiN6thrust23THRUST_200600_302600_NS4plusIiEEEE10hipError_tPvRmT2_T3_mT4_P12ihipStream_tbEUlT_E_NS1_11comp_targetILNS1_3genE2ELNS1_11target_archE906ELNS1_3gpuE6ELNS1_3repE0EEENS1_30default_config_static_selectorELNS0_4arch9wavefront6targetE0EEEvT1_
		.amdhsa_group_segment_fixed_size 0
		.amdhsa_private_segment_fixed_size 0
		.amdhsa_kernarg_size 56
		.amdhsa_user_sgpr_count 15
		.amdhsa_user_sgpr_dispatch_ptr 0
		.amdhsa_user_sgpr_queue_ptr 0
		.amdhsa_user_sgpr_kernarg_segment_ptr 1
		.amdhsa_user_sgpr_dispatch_id 0
		.amdhsa_user_sgpr_private_segment_size 0
		.amdhsa_wavefront_size32 1
		.amdhsa_uses_dynamic_stack 0
		.amdhsa_enable_private_segment 0
		.amdhsa_system_sgpr_workgroup_id_x 1
		.amdhsa_system_sgpr_workgroup_id_y 0
		.amdhsa_system_sgpr_workgroup_id_z 0
		.amdhsa_system_sgpr_workgroup_info 0
		.amdhsa_system_vgpr_workitem_id 0
		.amdhsa_next_free_vgpr 1
		.amdhsa_next_free_sgpr 1
		.amdhsa_reserve_vcc 0
		.amdhsa_float_round_mode_32 0
		.amdhsa_float_round_mode_16_64 0
		.amdhsa_float_denorm_mode_32 3
		.amdhsa_float_denorm_mode_16_64 3
		.amdhsa_dx10_clamp 1
		.amdhsa_ieee_mode 1
		.amdhsa_fp16_overflow 0
		.amdhsa_workgroup_processor_mode 1
		.amdhsa_memory_ordered 1
		.amdhsa_forward_progress 0
		.amdhsa_shared_vgpr_count 0
		.amdhsa_exception_fp_ieee_invalid_op 0
		.amdhsa_exception_fp_denorm_src 0
		.amdhsa_exception_fp_ieee_div_zero 0
		.amdhsa_exception_fp_ieee_overflow 0
		.amdhsa_exception_fp_ieee_underflow 0
		.amdhsa_exception_fp_ieee_inexact 0
		.amdhsa_exception_int_div_zero 0
	.end_amdhsa_kernel
	.section	.text._ZN7rocprim17ROCPRIM_400000_NS6detail17trampoline_kernelINS0_14default_configENS1_35adjacent_difference_config_selectorILb1EiEEZNS1_24adjacent_difference_implIS3_Lb1ELb0EPKiPiN6thrust23THRUST_200600_302600_NS4plusIiEEEE10hipError_tPvRmT2_T3_mT4_P12ihipStream_tbEUlT_E_NS1_11comp_targetILNS1_3genE2ELNS1_11target_archE906ELNS1_3gpuE6ELNS1_3repE0EEENS1_30default_config_static_selectorELNS0_4arch9wavefront6targetE0EEEvT1_,"axG",@progbits,_ZN7rocprim17ROCPRIM_400000_NS6detail17trampoline_kernelINS0_14default_configENS1_35adjacent_difference_config_selectorILb1EiEEZNS1_24adjacent_difference_implIS3_Lb1ELb0EPKiPiN6thrust23THRUST_200600_302600_NS4plusIiEEEE10hipError_tPvRmT2_T3_mT4_P12ihipStream_tbEUlT_E_NS1_11comp_targetILNS1_3genE2ELNS1_11target_archE906ELNS1_3gpuE6ELNS1_3repE0EEENS1_30default_config_static_selectorELNS0_4arch9wavefront6targetE0EEEvT1_,comdat
.Lfunc_end745:
	.size	_ZN7rocprim17ROCPRIM_400000_NS6detail17trampoline_kernelINS0_14default_configENS1_35adjacent_difference_config_selectorILb1EiEEZNS1_24adjacent_difference_implIS3_Lb1ELb0EPKiPiN6thrust23THRUST_200600_302600_NS4plusIiEEEE10hipError_tPvRmT2_T3_mT4_P12ihipStream_tbEUlT_E_NS1_11comp_targetILNS1_3genE2ELNS1_11target_archE906ELNS1_3gpuE6ELNS1_3repE0EEENS1_30default_config_static_selectorELNS0_4arch9wavefront6targetE0EEEvT1_, .Lfunc_end745-_ZN7rocprim17ROCPRIM_400000_NS6detail17trampoline_kernelINS0_14default_configENS1_35adjacent_difference_config_selectorILb1EiEEZNS1_24adjacent_difference_implIS3_Lb1ELb0EPKiPiN6thrust23THRUST_200600_302600_NS4plusIiEEEE10hipError_tPvRmT2_T3_mT4_P12ihipStream_tbEUlT_E_NS1_11comp_targetILNS1_3genE2ELNS1_11target_archE906ELNS1_3gpuE6ELNS1_3repE0EEENS1_30default_config_static_selectorELNS0_4arch9wavefront6targetE0EEEvT1_
                                        ; -- End function
	.section	.AMDGPU.csdata,"",@progbits
; Kernel info:
; codeLenInByte = 0
; NumSgprs: 0
; NumVgprs: 0
; ScratchSize: 0
; MemoryBound: 0
; FloatMode: 240
; IeeeMode: 1
; LDSByteSize: 0 bytes/workgroup (compile time only)
; SGPRBlocks: 0
; VGPRBlocks: 0
; NumSGPRsForWavesPerEU: 1
; NumVGPRsForWavesPerEU: 1
; Occupancy: 16
; WaveLimiterHint : 0
; COMPUTE_PGM_RSRC2:SCRATCH_EN: 0
; COMPUTE_PGM_RSRC2:USER_SGPR: 15
; COMPUTE_PGM_RSRC2:TRAP_HANDLER: 0
; COMPUTE_PGM_RSRC2:TGID_X_EN: 1
; COMPUTE_PGM_RSRC2:TGID_Y_EN: 0
; COMPUTE_PGM_RSRC2:TGID_Z_EN: 0
; COMPUTE_PGM_RSRC2:TIDIG_COMP_CNT: 0
	.section	.text._ZN7rocprim17ROCPRIM_400000_NS6detail17trampoline_kernelINS0_14default_configENS1_35adjacent_difference_config_selectorILb1EiEEZNS1_24adjacent_difference_implIS3_Lb1ELb0EPKiPiN6thrust23THRUST_200600_302600_NS4plusIiEEEE10hipError_tPvRmT2_T3_mT4_P12ihipStream_tbEUlT_E_NS1_11comp_targetILNS1_3genE9ELNS1_11target_archE1100ELNS1_3gpuE3ELNS1_3repE0EEENS1_30default_config_static_selectorELNS0_4arch9wavefront6targetE0EEEvT1_,"axG",@progbits,_ZN7rocprim17ROCPRIM_400000_NS6detail17trampoline_kernelINS0_14default_configENS1_35adjacent_difference_config_selectorILb1EiEEZNS1_24adjacent_difference_implIS3_Lb1ELb0EPKiPiN6thrust23THRUST_200600_302600_NS4plusIiEEEE10hipError_tPvRmT2_T3_mT4_P12ihipStream_tbEUlT_E_NS1_11comp_targetILNS1_3genE9ELNS1_11target_archE1100ELNS1_3gpuE3ELNS1_3repE0EEENS1_30default_config_static_selectorELNS0_4arch9wavefront6targetE0EEEvT1_,comdat
	.protected	_ZN7rocprim17ROCPRIM_400000_NS6detail17trampoline_kernelINS0_14default_configENS1_35adjacent_difference_config_selectorILb1EiEEZNS1_24adjacent_difference_implIS3_Lb1ELb0EPKiPiN6thrust23THRUST_200600_302600_NS4plusIiEEEE10hipError_tPvRmT2_T3_mT4_P12ihipStream_tbEUlT_E_NS1_11comp_targetILNS1_3genE9ELNS1_11target_archE1100ELNS1_3gpuE3ELNS1_3repE0EEENS1_30default_config_static_selectorELNS0_4arch9wavefront6targetE0EEEvT1_ ; -- Begin function _ZN7rocprim17ROCPRIM_400000_NS6detail17trampoline_kernelINS0_14default_configENS1_35adjacent_difference_config_selectorILb1EiEEZNS1_24adjacent_difference_implIS3_Lb1ELb0EPKiPiN6thrust23THRUST_200600_302600_NS4plusIiEEEE10hipError_tPvRmT2_T3_mT4_P12ihipStream_tbEUlT_E_NS1_11comp_targetILNS1_3genE9ELNS1_11target_archE1100ELNS1_3gpuE3ELNS1_3repE0EEENS1_30default_config_static_selectorELNS0_4arch9wavefront6targetE0EEEvT1_
	.globl	_ZN7rocprim17ROCPRIM_400000_NS6detail17trampoline_kernelINS0_14default_configENS1_35adjacent_difference_config_selectorILb1EiEEZNS1_24adjacent_difference_implIS3_Lb1ELb0EPKiPiN6thrust23THRUST_200600_302600_NS4plusIiEEEE10hipError_tPvRmT2_T3_mT4_P12ihipStream_tbEUlT_E_NS1_11comp_targetILNS1_3genE9ELNS1_11target_archE1100ELNS1_3gpuE3ELNS1_3repE0EEENS1_30default_config_static_selectorELNS0_4arch9wavefront6targetE0EEEvT1_
	.p2align	8
	.type	_ZN7rocprim17ROCPRIM_400000_NS6detail17trampoline_kernelINS0_14default_configENS1_35adjacent_difference_config_selectorILb1EiEEZNS1_24adjacent_difference_implIS3_Lb1ELb0EPKiPiN6thrust23THRUST_200600_302600_NS4plusIiEEEE10hipError_tPvRmT2_T3_mT4_P12ihipStream_tbEUlT_E_NS1_11comp_targetILNS1_3genE9ELNS1_11target_archE1100ELNS1_3gpuE3ELNS1_3repE0EEENS1_30default_config_static_selectorELNS0_4arch9wavefront6targetE0EEEvT1_,@function
_ZN7rocprim17ROCPRIM_400000_NS6detail17trampoline_kernelINS0_14default_configENS1_35adjacent_difference_config_selectorILb1EiEEZNS1_24adjacent_difference_implIS3_Lb1ELb0EPKiPiN6thrust23THRUST_200600_302600_NS4plusIiEEEE10hipError_tPvRmT2_T3_mT4_P12ihipStream_tbEUlT_E_NS1_11comp_targetILNS1_3genE9ELNS1_11target_archE1100ELNS1_3gpuE3ELNS1_3repE0EEENS1_30default_config_static_selectorELNS0_4arch9wavefront6targetE0EEEvT1_: ; @_ZN7rocprim17ROCPRIM_400000_NS6detail17trampoline_kernelINS0_14default_configENS1_35adjacent_difference_config_selectorILb1EiEEZNS1_24adjacent_difference_implIS3_Lb1ELb0EPKiPiN6thrust23THRUST_200600_302600_NS4plusIiEEEE10hipError_tPvRmT2_T3_mT4_P12ihipStream_tbEUlT_E_NS1_11comp_targetILNS1_3genE9ELNS1_11target_archE1100ELNS1_3gpuE3ELNS1_3repE0EEENS1_30default_config_static_selectorELNS0_4arch9wavefront6targetE0EEEvT1_
; %bb.0:
	s_load_b256 s[36:43], s[0:1], 0x0
	s_mov_b32 s2, 0x411a7a30
	s_mov_b32 s8, s15
	s_delay_alu instid0(SALU_CYCLE_1) | instskip(SKIP_2) | instid1(SALU_CYCLE_1)
	s_mul_i32 s30, s8, 0xe80
	s_waitcnt lgkmcnt(0)
	s_lshl_b64 s[34:35], s[38:39], 2
	s_add_u32 s14, s36, s34
	s_addc_u32 s15, s37, s35
	s_add_u32 s2, 0x76, s2
	s_addc_u32 s3, 0, 0
	v_add_co_u32 v1, s2, 0x20000000, s2
	s_delay_alu instid0(VALU_DEP_1) | instskip(SKIP_1) | instid1(VALU_DEP_1)
	s_cmp_lg_u32 s2, 0
	s_addc_u32 s3, s3, 0x11a7b9
	v_readfirstlane_b32 s2, v1
	s_mul_i32 s4, s3, 0xfffff180
	s_delay_alu instid0(VALU_DEP_1)
	s_mul_hi_u32 s5, s2, 0xfffff180
	s_mul_i32 s6, s2, 0xfffff180
	s_sub_i32 s5, s5, s2
	s_mul_hi_u32 s7, s2, s6
	s_add_i32 s5, s5, s4
	s_mul_hi_u32 s9, s3, s6
	s_mul_i32 s4, s3, s6
	s_mul_hi_u32 s6, s2, s5
	s_mul_i32 s2, s2, s5
	s_mul_hi_u32 s10, s3, s5
	s_add_u32 s2, s7, s2
	s_addc_u32 s6, 0, s6
	s_add_u32 s2, s2, s4
	s_mul_i32 s5, s3, s5
	s_addc_u32 s2, s6, s9
	s_addc_u32 s4, s10, 0
	s_add_u32 s2, s2, s5
	s_addc_u32 s4, 0, s4
	v_add_co_u32 v1, s2, v1, s2
	s_delay_alu instid0(VALU_DEP_1) | instskip(SKIP_1) | instid1(VALU_DEP_1)
	s_cmp_lg_u32 s2, 0
	s_addc_u32 s2, s3, s4
	v_readfirstlane_b32 s3, v1
	s_mul_i32 s5, s42, s2
	s_mul_hi_u32 s4, s42, s2
	s_mul_hi_u32 s6, s43, s2
	s_mul_i32 s2, s43, s2
	s_mul_hi_u32 s7, s42, s3
	s_mul_hi_u32 s9, s43, s3
	s_mul_i32 s3, s43, s3
	s_add_u32 s5, s7, s5
	s_addc_u32 s4, 0, s4
	s_add_u32 s3, s5, s3
	s_addc_u32 s3, s4, s9
	s_addc_u32 s4, s6, 0
	s_add_u32 s5, s3, s2
	s_addc_u32 s4, 0, s4
	s_mul_i32 s3, s5, 0xe80
	s_add_u32 s2, s5, 1
	v_sub_co_u32 v1, s3, s42, s3
	s_mul_hi_u32 s6, s5, 0xe80
	s_addc_u32 s7, s4, 0
	s_mul_i32 s9, s4, 0xe80
	s_delay_alu instid0(VALU_DEP_1)
	v_subrev_co_u32 v2, s10, 0xe80, v1
	s_add_u32 s11, s5, 2
	s_addc_u32 s12, s4, 0
	s_add_i32 s6, s6, s9
	s_cmp_lg_u32 s3, 0
	v_readfirstlane_b32 s3, v2
	s_subb_u32 s6, s43, s6
	s_cmp_lg_u32 s10, 0
	s_subb_u32 s9, s6, 0
	s_delay_alu instid0(VALU_DEP_1) | instskip(SKIP_4) | instid1(SALU_CYCLE_1)
	s_cmpk_gt_u32 s3, 0xe7f
	s_cselect_b32 s3, -1, 0
	s_cmp_eq_u32 s9, 0
	v_readfirstlane_b32 s9, v1
	s_cselect_b32 s3, s3, -1
	s_cmp_lg_u32 s3, 0
	s_cselect_b32 s10, s11, s2
	s_cselect_b32 s7, s12, s7
	s_cmpk_gt_u32 s9, 0xe7f
	s_mov_b32 s12, -1
	s_cselect_b32 s2, -1, 0
	s_cmp_eq_u32 s6, 0
	s_cselect_b32 s2, s2, -1
	s_delay_alu instid0(SALU_CYCLE_1)
	s_cmp_lg_u32 s2, 0
	s_load_b128 s[0:3], s[0:1], 0x28
	s_cselect_b32 s6, s7, s4
	s_cselect_b32 s7, s10, s5
	s_mul_i32 s4, s6, 0xe80
	s_mul_hi_u32 s5, s7, 0xe80
	s_mul_i32 s9, s7, 0xe80
	s_add_i32 s5, s5, s4
	s_sub_u32 s4, s42, s9
	s_subb_u32 s5, s43, s5
	s_mov_b32 s9, 0
	s_cmp_lg_u64 s[4:5], 0
	s_cselect_b32 s4, -1, 0
	s_delay_alu instid0(SALU_CYCLE_1) | instskip(NEXT) | instid1(VALU_DEP_1)
	v_cndmask_b32_e64 v1, 0, 1, s4
	v_readfirstlane_b32 s4, v1
	s_delay_alu instid0(VALU_DEP_1)
	s_add_u32 s4, s7, s4
	s_addc_u32 s5, s6, 0
	s_waitcnt lgkmcnt(0)
	s_add_u32 s6, s2, s8
	s_addc_u32 s7, s3, 0
	s_add_u32 s10, s4, -1
	s_addc_u32 s11, s5, -1
	s_mul_i32 s29, s10, 0xfffff180
	v_cmp_ge_u64_e64 s33, s[6:7], s[10:11]
	s_delay_alu instid0(VALU_DEP_1)
	s_and_b32 vcc_lo, exec_lo, s33
	s_cbranch_vccz .LBB746_60
; %bb.1:
	s_mov_b32 s31, s9
	s_add_i32 s16, s29, s42
	s_lshl_b64 s[12:13], s[30:31], 2
	s_mov_b32 s17, exec_lo
	s_add_u32 s12, s14, s12
	s_addc_u32 s13, s15, s13
                                        ; implicit-def: $vgpr1
	v_cmpx_gt_u32_e64 s16, v0
	s_cbranch_execz .LBB746_3
; %bb.2:
	v_lshlrev_b32_e32 v1, 2, v0
	global_load_b32 v1, v1, s[12:13]
.LBB746_3:
	s_or_b32 exec_lo, exec_lo, s17
	v_or_b32_e32 v2, 0x80, v0
	s_delay_alu instid0(VALU_DEP_1)
	v_cmp_gt_u32_e32 vcc_lo, s16, v2
                                        ; implicit-def: $vgpr2
	s_and_saveexec_b32 s17, vcc_lo
	s_cbranch_execz .LBB746_5
; %bb.4:
	v_lshlrev_b32_e32 v2, 2, v0
	global_load_b32 v2, v2, s[12:13] offset:512
.LBB746_5:
	s_or_b32 exec_lo, exec_lo, s17
	v_or_b32_e32 v3, 0x100, v0
	s_delay_alu instid0(VALU_DEP_1)
	v_cmp_gt_u32_e32 vcc_lo, s16, v3
                                        ; implicit-def: $vgpr3
	s_and_saveexec_b32 s17, vcc_lo
	s_cbranch_execz .LBB746_7
; %bb.6:
	v_lshlrev_b32_e32 v3, 2, v0
	global_load_b32 v3, v3, s[12:13] offset:1024
.LBB746_7:
	s_or_b32 exec_lo, exec_lo, s17
	v_or_b32_e32 v4, 0x180, v0
	s_delay_alu instid0(VALU_DEP_1)
	v_cmp_gt_u32_e32 vcc_lo, s16, v4
                                        ; implicit-def: $vgpr4
	s_and_saveexec_b32 s17, vcc_lo
	s_cbranch_execz .LBB746_9
; %bb.8:
	v_lshlrev_b32_e32 v4, 2, v0
	global_load_b32 v4, v4, s[12:13] offset:1536
.LBB746_9:
	s_or_b32 exec_lo, exec_lo, s17
	v_or_b32_e32 v5, 0x200, v0
	s_delay_alu instid0(VALU_DEP_1)
	v_cmp_gt_u32_e32 vcc_lo, s16, v5
                                        ; implicit-def: $vgpr5
	s_and_saveexec_b32 s17, vcc_lo
	s_cbranch_execz .LBB746_11
; %bb.10:
	v_lshlrev_b32_e32 v5, 2, v0
	global_load_b32 v5, v5, s[12:13] offset:2048
.LBB746_11:
	s_or_b32 exec_lo, exec_lo, s17
	v_or_b32_e32 v6, 0x280, v0
	s_delay_alu instid0(VALU_DEP_1)
	v_cmp_gt_u32_e32 vcc_lo, s16, v6
                                        ; implicit-def: $vgpr6
	s_and_saveexec_b32 s17, vcc_lo
	s_cbranch_execz .LBB746_13
; %bb.12:
	v_lshlrev_b32_e32 v6, 2, v0
	global_load_b32 v6, v6, s[12:13] offset:2560
.LBB746_13:
	s_or_b32 exec_lo, exec_lo, s17
	v_or_b32_e32 v7, 0x300, v0
	s_delay_alu instid0(VALU_DEP_1)
	v_cmp_gt_u32_e32 vcc_lo, s16, v7
                                        ; implicit-def: $vgpr7
	s_and_saveexec_b32 s17, vcc_lo
	s_cbranch_execz .LBB746_15
; %bb.14:
	v_lshlrev_b32_e32 v7, 2, v0
	global_load_b32 v7, v7, s[12:13] offset:3072
.LBB746_15:
	s_or_b32 exec_lo, exec_lo, s17
	v_or_b32_e32 v8, 0x380, v0
	s_delay_alu instid0(VALU_DEP_1)
	v_cmp_gt_u32_e32 vcc_lo, s16, v8
                                        ; implicit-def: $vgpr8
	s_and_saveexec_b32 s17, vcc_lo
	s_cbranch_execz .LBB746_17
; %bb.16:
	v_lshlrev_b32_e32 v8, 2, v0
	global_load_b32 v8, v8, s[12:13] offset:3584
.LBB746_17:
	s_or_b32 exec_lo, exec_lo, s17
	v_or_b32_e32 v10, 0x400, v0
	s_mov_b32 s17, exec_lo
                                        ; implicit-def: $vgpr9
	s_delay_alu instid0(VALU_DEP_1)
	v_cmpx_gt_u32_e64 s16, v10
	s_cbranch_execz .LBB746_19
; %bb.18:
	v_lshlrev_b32_e32 v9, 2, v10
	global_load_b32 v9, v9, s[12:13]
.LBB746_19:
	s_or_b32 exec_lo, exec_lo, s17
	v_or_b32_e32 v11, 0x480, v0
	s_mov_b32 s17, exec_lo
                                        ; implicit-def: $vgpr10
	s_delay_alu instid0(VALU_DEP_1)
	v_cmpx_gt_u32_e64 s16, v11
	s_cbranch_execz .LBB746_21
; %bb.20:
	v_lshlrev_b32_e32 v10, 2, v11
	global_load_b32 v10, v10, s[12:13]
.LBB746_21:
	s_or_b32 exec_lo, exec_lo, s17
	v_or_b32_e32 v12, 0x500, v0
	s_mov_b32 s17, exec_lo
                                        ; implicit-def: $vgpr11
	s_delay_alu instid0(VALU_DEP_1)
	v_cmpx_gt_u32_e64 s16, v12
	s_cbranch_execz .LBB746_23
; %bb.22:
	v_lshlrev_b32_e32 v11, 2, v12
	global_load_b32 v11, v11, s[12:13]
.LBB746_23:
	s_or_b32 exec_lo, exec_lo, s17
	v_or_b32_e32 v13, 0x580, v0
	s_mov_b32 s17, exec_lo
                                        ; implicit-def: $vgpr12
	s_delay_alu instid0(VALU_DEP_1)
	v_cmpx_gt_u32_e64 s16, v13
	s_cbranch_execz .LBB746_25
; %bb.24:
	v_lshlrev_b32_e32 v12, 2, v13
	global_load_b32 v12, v12, s[12:13]
.LBB746_25:
	s_or_b32 exec_lo, exec_lo, s17
	v_or_b32_e32 v14, 0x600, v0
	s_mov_b32 s17, exec_lo
                                        ; implicit-def: $vgpr13
	s_delay_alu instid0(VALU_DEP_1)
	v_cmpx_gt_u32_e64 s16, v14
	s_cbranch_execz .LBB746_27
; %bb.26:
	v_lshlrev_b32_e32 v13, 2, v14
	global_load_b32 v13, v13, s[12:13]
.LBB746_27:
	s_or_b32 exec_lo, exec_lo, s17
	v_or_b32_e32 v15, 0x680, v0
	s_mov_b32 s17, exec_lo
                                        ; implicit-def: $vgpr14
	s_delay_alu instid0(VALU_DEP_1)
	v_cmpx_gt_u32_e64 s16, v15
	s_cbranch_execz .LBB746_29
; %bb.28:
	v_lshlrev_b32_e32 v14, 2, v15
	global_load_b32 v14, v14, s[12:13]
.LBB746_29:
	s_or_b32 exec_lo, exec_lo, s17
	v_or_b32_e32 v16, 0x700, v0
	s_mov_b32 s17, exec_lo
                                        ; implicit-def: $vgpr15
	s_delay_alu instid0(VALU_DEP_1)
	v_cmpx_gt_u32_e64 s16, v16
	s_cbranch_execz .LBB746_31
; %bb.30:
	v_lshlrev_b32_e32 v15, 2, v16
	global_load_b32 v15, v15, s[12:13]
.LBB746_31:
	s_or_b32 exec_lo, exec_lo, s17
	v_or_b32_e32 v17, 0x780, v0
	s_mov_b32 s17, exec_lo
                                        ; implicit-def: $vgpr16
	s_delay_alu instid0(VALU_DEP_1)
	v_cmpx_gt_u32_e64 s16, v17
	s_cbranch_execz .LBB746_33
; %bb.32:
	v_lshlrev_b32_e32 v16, 2, v17
	global_load_b32 v16, v16, s[12:13]
.LBB746_33:
	s_or_b32 exec_lo, exec_lo, s17
	v_or_b32_e32 v18, 0x800, v0
	s_mov_b32 s17, exec_lo
                                        ; implicit-def: $vgpr17
	s_delay_alu instid0(VALU_DEP_1)
	v_cmpx_gt_u32_e64 s16, v18
	s_cbranch_execz .LBB746_35
; %bb.34:
	v_lshlrev_b32_e32 v17, 2, v18
	global_load_b32 v17, v17, s[12:13]
.LBB746_35:
	s_or_b32 exec_lo, exec_lo, s17
	v_or_b32_e32 v19, 0x880, v0
	s_mov_b32 s17, exec_lo
                                        ; implicit-def: $vgpr18
	s_delay_alu instid0(VALU_DEP_1)
	v_cmpx_gt_u32_e64 s16, v19
	s_cbranch_execz .LBB746_37
; %bb.36:
	v_lshlrev_b32_e32 v18, 2, v19
	global_load_b32 v18, v18, s[12:13]
.LBB746_37:
	s_or_b32 exec_lo, exec_lo, s17
	v_or_b32_e32 v20, 0x900, v0
	s_mov_b32 s17, exec_lo
                                        ; implicit-def: $vgpr19
	s_delay_alu instid0(VALU_DEP_1)
	v_cmpx_gt_u32_e64 s16, v20
	s_cbranch_execz .LBB746_39
; %bb.38:
	v_lshlrev_b32_e32 v19, 2, v20
	global_load_b32 v19, v19, s[12:13]
.LBB746_39:
	s_or_b32 exec_lo, exec_lo, s17
	v_or_b32_e32 v21, 0x980, v0
	s_mov_b32 s17, exec_lo
                                        ; implicit-def: $vgpr20
	s_delay_alu instid0(VALU_DEP_1)
	v_cmpx_gt_u32_e64 s16, v21
	s_cbranch_execz .LBB746_41
; %bb.40:
	v_lshlrev_b32_e32 v20, 2, v21
	global_load_b32 v20, v20, s[12:13]
.LBB746_41:
	s_or_b32 exec_lo, exec_lo, s17
	v_or_b32_e32 v22, 0xa00, v0
	s_mov_b32 s17, exec_lo
                                        ; implicit-def: $vgpr21
	s_delay_alu instid0(VALU_DEP_1)
	v_cmpx_gt_u32_e64 s16, v22
	s_cbranch_execz .LBB746_43
; %bb.42:
	v_lshlrev_b32_e32 v21, 2, v22
	global_load_b32 v21, v21, s[12:13]
.LBB746_43:
	s_or_b32 exec_lo, exec_lo, s17
	v_or_b32_e32 v23, 0xa80, v0
	s_mov_b32 s17, exec_lo
                                        ; implicit-def: $vgpr22
	s_delay_alu instid0(VALU_DEP_1)
	v_cmpx_gt_u32_e64 s16, v23
	s_cbranch_execz .LBB746_45
; %bb.44:
	v_lshlrev_b32_e32 v22, 2, v23
	global_load_b32 v22, v22, s[12:13]
.LBB746_45:
	s_or_b32 exec_lo, exec_lo, s17
	v_or_b32_e32 v24, 0xb00, v0
	s_mov_b32 s17, exec_lo
                                        ; implicit-def: $vgpr23
	s_delay_alu instid0(VALU_DEP_1)
	v_cmpx_gt_u32_e64 s16, v24
	s_cbranch_execz .LBB746_47
; %bb.46:
	v_lshlrev_b32_e32 v23, 2, v24
	global_load_b32 v23, v23, s[12:13]
.LBB746_47:
	s_or_b32 exec_lo, exec_lo, s17
	v_or_b32_e32 v25, 0xb80, v0
	s_mov_b32 s17, exec_lo
                                        ; implicit-def: $vgpr24
	s_delay_alu instid0(VALU_DEP_1)
	v_cmpx_gt_u32_e64 s16, v25
	s_cbranch_execz .LBB746_49
; %bb.48:
	v_lshlrev_b32_e32 v24, 2, v25
	global_load_b32 v24, v24, s[12:13]
.LBB746_49:
	s_or_b32 exec_lo, exec_lo, s17
	v_or_b32_e32 v26, 0xc00, v0
	s_mov_b32 s17, exec_lo
                                        ; implicit-def: $vgpr25
	s_delay_alu instid0(VALU_DEP_1)
	v_cmpx_gt_u32_e64 s16, v26
	s_cbranch_execz .LBB746_51
; %bb.50:
	v_lshlrev_b32_e32 v25, 2, v26
	global_load_b32 v25, v25, s[12:13]
.LBB746_51:
	s_or_b32 exec_lo, exec_lo, s17
	v_or_b32_e32 v27, 0xc80, v0
	s_mov_b32 s17, exec_lo
                                        ; implicit-def: $vgpr26
	s_delay_alu instid0(VALU_DEP_1)
	v_cmpx_gt_u32_e64 s16, v27
	s_cbranch_execz .LBB746_53
; %bb.52:
	v_lshlrev_b32_e32 v26, 2, v27
	global_load_b32 v26, v26, s[12:13]
.LBB746_53:
	s_or_b32 exec_lo, exec_lo, s17
	v_or_b32_e32 v28, 0xd00, v0
	s_mov_b32 s17, exec_lo
                                        ; implicit-def: $vgpr27
	s_delay_alu instid0(VALU_DEP_1)
	v_cmpx_gt_u32_e64 s16, v28
	s_cbranch_execz .LBB746_55
; %bb.54:
	v_lshlrev_b32_e32 v27, 2, v28
	global_load_b32 v27, v27, s[12:13]
.LBB746_55:
	s_or_b32 exec_lo, exec_lo, s17
	v_or_b32_e32 v29, 0xd80, v0
	s_mov_b32 s17, exec_lo
                                        ; implicit-def: $vgpr28
	s_delay_alu instid0(VALU_DEP_1)
	v_cmpx_gt_u32_e64 s16, v29
	s_cbranch_execz .LBB746_57
; %bb.56:
	v_lshlrev_b32_e32 v28, 2, v29
	global_load_b32 v28, v28, s[12:13]
.LBB746_57:
	s_or_b32 exec_lo, exec_lo, s17
	v_or_b32_e32 v30, 0xe00, v0
                                        ; implicit-def: $vgpr29
	s_delay_alu instid0(VALU_DEP_1)
	v_cmp_gt_u32_e32 vcc_lo, s16, v30
	s_and_saveexec_b32 s16, vcc_lo
	s_cbranch_execz .LBB746_59
; %bb.58:
	v_lshlrev_b32_e32 v29, 2, v30
	global_load_b32 v29, v29, s[12:13]
.LBB746_59:
	s_or_b32 exec_lo, exec_lo, s16
	v_lshlrev_b32_e32 v30, 2, v0
	s_mov_b32 s12, 0
	s_waitcnt vmcnt(0)
	ds_store_2addr_stride64_b32 v30, v1, v2 offset1:2
	ds_store_2addr_stride64_b32 v30, v3, v4 offset0:4 offset1:6
	ds_store_2addr_stride64_b32 v30, v5, v6 offset0:8 offset1:10
	;; [unrolled: 1-line block ×13, first 2 shown]
	ds_store_b32 v30, v29 offset:14336
	s_waitcnt lgkmcnt(0)
	s_barrier
.LBB746_60:
	v_lshlrev_b32_e32 v31, 2, v0
	s_and_b32 vcc_lo, exec_lo, s12
	s_cbranch_vccz .LBB746_62
; %bb.61:
	s_mov_b32 s31, 0
	s_delay_alu instid0(SALU_CYCLE_1) | instskip(NEXT) | instid1(SALU_CYCLE_1)
	s_lshl_b64 s[12:13], s[30:31], 2
	s_add_u32 s12, s14, s12
	s_addc_u32 s13, s15, s13
	v_add_co_u32 v7, s14, s12, v31
	s_delay_alu instid0(VALU_DEP_1)
	v_add_co_ci_u32_e64 v8, null, s13, 0, s14
	s_clause 0x6
	global_load_b32 v9, v31, s[12:13] offset:512
	global_load_b32 v10, v31, s[12:13] offset:1024
	;; [unrolled: 1-line block ×7, first 2 shown]
	v_add_co_u32 v1, vcc_lo, v7, 0x2000
	v_add_co_ci_u32_e32 v2, vcc_lo, 0, v8, vcc_lo
	v_add_co_u32 v3, vcc_lo, 0x1000, v7
	v_add_co_ci_u32_e32 v4, vcc_lo, 0, v8, vcc_lo
	;; [unrolled: 2-line block ×3, first 2 shown]
	s_clause 0xa
	global_load_b32 v16, v[1:2], off offset:-4096
	global_load_b32 v17, v31, s[12:13]
	global_load_b32 v18, v[1:2], off
	global_load_b32 v19, v[3:4], off offset:512
	global_load_b32 v20, v[3:4], off offset:1024
	;; [unrolled: 1-line block ×8, first 2 shown]
	v_add_co_u32 v1, vcc_lo, 0x3000, v7
	v_add_co_ci_u32_e32 v2, vcc_lo, 0, v8, vcc_lo
	s_clause 0xa
	global_load_b32 v7, v[5:6], off offset:1024
	global_load_b32 v8, v[5:6], off offset:1536
	;; [unrolled: 1-line block ×6, first 2 shown]
	global_load_b32 v6, v[1:2], off
	global_load_b32 v28, v[1:2], off offset:512
	global_load_b32 v29, v[1:2], off offset:1024
	;; [unrolled: 1-line block ×4, first 2 shown]
	s_waitcnt vmcnt(20)
	ds_store_2addr_stride64_b32 v31, v17, v9 offset1:2
	ds_store_2addr_stride64_b32 v31, v10, v11 offset0:4 offset1:6
	ds_store_2addr_stride64_b32 v31, v12, v13 offset0:8 offset1:10
	;; [unrolled: 1-line block ×3, first 2 shown]
	s_waitcnt vmcnt(18)
	ds_store_2addr_stride64_b32 v31, v16, v19 offset0:16 offset1:18
	s_waitcnt vmcnt(16)
	ds_store_2addr_stride64_b32 v31, v20, v21 offset0:20 offset1:22
	;; [unrolled: 2-line block ×10, first 2 shown]
	s_waitcnt vmcnt(0)
	ds_store_b32 v31, v1 offset:14336
	s_waitcnt lgkmcnt(0)
	s_barrier
.LBB746_62:
	v_mul_u32_u24_e32 v1, 29, v0
	buffer_gl0_inv
	s_cmp_eq_u64 s[6:7], 0
	v_lshlrev_b32_e32 v27, 2, v1
	ds_load_b32 v29, v27 offset:112
	ds_load_2addr_b32 v[1:2], v27 offset0:26 offset1:27
	ds_load_2addr_b32 v[3:4], v27 offset0:24 offset1:25
	ds_load_2addr_b32 v[5:6], v27 offset1:1
	ds_load_2addr_b32 v[7:8], v27 offset0:2 offset1:3
	ds_load_2addr_b32 v[9:10], v27 offset0:4 offset1:5
	;; [unrolled: 1-line block ×11, first 2 shown]
	s_waitcnt lgkmcnt(0)
	s_barrier
	buffer_gl0_inv
	s_cbranch_scc1 .LBB746_67
; %bb.63:
	s_lshl_b64 s[2:3], s[2:3], 2
	s_delay_alu instid0(SALU_CYCLE_1) | instskip(SKIP_2) | instid1(SALU_CYCLE_1)
	s_add_u32 s2, s0, s2
	s_addc_u32 s3, s1, s3
	s_lshl_b64 s[0:1], s[8:9], 2
	s_add_u32 s0, s2, s0
	s_addc_u32 s1, s3, s1
	s_add_u32 s0, s0, -4
	s_addc_u32 s1, s1, -1
	s_cmp_eq_u64 s[6:7], s[10:11]
	s_load_b32 s0, s[0:1], 0x0
	s_cbranch_scc1 .LBB746_68
; %bb.64:
	s_waitcnt lgkmcnt(0)
	v_mov_b32_e32 v30, s0
	s_mov_b32 s1, 0
	s_mov_b32 s2, exec_lo
	ds_store_b32 v31, v29
	s_waitcnt lgkmcnt(0)
	s_barrier
	buffer_gl0_inv
	v_cmpx_ne_u32_e32 0, v0
	s_cbranch_execz .LBB746_66
; %bb.65:
	v_add_nc_u32_e32 v30, -4, v31
	ds_load_b32 v30, v30
.LBB746_66:
	s_or_b32 exec_lo, exec_lo, s2
	s_waitcnt lgkmcnt(0)
	v_add_nc_u32_e32 v32, v30, v5
	s_branch .LBB746_69
.LBB746_67:
                                        ; implicit-def: $vgpr32
                                        ; implicit-def: $vgpr34
                                        ; implicit-def: $vgpr35
                                        ; implicit-def: $vgpr36
                                        ; implicit-def: $vgpr37
                                        ; implicit-def: $vgpr38
                                        ; implicit-def: $vgpr39
                                        ; implicit-def: $vgpr40
                                        ; implicit-def: $vgpr41
                                        ; implicit-def: $vgpr42
                                        ; implicit-def: $vgpr43
                                        ; implicit-def: $vgpr45
                                        ; implicit-def: $vgpr46
                                        ; implicit-def: $vgpr49
                                        ; implicit-def: $vgpr50
                                        ; implicit-def: $vgpr52
                                        ; implicit-def: $vgpr53
                                        ; implicit-def: $vgpr54
                                        ; implicit-def: $vgpr55
                                        ; implicit-def: $vgpr56
                                        ; implicit-def: $vgpr57
                                        ; implicit-def: $vgpr58
                                        ; implicit-def: $vgpr59
                                        ; implicit-def: $vgpr51
                                        ; implicit-def: $vgpr44
                                        ; implicit-def: $vgpr47
                                        ; implicit-def: $vgpr48
                                        ; implicit-def: $vgpr30
                                        ; implicit-def: $vgpr33
	s_branch .LBB746_74
.LBB746_68:
	s_mov_b32 s1, -1
                                        ; implicit-def: $vgpr32
.LBB746_69:
	v_dual_mov_b32 v34, v5 :: v_dual_mov_b32 v35, v6
	v_dual_mov_b32 v36, v7 :: v_dual_mov_b32 v37, v8
	;; [unrolled: 1-line block ×14, first 2 shown]
	s_and_b32 vcc_lo, exec_lo, s1
	s_cbranch_vccz .LBB746_73
; %bb.70:
	v_mul_u32_u24_e32 v32, 29, v0
	s_waitcnt lgkmcnt(0)
	v_mov_b32_e32 v34, s0
	s_mov_b32 s0, exec_lo
	ds_store_b32 v31, v29
	s_waitcnt lgkmcnt(0)
	s_barrier
	buffer_gl0_inv
	v_cmpx_ne_u32_e32 0, v0
	s_cbranch_execz .LBB746_72
; %bb.71:
	v_add_nc_u32_e32 v30, -4, v31
	ds_load_b32 v34, v30
.LBB746_72:
	s_or_b32 exec_lo, exec_lo, s0
	v_add_nc_u32_e32 v30, 28, v32
	s_mul_i32 s0, s6, 0xfffff180
	v_add_nc_u32_e32 v35, 27, v32
	s_add_i32 s0, s0, s42
	v_add_nc_u32_e32 v36, 26, v32
	v_cmp_gt_u32_e32 vcc_lo, s0, v30
	v_add_nc_u32_e32 v37, 24, v32
	v_add_nc_u32_e32 v60, 2, v32
	;; [unrolled: 1-line block ×3, first 2 shown]
	v_cndmask_b32_e32 v33, 0, v2, vcc_lo
	v_cmp_gt_u32_e32 vcc_lo, s0, v35
	v_dual_cndmask_b32 v30, 0, v1 :: v_dual_add_nc_u32 v35, 25, v32
	v_cmp_gt_u32_e32 vcc_lo, s0, v36
	v_add_nc_u32_e32 v36, 23, v32
	v_cndmask_b32_e32 v48, 0, v4, vcc_lo
	s_delay_alu instid0(VALU_DEP_4)
	v_cmp_gt_u32_e32 vcc_lo, s0, v35
	v_add_nc_u32_e32 v35, 22, v32
	v_cndmask_b32_e32 v47, 0, v3, vcc_lo
	v_cmp_gt_u32_e32 vcc_lo, s0, v37
	v_add_nc_u32_e32 v37, 20, v32
	v_cndmask_b32_e32 v44, 0, v28, vcc_lo
	v_cmp_gt_u32_e32 vcc_lo, s0, v36
	v_dual_cndmask_b32 v51, 0, v27 :: v_dual_add_nc_u32 v36, 21, v32
	v_cmp_gt_u32_e32 vcc_lo, s0, v35
	v_add_nc_u32_e32 v35, 19, v32
	v_cndmask_b32_e32 v59, 0, v26, vcc_lo
	s_delay_alu instid0(VALU_DEP_4)
	v_cmp_gt_u32_e32 vcc_lo, s0, v36
	v_add_nc_u32_e32 v36, 18, v32
	v_cndmask_b32_e32 v58, 0, v25, vcc_lo
	v_cmp_gt_u32_e32 vcc_lo, s0, v37
	v_add_nc_u32_e32 v37, 16, v32
	v_cndmask_b32_e32 v57, 0, v24, vcc_lo
	v_cmp_gt_u32_e32 vcc_lo, s0, v35
	v_dual_cndmask_b32 v56, 0, v23 :: v_dual_add_nc_u32 v35, 17, v32
	v_cmp_gt_u32_e32 vcc_lo, s0, v36
	v_dual_cndmask_b32 v55, 0, v22 :: v_dual_add_nc_u32 v36, 15, v32
	s_delay_alu instid0(VALU_DEP_3)
	v_cmp_gt_u32_e32 vcc_lo, s0, v35
	v_dual_cndmask_b32 v54, 0, v21 :: v_dual_add_nc_u32 v35, 14, v32
	v_cmp_gt_u32_e32 vcc_lo, s0, v37
	v_add_nc_u32_e32 v37, 12, v32
	v_cndmask_b32_e32 v53, 0, v20, vcc_lo
	v_cmp_gt_u32_e32 vcc_lo, s0, v36
	v_add_nc_u32_e32 v36, 13, v32
	v_cndmask_b32_e32 v52, 0, v19, vcc_lo
	v_cmp_gt_u32_e32 vcc_lo, s0, v35
	v_dual_cndmask_b32 v50, 0, v18 :: v_dual_add_nc_u32 v35, 11, v32
	s_delay_alu instid0(VALU_DEP_4)
	v_cmp_gt_u32_e32 vcc_lo, s0, v36
	v_dual_cndmask_b32 v49, 0, v17 :: v_dual_add_nc_u32 v36, 10, v32
	v_cmp_gt_u32_e32 vcc_lo, s0, v37
	v_add_nc_u32_e32 v37, 8, v32
	v_cndmask_b32_e32 v46, 0, v16, vcc_lo
	v_cmp_gt_u32_e32 vcc_lo, s0, v35
	v_add_nc_u32_e32 v35, 9, v32
	v_cndmask_b32_e32 v45, 0, v15, vcc_lo
	v_cmp_gt_u32_e32 vcc_lo, s0, v36
	v_dual_cndmask_b32 v43, 0, v14 :: v_dual_add_nc_u32 v36, 7, v32
	s_delay_alu instid0(VALU_DEP_4)
	v_cmp_gt_u32_e32 vcc_lo, s0, v35
	v_dual_cndmask_b32 v42, 0, v13 :: v_dual_add_nc_u32 v35, 6, v32
	v_cmp_gt_u32_e32 vcc_lo, s0, v37
	v_add_nc_u32_e32 v37, 4, v32
	v_cndmask_b32_e32 v41, 0, v12, vcc_lo
	v_cmp_gt_u32_e32 vcc_lo, s0, v36
	v_add_nc_u32_e32 v36, 5, v32
	v_cndmask_b32_e32 v40, 0, v11, vcc_lo
	;; [unrolled: 3-line block ×3, first 2 shown]
	v_cmp_gt_u32_e32 vcc_lo, s0, v36
	v_cndmask_b32_e32 v38, 0, v9, vcc_lo
	v_cmp_gt_u32_e32 vcc_lo, s0, v37
	v_cndmask_b32_e32 v37, 0, v8, vcc_lo
	;; [unrolled: 2-line block ×3, first 2 shown]
	v_cmp_gt_u32_e32 vcc_lo, s0, v32
	s_waitcnt lgkmcnt(0)
	v_cndmask_b32_e32 v32, 0, v34, vcc_lo
	v_cmp_gt_u32_e32 vcc_lo, s0, v60
	s_delay_alu instid0(VALU_DEP_2)
	v_dual_cndmask_b32 v35, 0, v6 :: v_dual_add_nc_u32 v32, v32, v5
	v_cmp_gt_u32_e32 vcc_lo, s0, v61
	v_cndmask_b32_e32 v34, 0, v5, vcc_lo
.LBB746_73:
	s_waitcnt lgkmcnt(0)
	s_cbranch_execnz .LBB746_84
.LBB746_74:
	v_cmp_ne_u32_e32 vcc_lo, 0, v0
	s_cmp_eq_u64 s[4:5], 1
	s_cbranch_scc1 .LBB746_78
; %bb.75:
	v_mov_b32_e32 v32, v5
	s_mov_b32 s0, 0
	ds_store_b32 v31, v29
	s_waitcnt lgkmcnt(0)
	s_barrier
	buffer_gl0_inv
	s_and_saveexec_b32 s1, vcc_lo
	s_cbranch_execz .LBB746_77
; %bb.76:
	v_add_nc_u32_e32 v30, -4, v31
	ds_load_b32 v30, v30
	s_waitcnt lgkmcnt(0)
	v_add_nc_u32_e32 v32, v30, v5
.LBB746_77:
	s_or_b32 exec_lo, exec_lo, s1
	s_branch .LBB746_79
.LBB746_78:
	s_mov_b32 s0, -1
                                        ; implicit-def: $vgpr32
.LBB746_79:
	v_dual_mov_b32 v35, v6 :: v_dual_mov_b32 v36, v7
	v_dual_mov_b32 v37, v8 :: v_dual_mov_b32 v38, v9
	;; [unrolled: 1-line block ×13, first 2 shown]
	v_mov_b32_e32 v33, v2
	s_and_not1_b32 vcc_lo, exec_lo, s0
	s_cbranch_vccnz .LBB746_83
; %bb.80:
	v_mad_u32_u24 v30, v0, 29, 28
	v_mad_u32_u24 v32, v0, 29, 27
	;; [unrolled: 1-line block ×4, first 2 shown]
	v_mul_u32_u24_e32 v33, 29, v0
	v_cmp_gt_u32_e32 vcc_lo, s42, v30
	v_mad_u32_u24 v30, v0, 29, 25
	v_cmp_gt_u32_e64 s0, s42, v32
	v_mad_u32_u24 v32, v0, 29, 24
	v_cmp_gt_u32_e64 s1, s42, v34
	;; [unrolled: 2-line block ×5, first 2 shown]
	v_cmp_gt_u32_e64 s5, s42, v35
	v_cmp_gt_u32_e64 s6, s42, v30
	v_mad_u32_u24 v30, v0, 29, 18
	v_cmp_gt_u32_e64 s7, s42, v32
	v_mad_u32_u24 v32, v0, 29, 16
	v_mad_u32_u24 v34, v0, 29, 19
	;; [unrolled: 1-line block ×3, first 2 shown]
	v_cmp_gt_u32_e64 s9, s42, v30
	v_mad_u32_u24 v30, v0, 29, 15
	v_cmp_gt_u32_e64 s11, s42, v32
	v_mad_u32_u24 v32, v0, 29, 13
	v_cmp_gt_u32_e64 s8, s42, v34
	v_cmp_gt_u32_e64 s10, s42, v35
	;; [unrolled: 1-line block ×3, first 2 shown]
	v_mad_u32_u24 v30, v0, 29, 11
	v_mad_u32_u24 v34, v0, 29, 14
	;; [unrolled: 1-line block ×3, first 2 shown]
	v_cmp_gt_u32_e64 s14, s42, v32
	v_mad_u32_u24 v32, v0, 29, 10
	v_cmp_gt_u32_e64 s16, s42, v30
	v_mad_u32_u24 v30, v0, 29, 8
	v_cmp_gt_u32_e64 s13, s42, v34
	v_cmp_gt_u32_e64 s15, s42, v35
	v_mad_u32_u24 v34, v0, 29, 9
	v_mad_u32_u24 v35, v0, 29, 7
	v_cmp_gt_u32_e64 s17, s42, v32
	v_mad_u32_u24 v32, v0, 29, 6
	v_cmp_gt_u32_e64 s19, s42, v30
	;; [unrolled: 2-line block ×3, first 2 shown]
	v_cmp_gt_u32_e64 s20, s42, v35
	v_mad_u32_u24 v34, v0, 29, 4
	v_cmp_gt_u32_e64 s21, s42, v32
	v_mad_u32_u24 v32, v0, 29, 3
	v_mad_u32_u24 v35, v0, 29, 2
	v_cmp_gt_u32_e64 s22, s42, v30
	v_mad_u32_u24 v30, v0, 29, 1
	v_cmp_ne_u32_e64 s27, 0, v0
	v_cmp_gt_u32_e64 s28, s42, v33
	v_cmp_gt_u32_e64 s23, s42, v34
	;; [unrolled: 1-line block ×5, first 2 shown]
	v_mov_b32_e32 v32, v5
	s_and_b32 s28, s27, s28
	ds_store_b32 v31, v29
	s_waitcnt lgkmcnt(0)
	s_barrier
	buffer_gl0_inv
	s_and_saveexec_b32 s27, s28
	s_cbranch_execz .LBB746_82
; %bb.81:
	v_add_nc_u32_e32 v30, -4, v31
	ds_load_b32 v30, v30
	s_waitcnt lgkmcnt(0)
	v_add_nc_u32_e32 v32, v30, v5
.LBB746_82:
	s_or_b32 exec_lo, exec_lo, s27
	v_cndmask_b32_e32 v33, 0, v2, vcc_lo
	v_cndmask_b32_e64 v30, 0, v1, s0
	v_cndmask_b32_e64 v48, 0, v4, s1
	;; [unrolled: 1-line block ×27, first 2 shown]
.LBB746_83:
	s_delay_alu instid0(VALU_DEP_1)
	v_mov_b32_e32 v34, v5
.LBB746_84:
	s_delay_alu instid0(VALU_DEP_2) | instskip(NEXT) | instid1(VALU_DEP_2)
	v_add_nc_u32_e32 v33, v33, v29
	v_add_nc_u32_e32 v34, v34, v6
	;; [unrolled: 1-line block ×28, first 2 shown]
	v_mul_u32_u24_e32 v61, 0x74, v0
	v_mul_i32_i24_e32 v62, 0xffffff90, v0
	s_add_u32 s1, s40, s34
	s_addc_u32 s0, s41, s35
	s_and_b32 vcc_lo, exec_lo, s33
	s_barrier
	buffer_gl0_inv
	s_cbranch_vccz .LBB746_142
; %bb.85:
	v_mad_u32_u24 v1, 0x74, v0, v62
	ds_store_2addr_b32 v61, v32, v34 offset1:1
	ds_store_2addr_b32 v61, v35, v36 offset0:2 offset1:3
	ds_store_2addr_b32 v61, v37, v38 offset0:4 offset1:5
	;; [unrolled: 1-line block ×13, first 2 shown]
	ds_store_b32 v61, v33 offset:112
	s_waitcnt lgkmcnt(0)
	s_barrier
	buffer_gl0_inv
	ds_load_2addr_stride64_b32 v[29:30], v1 offset0:2 offset1:4
	ds_load_2addr_stride64_b32 v[27:28], v1 offset0:6 offset1:8
	;; [unrolled: 1-line block ×14, first 2 shown]
	s_mov_b32 s31, 0
	s_add_i32 s29, s29, s42
	s_lshl_b64 s[2:3], s[30:31], 2
	s_delay_alu instid0(SALU_CYCLE_1) | instskip(SKIP_2) | instid1(VALU_DEP_1)
	s_add_u32 s2, s1, s2
	s_addc_u32 s3, s0, s3
	v_add_co_u32 v3, s2, s2, v31
	v_add_co_ci_u32_e64 v4, null, s3, 0, s2
	s_mov_b32 s2, exec_lo
	v_cmpx_gt_u32_e64 s29, v0
	s_cbranch_execz .LBB746_87
; %bb.86:
	v_add_nc_u32_e32 v63, v61, v62
	ds_load_b32 v63, v63
	s_waitcnt lgkmcnt(0)
	global_store_b32 v[3:4], v63, off
.LBB746_87:
	s_or_b32 exec_lo, exec_lo, s2
	v_or_b32_e32 v63, 0x80, v0
	s_mov_b32 s2, exec_lo
	s_delay_alu instid0(VALU_DEP_1)
	v_cmpx_gt_u32_e64 s29, v63
	s_cbranch_execz .LBB746_89
; %bb.88:
	s_waitcnt lgkmcnt(13)
	global_store_b32 v[3:4], v29, off offset:512
.LBB746_89:
	s_or_b32 exec_lo, exec_lo, s2
	s_waitcnt lgkmcnt(13)
	v_or_b32_e32 v29, 0x100, v0
	s_mov_b32 s2, exec_lo
	s_delay_alu instid0(VALU_DEP_1)
	v_cmpx_gt_u32_e64 s29, v29
	s_cbranch_execz .LBB746_91
; %bb.90:
	global_store_b32 v[3:4], v30, off offset:1024
.LBB746_91:
	s_or_b32 exec_lo, exec_lo, s2
	v_or_b32_e32 v29, 0x180, v0
	s_mov_b32 s2, exec_lo
	s_delay_alu instid0(VALU_DEP_1)
	v_cmpx_gt_u32_e64 s29, v29
	s_cbranch_execz .LBB746_93
; %bb.92:
	s_waitcnt lgkmcnt(12)
	global_store_b32 v[3:4], v27, off offset:1536
.LBB746_93:
	s_or_b32 exec_lo, exec_lo, s2
	s_waitcnt lgkmcnt(12)
	v_or_b32_e32 v27, 0x200, v0
	s_mov_b32 s2, exec_lo
	s_delay_alu instid0(VALU_DEP_1)
	v_cmpx_gt_u32_e64 s29, v27
	s_cbranch_execz .LBB746_95
; %bb.94:
	global_store_b32 v[3:4], v28, off offset:2048
.LBB746_95:
	;; [unrolled: 20-line block ×3, first 2 shown]
	s_or_b32 exec_lo, exec_lo, s2
	v_or_b32_e32 v25, 0x380, v0
	s_mov_b32 s2, exec_lo
	s_delay_alu instid0(VALU_DEP_1)
	v_cmpx_gt_u32_e64 s29, v25
	s_cbranch_execz .LBB746_101
; %bb.100:
	s_waitcnt lgkmcnt(10)
	global_store_b32 v[3:4], v23, off offset:3584
.LBB746_101:
	s_or_b32 exec_lo, exec_lo, s2
	s_waitcnt lgkmcnt(10)
	v_or_b32_e32 v23, 0x400, v0
	s_mov_b32 s2, exec_lo
	s_delay_alu instid0(VALU_DEP_1)
	v_cmpx_gt_u32_e64 s29, v23
	s_cbranch_execz .LBB746_103
; %bb.102:
	v_add_co_u32 v25, vcc_lo, 0x1000, v3
	v_add_co_ci_u32_e32 v26, vcc_lo, 0, v4, vcc_lo
	global_store_b32 v[25:26], v24, off
.LBB746_103:
	s_or_b32 exec_lo, exec_lo, s2
	v_or_b32_e32 v23, 0x480, v0
	s_mov_b32 s2, exec_lo
	s_delay_alu instid0(VALU_DEP_1)
	v_cmpx_gt_u32_e64 s29, v23
	s_cbranch_execz .LBB746_105
; %bb.104:
	v_add_co_u32 v23, vcc_lo, 0x1000, v3
	v_add_co_ci_u32_e32 v24, vcc_lo, 0, v4, vcc_lo
	s_waitcnt lgkmcnt(9)
	global_store_b32 v[23:24], v21, off offset:512
.LBB746_105:
	s_or_b32 exec_lo, exec_lo, s2
	s_waitcnt lgkmcnt(9)
	v_or_b32_e32 v21, 0x500, v0
	s_mov_b32 s2, exec_lo
	s_delay_alu instid0(VALU_DEP_1)
	v_cmpx_gt_u32_e64 s29, v21
	s_cbranch_execz .LBB746_107
; %bb.106:
	v_add_co_u32 v23, vcc_lo, 0x1000, v3
	v_add_co_ci_u32_e32 v24, vcc_lo, 0, v4, vcc_lo
	global_store_b32 v[23:24], v22, off offset:1024
.LBB746_107:
	s_or_b32 exec_lo, exec_lo, s2
	v_or_b32_e32 v21, 0x580, v0
	s_mov_b32 s2, exec_lo
	s_delay_alu instid0(VALU_DEP_1)
	v_cmpx_gt_u32_e64 s29, v21
	s_cbranch_execz .LBB746_109
; %bb.108:
	v_add_co_u32 v21, vcc_lo, 0x1000, v3
	v_add_co_ci_u32_e32 v22, vcc_lo, 0, v4, vcc_lo
	s_waitcnt lgkmcnt(8)
	global_store_b32 v[21:22], v19, off offset:1536
.LBB746_109:
	s_or_b32 exec_lo, exec_lo, s2
	s_waitcnt lgkmcnt(8)
	v_or_b32_e32 v19, 0x600, v0
	s_mov_b32 s2, exec_lo
	s_delay_alu instid0(VALU_DEP_1)
	v_cmpx_gt_u32_e64 s29, v19
	s_cbranch_execz .LBB746_111
; %bb.110:
	v_add_co_u32 v21, vcc_lo, 0x1000, v3
	v_add_co_ci_u32_e32 v22, vcc_lo, 0, v4, vcc_lo
	global_store_b32 v[21:22], v20, off offset:2048
.LBB746_111:
	;; [unrolled: 24-line block ×3, first 2 shown]
	s_or_b32 exec_lo, exec_lo, s2
	v_or_b32_e32 v17, 0x780, v0
	s_mov_b32 s2, exec_lo
	s_delay_alu instid0(VALU_DEP_1)
	v_cmpx_gt_u32_e64 s29, v17
	s_cbranch_execz .LBB746_117
; %bb.116:
	v_add_co_u32 v17, vcc_lo, 0x1000, v3
	v_add_co_ci_u32_e32 v18, vcc_lo, 0, v4, vcc_lo
	s_waitcnt lgkmcnt(6)
	global_store_b32 v[17:18], v15, off offset:3584
.LBB746_117:
	s_or_b32 exec_lo, exec_lo, s2
	s_waitcnt lgkmcnt(6)
	v_or_b32_e32 v15, 0x800, v0
	s_mov_b32 s2, exec_lo
	s_delay_alu instid0(VALU_DEP_1)
	v_cmpx_gt_u32_e64 s29, v15
	s_cbranch_execz .LBB746_119
; %bb.118:
	v_add_co_u32 v17, vcc_lo, 0x2000, v3
	v_add_co_ci_u32_e32 v18, vcc_lo, 0, v4, vcc_lo
	global_store_b32 v[17:18], v16, off
.LBB746_119:
	s_or_b32 exec_lo, exec_lo, s2
	v_or_b32_e32 v15, 0x880, v0
	s_mov_b32 s2, exec_lo
	s_delay_alu instid0(VALU_DEP_1)
	v_cmpx_gt_u32_e64 s29, v15
	s_cbranch_execz .LBB746_121
; %bb.120:
	v_add_co_u32 v15, vcc_lo, 0x2000, v3
	v_add_co_ci_u32_e32 v16, vcc_lo, 0, v4, vcc_lo
	s_waitcnt lgkmcnt(5)
	global_store_b32 v[15:16], v13, off offset:512
.LBB746_121:
	s_or_b32 exec_lo, exec_lo, s2
	s_waitcnt lgkmcnt(5)
	v_or_b32_e32 v13, 0x900, v0
	s_mov_b32 s2, exec_lo
	s_delay_alu instid0(VALU_DEP_1)
	v_cmpx_gt_u32_e64 s29, v13
	s_cbranch_execz .LBB746_123
; %bb.122:
	v_add_co_u32 v15, vcc_lo, 0x2000, v3
	v_add_co_ci_u32_e32 v16, vcc_lo, 0, v4, vcc_lo
	global_store_b32 v[15:16], v14, off offset:1024
.LBB746_123:
	s_or_b32 exec_lo, exec_lo, s2
	v_or_b32_e32 v13, 0x980, v0
	s_mov_b32 s2, exec_lo
	s_delay_alu instid0(VALU_DEP_1)
	v_cmpx_gt_u32_e64 s29, v13
	s_cbranch_execz .LBB746_125
; %bb.124:
	v_add_co_u32 v13, vcc_lo, 0x2000, v3
	v_add_co_ci_u32_e32 v14, vcc_lo, 0, v4, vcc_lo
	s_waitcnt lgkmcnt(4)
	global_store_b32 v[13:14], v11, off offset:1536
.LBB746_125:
	s_or_b32 exec_lo, exec_lo, s2
	s_waitcnt lgkmcnt(4)
	v_or_b32_e32 v11, 0xa00, v0
	s_mov_b32 s2, exec_lo
	s_delay_alu instid0(VALU_DEP_1)
	v_cmpx_gt_u32_e64 s29, v11
	s_cbranch_execz .LBB746_127
; %bb.126:
	v_add_co_u32 v13, vcc_lo, 0x2000, v3
	v_add_co_ci_u32_e32 v14, vcc_lo, 0, v4, vcc_lo
	global_store_b32 v[13:14], v12, off offset:2048
.LBB746_127:
	;; [unrolled: 24-line block ×3, first 2 shown]
	s_or_b32 exec_lo, exec_lo, s2
	v_or_b32_e32 v9, 0xb80, v0
	s_mov_b32 s2, exec_lo
	s_delay_alu instid0(VALU_DEP_1)
	v_cmpx_gt_u32_e64 s29, v9
	s_cbranch_execz .LBB746_133
; %bb.132:
	v_add_co_u32 v9, vcc_lo, 0x2000, v3
	v_add_co_ci_u32_e32 v10, vcc_lo, 0, v4, vcc_lo
	s_waitcnt lgkmcnt(2)
	global_store_b32 v[9:10], v7, off offset:3584
.LBB746_133:
	s_or_b32 exec_lo, exec_lo, s2
	s_waitcnt lgkmcnt(2)
	v_or_b32_e32 v7, 0xc00, v0
	s_mov_b32 s2, exec_lo
	s_delay_alu instid0(VALU_DEP_1)
	v_cmpx_gt_u32_e64 s29, v7
	s_cbranch_execz .LBB746_135
; %bb.134:
	v_add_co_u32 v9, vcc_lo, 0x3000, v3
	v_add_co_ci_u32_e32 v10, vcc_lo, 0, v4, vcc_lo
	global_store_b32 v[9:10], v8, off
.LBB746_135:
	s_or_b32 exec_lo, exec_lo, s2
	v_or_b32_e32 v7, 0xc80, v0
	s_mov_b32 s2, exec_lo
	s_delay_alu instid0(VALU_DEP_1)
	v_cmpx_gt_u32_e64 s29, v7
	s_cbranch_execz .LBB746_137
; %bb.136:
	v_add_co_u32 v7, vcc_lo, 0x3000, v3
	v_add_co_ci_u32_e32 v8, vcc_lo, 0, v4, vcc_lo
	s_waitcnt lgkmcnt(1)
	global_store_b32 v[7:8], v5, off offset:512
.LBB746_137:
	s_or_b32 exec_lo, exec_lo, s2
	s_waitcnt lgkmcnt(1)
	v_or_b32_e32 v5, 0xd00, v0
	s_mov_b32 s2, exec_lo
	s_delay_alu instid0(VALU_DEP_1)
	v_cmpx_gt_u32_e64 s29, v5
	s_cbranch_execz .LBB746_139
; %bb.138:
	v_add_co_u32 v7, vcc_lo, 0x3000, v3
	v_add_co_ci_u32_e32 v8, vcc_lo, 0, v4, vcc_lo
	global_store_b32 v[7:8], v6, off offset:1024
.LBB746_139:
	s_or_b32 exec_lo, exec_lo, s2
	v_or_b32_e32 v5, 0xd80, v0
	s_mov_b32 s2, exec_lo
	s_delay_alu instid0(VALU_DEP_1)
	v_cmpx_gt_u32_e64 s29, v5
	s_cbranch_execz .LBB746_141
; %bb.140:
	v_add_co_u32 v5, vcc_lo, 0x3000, v3
	v_add_co_ci_u32_e32 v6, vcc_lo, 0, v4, vcc_lo
	s_waitcnt lgkmcnt(0)
	global_store_b32 v[5:6], v1, off offset:1536
.LBB746_141:
	s_or_b32 exec_lo, exec_lo, s2
	s_waitcnt lgkmcnt(0)
	v_or_b32_e32 v1, 0xe00, v0
	s_delay_alu instid0(VALU_DEP_1)
	v_cmp_gt_u32_e64 s2, s29, v1
	s_branch .LBB746_144
.LBB746_142:
	s_mov_b32 s2, 0
                                        ; implicit-def: $vgpr2
                                        ; implicit-def: $vgpr3_vgpr4
	s_cbranch_execz .LBB746_144
; %bb.143:
	v_mad_u32_u24 v2, 0x74, v0, v62
	ds_store_2addr_b32 v61, v32, v34 offset1:1
	ds_store_2addr_b32 v61, v35, v36 offset0:2 offset1:3
	ds_store_2addr_b32 v61, v37, v38 offset0:4 offset1:5
	;; [unrolled: 1-line block ×13, first 2 shown]
	ds_store_b32 v61, v33 offset:112
	s_waitcnt lgkmcnt(0)
	s_waitcnt_vscnt null, 0x0
	s_barrier
	buffer_gl0_inv
	ds_load_2addr_stride64_b32 v[0:1], v2 offset1:2
	ds_load_2addr_stride64_b32 v[5:6], v2 offset0:4 offset1:6
	s_mov_b32 s31, 0
	ds_load_2addr_stride64_b32 v[7:8], v2 offset0:8 offset1:10
	ds_load_2addr_stride64_b32 v[9:10], v2 offset0:12 offset1:14
	ds_load_2addr_stride64_b32 v[11:12], v2 offset0:16 offset1:18
	ds_load_2addr_stride64_b32 v[13:14], v2 offset0:20 offset1:22
	ds_load_2addr_stride64_b32 v[15:16], v2 offset0:24 offset1:26
	ds_load_2addr_stride64_b32 v[17:18], v2 offset0:28 offset1:30
	ds_load_2addr_stride64_b32 v[19:20], v2 offset0:32 offset1:34
	ds_load_2addr_stride64_b32 v[21:22], v2 offset0:36 offset1:38
	ds_load_2addr_stride64_b32 v[23:24], v2 offset0:40 offset1:42
	ds_load_2addr_stride64_b32 v[25:26], v2 offset0:44 offset1:46
	ds_load_2addr_stride64_b32 v[27:28], v2 offset0:48 offset1:50
	ds_load_2addr_stride64_b32 v[29:30], v2 offset0:52 offset1:54
	ds_load_b32 v2, v2 offset:14336
	s_lshl_b64 s[4:5], s[30:31], 2
	s_delay_alu instid0(SALU_CYCLE_1) | instskip(SKIP_2) | instid1(VALU_DEP_1)
	s_add_u32 s4, s1, s4
	s_addc_u32 s5, s0, s5
	v_add_co_u32 v3, s0, s4, v31
	v_add_co_ci_u32_e64 v4, null, s5, 0, s0
	s_or_b32 s2, s2, exec_lo
	s_waitcnt lgkmcnt(14)
	global_store_b32 v31, v1, s[4:5] offset:512
	s_waitcnt lgkmcnt(13)
	s_clause 0x1
	global_store_b32 v31, v5, s[4:5] offset:1024
	global_store_b32 v31, v6, s[4:5] offset:1536
	s_waitcnt lgkmcnt(12)
	s_clause 0x1
	global_store_b32 v31, v7, s[4:5] offset:2048
	;; [unrolled: 4-line block ×3, first 2 shown]
	global_store_b32 v31, v10, s[4:5] offset:3584
	v_add_co_u32 v5, vcc_lo, v3, 0x2000
	v_add_co_ci_u32_e32 v6, vcc_lo, 0, v4, vcc_lo
	v_add_co_u32 v7, vcc_lo, 0x3000, v3
	v_add_co_ci_u32_e32 v8, vcc_lo, 0, v4, vcc_lo
	;; [unrolled: 2-line block ×3, first 2 shown]
	v_add_co_u32 v32, vcc_lo, 0x2000, v3
	s_waitcnt lgkmcnt(1)
	s_clause 0x1
	global_store_b32 v[7:8], v29, off offset:1024
	global_store_b32 v[5:6], v11, off offset:-4096
	v_add_co_ci_u32_e32 v33, vcc_lo, 0, v4, vcc_lo
	s_clause 0x12
	global_store_b32 v31, v0, s[4:5]
	global_store_b32 v[5:6], v19, off
	global_store_b32 v[9:10], v12, off offset:512
	global_store_b32 v[9:10], v13, off offset:1024
	;; [unrolled: 1-line block ×14, first 2 shown]
	global_store_b32 v[7:8], v27, off
	global_store_b32 v[7:8], v28, off offset:512
	global_store_b32 v[7:8], v30, off offset:1536
.LBB746_144:
	s_delay_alu instid0(VALU_DEP_1)
	s_and_saveexec_b32 s0, s2
	s_cbranch_execnz .LBB746_146
; %bb.145:
	s_nop 0
	s_sendmsg sendmsg(MSG_DEALLOC_VGPRS)
	s_endpgm
.LBB746_146:
	v_add_co_u32 v0, vcc_lo, 0x3000, v3
	v_add_co_ci_u32_e32 v1, vcc_lo, 0, v4, vcc_lo
	s_waitcnt lgkmcnt(0)
	global_store_b32 v[0:1], v2, off offset:2048
	s_nop 0
	s_sendmsg sendmsg(MSG_DEALLOC_VGPRS)
	s_endpgm
	.section	.rodata,"a",@progbits
	.p2align	6, 0x0
	.amdhsa_kernel _ZN7rocprim17ROCPRIM_400000_NS6detail17trampoline_kernelINS0_14default_configENS1_35adjacent_difference_config_selectorILb1EiEEZNS1_24adjacent_difference_implIS3_Lb1ELb0EPKiPiN6thrust23THRUST_200600_302600_NS4plusIiEEEE10hipError_tPvRmT2_T3_mT4_P12ihipStream_tbEUlT_E_NS1_11comp_targetILNS1_3genE9ELNS1_11target_archE1100ELNS1_3gpuE3ELNS1_3repE0EEENS1_30default_config_static_selectorELNS0_4arch9wavefront6targetE0EEEvT1_
		.amdhsa_group_segment_fixed_size 14848
		.amdhsa_private_segment_fixed_size 0
		.amdhsa_kernarg_size 56
		.amdhsa_user_sgpr_count 15
		.amdhsa_user_sgpr_dispatch_ptr 0
		.amdhsa_user_sgpr_queue_ptr 0
		.amdhsa_user_sgpr_kernarg_segment_ptr 1
		.amdhsa_user_sgpr_dispatch_id 0
		.amdhsa_user_sgpr_private_segment_size 0
		.amdhsa_wavefront_size32 1
		.amdhsa_uses_dynamic_stack 0
		.amdhsa_enable_private_segment 0
		.amdhsa_system_sgpr_workgroup_id_x 1
		.amdhsa_system_sgpr_workgroup_id_y 0
		.amdhsa_system_sgpr_workgroup_id_z 0
		.amdhsa_system_sgpr_workgroup_info 0
		.amdhsa_system_vgpr_workitem_id 0
		.amdhsa_next_free_vgpr 64
		.amdhsa_next_free_sgpr 44
		.amdhsa_reserve_vcc 1
		.amdhsa_float_round_mode_32 0
		.amdhsa_float_round_mode_16_64 0
		.amdhsa_float_denorm_mode_32 3
		.amdhsa_float_denorm_mode_16_64 3
		.amdhsa_dx10_clamp 1
		.amdhsa_ieee_mode 1
		.amdhsa_fp16_overflow 0
		.amdhsa_workgroup_processor_mode 1
		.amdhsa_memory_ordered 1
		.amdhsa_forward_progress 0
		.amdhsa_shared_vgpr_count 0
		.amdhsa_exception_fp_ieee_invalid_op 0
		.amdhsa_exception_fp_denorm_src 0
		.amdhsa_exception_fp_ieee_div_zero 0
		.amdhsa_exception_fp_ieee_overflow 0
		.amdhsa_exception_fp_ieee_underflow 0
		.amdhsa_exception_fp_ieee_inexact 0
		.amdhsa_exception_int_div_zero 0
	.end_amdhsa_kernel
	.section	.text._ZN7rocprim17ROCPRIM_400000_NS6detail17trampoline_kernelINS0_14default_configENS1_35adjacent_difference_config_selectorILb1EiEEZNS1_24adjacent_difference_implIS3_Lb1ELb0EPKiPiN6thrust23THRUST_200600_302600_NS4plusIiEEEE10hipError_tPvRmT2_T3_mT4_P12ihipStream_tbEUlT_E_NS1_11comp_targetILNS1_3genE9ELNS1_11target_archE1100ELNS1_3gpuE3ELNS1_3repE0EEENS1_30default_config_static_selectorELNS0_4arch9wavefront6targetE0EEEvT1_,"axG",@progbits,_ZN7rocprim17ROCPRIM_400000_NS6detail17trampoline_kernelINS0_14default_configENS1_35adjacent_difference_config_selectorILb1EiEEZNS1_24adjacent_difference_implIS3_Lb1ELb0EPKiPiN6thrust23THRUST_200600_302600_NS4plusIiEEEE10hipError_tPvRmT2_T3_mT4_P12ihipStream_tbEUlT_E_NS1_11comp_targetILNS1_3genE9ELNS1_11target_archE1100ELNS1_3gpuE3ELNS1_3repE0EEENS1_30default_config_static_selectorELNS0_4arch9wavefront6targetE0EEEvT1_,comdat
.Lfunc_end746:
	.size	_ZN7rocprim17ROCPRIM_400000_NS6detail17trampoline_kernelINS0_14default_configENS1_35adjacent_difference_config_selectorILb1EiEEZNS1_24adjacent_difference_implIS3_Lb1ELb0EPKiPiN6thrust23THRUST_200600_302600_NS4plusIiEEEE10hipError_tPvRmT2_T3_mT4_P12ihipStream_tbEUlT_E_NS1_11comp_targetILNS1_3genE9ELNS1_11target_archE1100ELNS1_3gpuE3ELNS1_3repE0EEENS1_30default_config_static_selectorELNS0_4arch9wavefront6targetE0EEEvT1_, .Lfunc_end746-_ZN7rocprim17ROCPRIM_400000_NS6detail17trampoline_kernelINS0_14default_configENS1_35adjacent_difference_config_selectorILb1EiEEZNS1_24adjacent_difference_implIS3_Lb1ELb0EPKiPiN6thrust23THRUST_200600_302600_NS4plusIiEEEE10hipError_tPvRmT2_T3_mT4_P12ihipStream_tbEUlT_E_NS1_11comp_targetILNS1_3genE9ELNS1_11target_archE1100ELNS1_3gpuE3ELNS1_3repE0EEENS1_30default_config_static_selectorELNS0_4arch9wavefront6targetE0EEEvT1_
                                        ; -- End function
	.section	.AMDGPU.csdata,"",@progbits
; Kernel info:
; codeLenInByte = 7068
; NumSgprs: 46
; NumVgprs: 64
; ScratchSize: 0
; MemoryBound: 0
; FloatMode: 240
; IeeeMode: 1
; LDSByteSize: 14848 bytes/workgroup (compile time only)
; SGPRBlocks: 5
; VGPRBlocks: 7
; NumSGPRsForWavesPerEU: 46
; NumVGPRsForWavesPerEU: 64
; Occupancy: 8
; WaveLimiterHint : 1
; COMPUTE_PGM_RSRC2:SCRATCH_EN: 0
; COMPUTE_PGM_RSRC2:USER_SGPR: 15
; COMPUTE_PGM_RSRC2:TRAP_HANDLER: 0
; COMPUTE_PGM_RSRC2:TGID_X_EN: 1
; COMPUTE_PGM_RSRC2:TGID_Y_EN: 0
; COMPUTE_PGM_RSRC2:TGID_Z_EN: 0
; COMPUTE_PGM_RSRC2:TIDIG_COMP_CNT: 0
	.section	.text._ZN7rocprim17ROCPRIM_400000_NS6detail17trampoline_kernelINS0_14default_configENS1_35adjacent_difference_config_selectorILb1EiEEZNS1_24adjacent_difference_implIS3_Lb1ELb0EPKiPiN6thrust23THRUST_200600_302600_NS4plusIiEEEE10hipError_tPvRmT2_T3_mT4_P12ihipStream_tbEUlT_E_NS1_11comp_targetILNS1_3genE8ELNS1_11target_archE1030ELNS1_3gpuE2ELNS1_3repE0EEENS1_30default_config_static_selectorELNS0_4arch9wavefront6targetE0EEEvT1_,"axG",@progbits,_ZN7rocprim17ROCPRIM_400000_NS6detail17trampoline_kernelINS0_14default_configENS1_35adjacent_difference_config_selectorILb1EiEEZNS1_24adjacent_difference_implIS3_Lb1ELb0EPKiPiN6thrust23THRUST_200600_302600_NS4plusIiEEEE10hipError_tPvRmT2_T3_mT4_P12ihipStream_tbEUlT_E_NS1_11comp_targetILNS1_3genE8ELNS1_11target_archE1030ELNS1_3gpuE2ELNS1_3repE0EEENS1_30default_config_static_selectorELNS0_4arch9wavefront6targetE0EEEvT1_,comdat
	.protected	_ZN7rocprim17ROCPRIM_400000_NS6detail17trampoline_kernelINS0_14default_configENS1_35adjacent_difference_config_selectorILb1EiEEZNS1_24adjacent_difference_implIS3_Lb1ELb0EPKiPiN6thrust23THRUST_200600_302600_NS4plusIiEEEE10hipError_tPvRmT2_T3_mT4_P12ihipStream_tbEUlT_E_NS1_11comp_targetILNS1_3genE8ELNS1_11target_archE1030ELNS1_3gpuE2ELNS1_3repE0EEENS1_30default_config_static_selectorELNS0_4arch9wavefront6targetE0EEEvT1_ ; -- Begin function _ZN7rocprim17ROCPRIM_400000_NS6detail17trampoline_kernelINS0_14default_configENS1_35adjacent_difference_config_selectorILb1EiEEZNS1_24adjacent_difference_implIS3_Lb1ELb0EPKiPiN6thrust23THRUST_200600_302600_NS4plusIiEEEE10hipError_tPvRmT2_T3_mT4_P12ihipStream_tbEUlT_E_NS1_11comp_targetILNS1_3genE8ELNS1_11target_archE1030ELNS1_3gpuE2ELNS1_3repE0EEENS1_30default_config_static_selectorELNS0_4arch9wavefront6targetE0EEEvT1_
	.globl	_ZN7rocprim17ROCPRIM_400000_NS6detail17trampoline_kernelINS0_14default_configENS1_35adjacent_difference_config_selectorILb1EiEEZNS1_24adjacent_difference_implIS3_Lb1ELb0EPKiPiN6thrust23THRUST_200600_302600_NS4plusIiEEEE10hipError_tPvRmT2_T3_mT4_P12ihipStream_tbEUlT_E_NS1_11comp_targetILNS1_3genE8ELNS1_11target_archE1030ELNS1_3gpuE2ELNS1_3repE0EEENS1_30default_config_static_selectorELNS0_4arch9wavefront6targetE0EEEvT1_
	.p2align	8
	.type	_ZN7rocprim17ROCPRIM_400000_NS6detail17trampoline_kernelINS0_14default_configENS1_35adjacent_difference_config_selectorILb1EiEEZNS1_24adjacent_difference_implIS3_Lb1ELb0EPKiPiN6thrust23THRUST_200600_302600_NS4plusIiEEEE10hipError_tPvRmT2_T3_mT4_P12ihipStream_tbEUlT_E_NS1_11comp_targetILNS1_3genE8ELNS1_11target_archE1030ELNS1_3gpuE2ELNS1_3repE0EEENS1_30default_config_static_selectorELNS0_4arch9wavefront6targetE0EEEvT1_,@function
_ZN7rocprim17ROCPRIM_400000_NS6detail17trampoline_kernelINS0_14default_configENS1_35adjacent_difference_config_selectorILb1EiEEZNS1_24adjacent_difference_implIS3_Lb1ELb0EPKiPiN6thrust23THRUST_200600_302600_NS4plusIiEEEE10hipError_tPvRmT2_T3_mT4_P12ihipStream_tbEUlT_E_NS1_11comp_targetILNS1_3genE8ELNS1_11target_archE1030ELNS1_3gpuE2ELNS1_3repE0EEENS1_30default_config_static_selectorELNS0_4arch9wavefront6targetE0EEEvT1_: ; @_ZN7rocprim17ROCPRIM_400000_NS6detail17trampoline_kernelINS0_14default_configENS1_35adjacent_difference_config_selectorILb1EiEEZNS1_24adjacent_difference_implIS3_Lb1ELb0EPKiPiN6thrust23THRUST_200600_302600_NS4plusIiEEEE10hipError_tPvRmT2_T3_mT4_P12ihipStream_tbEUlT_E_NS1_11comp_targetILNS1_3genE8ELNS1_11target_archE1030ELNS1_3gpuE2ELNS1_3repE0EEENS1_30default_config_static_selectorELNS0_4arch9wavefront6targetE0EEEvT1_
; %bb.0:
	.section	.rodata,"a",@progbits
	.p2align	6, 0x0
	.amdhsa_kernel _ZN7rocprim17ROCPRIM_400000_NS6detail17trampoline_kernelINS0_14default_configENS1_35adjacent_difference_config_selectorILb1EiEEZNS1_24adjacent_difference_implIS3_Lb1ELb0EPKiPiN6thrust23THRUST_200600_302600_NS4plusIiEEEE10hipError_tPvRmT2_T3_mT4_P12ihipStream_tbEUlT_E_NS1_11comp_targetILNS1_3genE8ELNS1_11target_archE1030ELNS1_3gpuE2ELNS1_3repE0EEENS1_30default_config_static_selectorELNS0_4arch9wavefront6targetE0EEEvT1_
		.amdhsa_group_segment_fixed_size 0
		.amdhsa_private_segment_fixed_size 0
		.amdhsa_kernarg_size 56
		.amdhsa_user_sgpr_count 15
		.amdhsa_user_sgpr_dispatch_ptr 0
		.amdhsa_user_sgpr_queue_ptr 0
		.amdhsa_user_sgpr_kernarg_segment_ptr 1
		.amdhsa_user_sgpr_dispatch_id 0
		.amdhsa_user_sgpr_private_segment_size 0
		.amdhsa_wavefront_size32 1
		.amdhsa_uses_dynamic_stack 0
		.amdhsa_enable_private_segment 0
		.amdhsa_system_sgpr_workgroup_id_x 1
		.amdhsa_system_sgpr_workgroup_id_y 0
		.amdhsa_system_sgpr_workgroup_id_z 0
		.amdhsa_system_sgpr_workgroup_info 0
		.amdhsa_system_vgpr_workitem_id 0
		.amdhsa_next_free_vgpr 1
		.amdhsa_next_free_sgpr 1
		.amdhsa_reserve_vcc 0
		.amdhsa_float_round_mode_32 0
		.amdhsa_float_round_mode_16_64 0
		.amdhsa_float_denorm_mode_32 3
		.amdhsa_float_denorm_mode_16_64 3
		.amdhsa_dx10_clamp 1
		.amdhsa_ieee_mode 1
		.amdhsa_fp16_overflow 0
		.amdhsa_workgroup_processor_mode 1
		.amdhsa_memory_ordered 1
		.amdhsa_forward_progress 0
		.amdhsa_shared_vgpr_count 0
		.amdhsa_exception_fp_ieee_invalid_op 0
		.amdhsa_exception_fp_denorm_src 0
		.amdhsa_exception_fp_ieee_div_zero 0
		.amdhsa_exception_fp_ieee_overflow 0
		.amdhsa_exception_fp_ieee_underflow 0
		.amdhsa_exception_fp_ieee_inexact 0
		.amdhsa_exception_int_div_zero 0
	.end_amdhsa_kernel
	.section	.text._ZN7rocprim17ROCPRIM_400000_NS6detail17trampoline_kernelINS0_14default_configENS1_35adjacent_difference_config_selectorILb1EiEEZNS1_24adjacent_difference_implIS3_Lb1ELb0EPKiPiN6thrust23THRUST_200600_302600_NS4plusIiEEEE10hipError_tPvRmT2_T3_mT4_P12ihipStream_tbEUlT_E_NS1_11comp_targetILNS1_3genE8ELNS1_11target_archE1030ELNS1_3gpuE2ELNS1_3repE0EEENS1_30default_config_static_selectorELNS0_4arch9wavefront6targetE0EEEvT1_,"axG",@progbits,_ZN7rocprim17ROCPRIM_400000_NS6detail17trampoline_kernelINS0_14default_configENS1_35adjacent_difference_config_selectorILb1EiEEZNS1_24adjacent_difference_implIS3_Lb1ELb0EPKiPiN6thrust23THRUST_200600_302600_NS4plusIiEEEE10hipError_tPvRmT2_T3_mT4_P12ihipStream_tbEUlT_E_NS1_11comp_targetILNS1_3genE8ELNS1_11target_archE1030ELNS1_3gpuE2ELNS1_3repE0EEENS1_30default_config_static_selectorELNS0_4arch9wavefront6targetE0EEEvT1_,comdat
.Lfunc_end747:
	.size	_ZN7rocprim17ROCPRIM_400000_NS6detail17trampoline_kernelINS0_14default_configENS1_35adjacent_difference_config_selectorILb1EiEEZNS1_24adjacent_difference_implIS3_Lb1ELb0EPKiPiN6thrust23THRUST_200600_302600_NS4plusIiEEEE10hipError_tPvRmT2_T3_mT4_P12ihipStream_tbEUlT_E_NS1_11comp_targetILNS1_3genE8ELNS1_11target_archE1030ELNS1_3gpuE2ELNS1_3repE0EEENS1_30default_config_static_selectorELNS0_4arch9wavefront6targetE0EEEvT1_, .Lfunc_end747-_ZN7rocprim17ROCPRIM_400000_NS6detail17trampoline_kernelINS0_14default_configENS1_35adjacent_difference_config_selectorILb1EiEEZNS1_24adjacent_difference_implIS3_Lb1ELb0EPKiPiN6thrust23THRUST_200600_302600_NS4plusIiEEEE10hipError_tPvRmT2_T3_mT4_P12ihipStream_tbEUlT_E_NS1_11comp_targetILNS1_3genE8ELNS1_11target_archE1030ELNS1_3gpuE2ELNS1_3repE0EEENS1_30default_config_static_selectorELNS0_4arch9wavefront6targetE0EEEvT1_
                                        ; -- End function
	.section	.AMDGPU.csdata,"",@progbits
; Kernel info:
; codeLenInByte = 0
; NumSgprs: 0
; NumVgprs: 0
; ScratchSize: 0
; MemoryBound: 0
; FloatMode: 240
; IeeeMode: 1
; LDSByteSize: 0 bytes/workgroup (compile time only)
; SGPRBlocks: 0
; VGPRBlocks: 0
; NumSGPRsForWavesPerEU: 1
; NumVGPRsForWavesPerEU: 1
; Occupancy: 16
; WaveLimiterHint : 0
; COMPUTE_PGM_RSRC2:SCRATCH_EN: 0
; COMPUTE_PGM_RSRC2:USER_SGPR: 15
; COMPUTE_PGM_RSRC2:TRAP_HANDLER: 0
; COMPUTE_PGM_RSRC2:TGID_X_EN: 1
; COMPUTE_PGM_RSRC2:TGID_Y_EN: 0
; COMPUTE_PGM_RSRC2:TGID_Z_EN: 0
; COMPUTE_PGM_RSRC2:TIDIG_COMP_CNT: 0
	.section	.text._ZN7rocprim17ROCPRIM_400000_NS6detail17trampoline_kernelINS0_14default_configENS1_35adjacent_difference_config_selectorILb0EsEEZNS1_24adjacent_difference_implIS3_Lb0ELb0EPKsPsN6thrust23THRUST_200600_302600_NS4plusIsEEEE10hipError_tPvRmT2_T3_mT4_P12ihipStream_tbEUlT_E_NS1_11comp_targetILNS1_3genE0ELNS1_11target_archE4294967295ELNS1_3gpuE0ELNS1_3repE0EEENS1_30default_config_static_selectorELNS0_4arch9wavefront6targetE0EEEvT1_,"axG",@progbits,_ZN7rocprim17ROCPRIM_400000_NS6detail17trampoline_kernelINS0_14default_configENS1_35adjacent_difference_config_selectorILb0EsEEZNS1_24adjacent_difference_implIS3_Lb0ELb0EPKsPsN6thrust23THRUST_200600_302600_NS4plusIsEEEE10hipError_tPvRmT2_T3_mT4_P12ihipStream_tbEUlT_E_NS1_11comp_targetILNS1_3genE0ELNS1_11target_archE4294967295ELNS1_3gpuE0ELNS1_3repE0EEENS1_30default_config_static_selectorELNS0_4arch9wavefront6targetE0EEEvT1_,comdat
	.protected	_ZN7rocprim17ROCPRIM_400000_NS6detail17trampoline_kernelINS0_14default_configENS1_35adjacent_difference_config_selectorILb0EsEEZNS1_24adjacent_difference_implIS3_Lb0ELb0EPKsPsN6thrust23THRUST_200600_302600_NS4plusIsEEEE10hipError_tPvRmT2_T3_mT4_P12ihipStream_tbEUlT_E_NS1_11comp_targetILNS1_3genE0ELNS1_11target_archE4294967295ELNS1_3gpuE0ELNS1_3repE0EEENS1_30default_config_static_selectorELNS0_4arch9wavefront6targetE0EEEvT1_ ; -- Begin function _ZN7rocprim17ROCPRIM_400000_NS6detail17trampoline_kernelINS0_14default_configENS1_35adjacent_difference_config_selectorILb0EsEEZNS1_24adjacent_difference_implIS3_Lb0ELb0EPKsPsN6thrust23THRUST_200600_302600_NS4plusIsEEEE10hipError_tPvRmT2_T3_mT4_P12ihipStream_tbEUlT_E_NS1_11comp_targetILNS1_3genE0ELNS1_11target_archE4294967295ELNS1_3gpuE0ELNS1_3repE0EEENS1_30default_config_static_selectorELNS0_4arch9wavefront6targetE0EEEvT1_
	.globl	_ZN7rocprim17ROCPRIM_400000_NS6detail17trampoline_kernelINS0_14default_configENS1_35adjacent_difference_config_selectorILb0EsEEZNS1_24adjacent_difference_implIS3_Lb0ELb0EPKsPsN6thrust23THRUST_200600_302600_NS4plusIsEEEE10hipError_tPvRmT2_T3_mT4_P12ihipStream_tbEUlT_E_NS1_11comp_targetILNS1_3genE0ELNS1_11target_archE4294967295ELNS1_3gpuE0ELNS1_3repE0EEENS1_30default_config_static_selectorELNS0_4arch9wavefront6targetE0EEEvT1_
	.p2align	8
	.type	_ZN7rocprim17ROCPRIM_400000_NS6detail17trampoline_kernelINS0_14default_configENS1_35adjacent_difference_config_selectorILb0EsEEZNS1_24adjacent_difference_implIS3_Lb0ELb0EPKsPsN6thrust23THRUST_200600_302600_NS4plusIsEEEE10hipError_tPvRmT2_T3_mT4_P12ihipStream_tbEUlT_E_NS1_11comp_targetILNS1_3genE0ELNS1_11target_archE4294967295ELNS1_3gpuE0ELNS1_3repE0EEENS1_30default_config_static_selectorELNS0_4arch9wavefront6targetE0EEEvT1_,@function
_ZN7rocprim17ROCPRIM_400000_NS6detail17trampoline_kernelINS0_14default_configENS1_35adjacent_difference_config_selectorILb0EsEEZNS1_24adjacent_difference_implIS3_Lb0ELb0EPKsPsN6thrust23THRUST_200600_302600_NS4plusIsEEEE10hipError_tPvRmT2_T3_mT4_P12ihipStream_tbEUlT_E_NS1_11comp_targetILNS1_3genE0ELNS1_11target_archE4294967295ELNS1_3gpuE0ELNS1_3repE0EEENS1_30default_config_static_selectorELNS0_4arch9wavefront6targetE0EEEvT1_: ; @_ZN7rocprim17ROCPRIM_400000_NS6detail17trampoline_kernelINS0_14default_configENS1_35adjacent_difference_config_selectorILb0EsEEZNS1_24adjacent_difference_implIS3_Lb0ELb0EPKsPsN6thrust23THRUST_200600_302600_NS4plusIsEEEE10hipError_tPvRmT2_T3_mT4_P12ihipStream_tbEUlT_E_NS1_11comp_targetILNS1_3genE0ELNS1_11target_archE4294967295ELNS1_3gpuE0ELNS1_3repE0EEENS1_30default_config_static_selectorELNS0_4arch9wavefront6targetE0EEEvT1_
; %bb.0:
	.section	.rodata,"a",@progbits
	.p2align	6, 0x0
	.amdhsa_kernel _ZN7rocprim17ROCPRIM_400000_NS6detail17trampoline_kernelINS0_14default_configENS1_35adjacent_difference_config_selectorILb0EsEEZNS1_24adjacent_difference_implIS3_Lb0ELb0EPKsPsN6thrust23THRUST_200600_302600_NS4plusIsEEEE10hipError_tPvRmT2_T3_mT4_P12ihipStream_tbEUlT_E_NS1_11comp_targetILNS1_3genE0ELNS1_11target_archE4294967295ELNS1_3gpuE0ELNS1_3repE0EEENS1_30default_config_static_selectorELNS0_4arch9wavefront6targetE0EEEvT1_
		.amdhsa_group_segment_fixed_size 0
		.amdhsa_private_segment_fixed_size 0
		.amdhsa_kernarg_size 56
		.amdhsa_user_sgpr_count 15
		.amdhsa_user_sgpr_dispatch_ptr 0
		.amdhsa_user_sgpr_queue_ptr 0
		.amdhsa_user_sgpr_kernarg_segment_ptr 1
		.amdhsa_user_sgpr_dispatch_id 0
		.amdhsa_user_sgpr_private_segment_size 0
		.amdhsa_wavefront_size32 1
		.amdhsa_uses_dynamic_stack 0
		.amdhsa_enable_private_segment 0
		.amdhsa_system_sgpr_workgroup_id_x 1
		.amdhsa_system_sgpr_workgroup_id_y 0
		.amdhsa_system_sgpr_workgroup_id_z 0
		.amdhsa_system_sgpr_workgroup_info 0
		.amdhsa_system_vgpr_workitem_id 0
		.amdhsa_next_free_vgpr 1
		.amdhsa_next_free_sgpr 1
		.amdhsa_reserve_vcc 0
		.amdhsa_float_round_mode_32 0
		.amdhsa_float_round_mode_16_64 0
		.amdhsa_float_denorm_mode_32 3
		.amdhsa_float_denorm_mode_16_64 3
		.amdhsa_dx10_clamp 1
		.amdhsa_ieee_mode 1
		.amdhsa_fp16_overflow 0
		.amdhsa_workgroup_processor_mode 1
		.amdhsa_memory_ordered 1
		.amdhsa_forward_progress 0
		.amdhsa_shared_vgpr_count 0
		.amdhsa_exception_fp_ieee_invalid_op 0
		.amdhsa_exception_fp_denorm_src 0
		.amdhsa_exception_fp_ieee_div_zero 0
		.amdhsa_exception_fp_ieee_overflow 0
		.amdhsa_exception_fp_ieee_underflow 0
		.amdhsa_exception_fp_ieee_inexact 0
		.amdhsa_exception_int_div_zero 0
	.end_amdhsa_kernel
	.section	.text._ZN7rocprim17ROCPRIM_400000_NS6detail17trampoline_kernelINS0_14default_configENS1_35adjacent_difference_config_selectorILb0EsEEZNS1_24adjacent_difference_implIS3_Lb0ELb0EPKsPsN6thrust23THRUST_200600_302600_NS4plusIsEEEE10hipError_tPvRmT2_T3_mT4_P12ihipStream_tbEUlT_E_NS1_11comp_targetILNS1_3genE0ELNS1_11target_archE4294967295ELNS1_3gpuE0ELNS1_3repE0EEENS1_30default_config_static_selectorELNS0_4arch9wavefront6targetE0EEEvT1_,"axG",@progbits,_ZN7rocprim17ROCPRIM_400000_NS6detail17trampoline_kernelINS0_14default_configENS1_35adjacent_difference_config_selectorILb0EsEEZNS1_24adjacent_difference_implIS3_Lb0ELb0EPKsPsN6thrust23THRUST_200600_302600_NS4plusIsEEEE10hipError_tPvRmT2_T3_mT4_P12ihipStream_tbEUlT_E_NS1_11comp_targetILNS1_3genE0ELNS1_11target_archE4294967295ELNS1_3gpuE0ELNS1_3repE0EEENS1_30default_config_static_selectorELNS0_4arch9wavefront6targetE0EEEvT1_,comdat
.Lfunc_end748:
	.size	_ZN7rocprim17ROCPRIM_400000_NS6detail17trampoline_kernelINS0_14default_configENS1_35adjacent_difference_config_selectorILb0EsEEZNS1_24adjacent_difference_implIS3_Lb0ELb0EPKsPsN6thrust23THRUST_200600_302600_NS4plusIsEEEE10hipError_tPvRmT2_T3_mT4_P12ihipStream_tbEUlT_E_NS1_11comp_targetILNS1_3genE0ELNS1_11target_archE4294967295ELNS1_3gpuE0ELNS1_3repE0EEENS1_30default_config_static_selectorELNS0_4arch9wavefront6targetE0EEEvT1_, .Lfunc_end748-_ZN7rocprim17ROCPRIM_400000_NS6detail17trampoline_kernelINS0_14default_configENS1_35adjacent_difference_config_selectorILb0EsEEZNS1_24adjacent_difference_implIS3_Lb0ELb0EPKsPsN6thrust23THRUST_200600_302600_NS4plusIsEEEE10hipError_tPvRmT2_T3_mT4_P12ihipStream_tbEUlT_E_NS1_11comp_targetILNS1_3genE0ELNS1_11target_archE4294967295ELNS1_3gpuE0ELNS1_3repE0EEENS1_30default_config_static_selectorELNS0_4arch9wavefront6targetE0EEEvT1_
                                        ; -- End function
	.section	.AMDGPU.csdata,"",@progbits
; Kernel info:
; codeLenInByte = 0
; NumSgprs: 0
; NumVgprs: 0
; ScratchSize: 0
; MemoryBound: 0
; FloatMode: 240
; IeeeMode: 1
; LDSByteSize: 0 bytes/workgroup (compile time only)
; SGPRBlocks: 0
; VGPRBlocks: 0
; NumSGPRsForWavesPerEU: 1
; NumVGPRsForWavesPerEU: 1
; Occupancy: 16
; WaveLimiterHint : 0
; COMPUTE_PGM_RSRC2:SCRATCH_EN: 0
; COMPUTE_PGM_RSRC2:USER_SGPR: 15
; COMPUTE_PGM_RSRC2:TRAP_HANDLER: 0
; COMPUTE_PGM_RSRC2:TGID_X_EN: 1
; COMPUTE_PGM_RSRC2:TGID_Y_EN: 0
; COMPUTE_PGM_RSRC2:TGID_Z_EN: 0
; COMPUTE_PGM_RSRC2:TIDIG_COMP_CNT: 0
	.section	.text._ZN7rocprim17ROCPRIM_400000_NS6detail17trampoline_kernelINS0_14default_configENS1_35adjacent_difference_config_selectorILb0EsEEZNS1_24adjacent_difference_implIS3_Lb0ELb0EPKsPsN6thrust23THRUST_200600_302600_NS4plusIsEEEE10hipError_tPvRmT2_T3_mT4_P12ihipStream_tbEUlT_E_NS1_11comp_targetILNS1_3genE10ELNS1_11target_archE1201ELNS1_3gpuE5ELNS1_3repE0EEENS1_30default_config_static_selectorELNS0_4arch9wavefront6targetE0EEEvT1_,"axG",@progbits,_ZN7rocprim17ROCPRIM_400000_NS6detail17trampoline_kernelINS0_14default_configENS1_35adjacent_difference_config_selectorILb0EsEEZNS1_24adjacent_difference_implIS3_Lb0ELb0EPKsPsN6thrust23THRUST_200600_302600_NS4plusIsEEEE10hipError_tPvRmT2_T3_mT4_P12ihipStream_tbEUlT_E_NS1_11comp_targetILNS1_3genE10ELNS1_11target_archE1201ELNS1_3gpuE5ELNS1_3repE0EEENS1_30default_config_static_selectorELNS0_4arch9wavefront6targetE0EEEvT1_,comdat
	.protected	_ZN7rocprim17ROCPRIM_400000_NS6detail17trampoline_kernelINS0_14default_configENS1_35adjacent_difference_config_selectorILb0EsEEZNS1_24adjacent_difference_implIS3_Lb0ELb0EPKsPsN6thrust23THRUST_200600_302600_NS4plusIsEEEE10hipError_tPvRmT2_T3_mT4_P12ihipStream_tbEUlT_E_NS1_11comp_targetILNS1_3genE10ELNS1_11target_archE1201ELNS1_3gpuE5ELNS1_3repE0EEENS1_30default_config_static_selectorELNS0_4arch9wavefront6targetE0EEEvT1_ ; -- Begin function _ZN7rocprim17ROCPRIM_400000_NS6detail17trampoline_kernelINS0_14default_configENS1_35adjacent_difference_config_selectorILb0EsEEZNS1_24adjacent_difference_implIS3_Lb0ELb0EPKsPsN6thrust23THRUST_200600_302600_NS4plusIsEEEE10hipError_tPvRmT2_T3_mT4_P12ihipStream_tbEUlT_E_NS1_11comp_targetILNS1_3genE10ELNS1_11target_archE1201ELNS1_3gpuE5ELNS1_3repE0EEENS1_30default_config_static_selectorELNS0_4arch9wavefront6targetE0EEEvT1_
	.globl	_ZN7rocprim17ROCPRIM_400000_NS6detail17trampoline_kernelINS0_14default_configENS1_35adjacent_difference_config_selectorILb0EsEEZNS1_24adjacent_difference_implIS3_Lb0ELb0EPKsPsN6thrust23THRUST_200600_302600_NS4plusIsEEEE10hipError_tPvRmT2_T3_mT4_P12ihipStream_tbEUlT_E_NS1_11comp_targetILNS1_3genE10ELNS1_11target_archE1201ELNS1_3gpuE5ELNS1_3repE0EEENS1_30default_config_static_selectorELNS0_4arch9wavefront6targetE0EEEvT1_
	.p2align	8
	.type	_ZN7rocprim17ROCPRIM_400000_NS6detail17trampoline_kernelINS0_14default_configENS1_35adjacent_difference_config_selectorILb0EsEEZNS1_24adjacent_difference_implIS3_Lb0ELb0EPKsPsN6thrust23THRUST_200600_302600_NS4plusIsEEEE10hipError_tPvRmT2_T3_mT4_P12ihipStream_tbEUlT_E_NS1_11comp_targetILNS1_3genE10ELNS1_11target_archE1201ELNS1_3gpuE5ELNS1_3repE0EEENS1_30default_config_static_selectorELNS0_4arch9wavefront6targetE0EEEvT1_,@function
_ZN7rocprim17ROCPRIM_400000_NS6detail17trampoline_kernelINS0_14default_configENS1_35adjacent_difference_config_selectorILb0EsEEZNS1_24adjacent_difference_implIS3_Lb0ELb0EPKsPsN6thrust23THRUST_200600_302600_NS4plusIsEEEE10hipError_tPvRmT2_T3_mT4_P12ihipStream_tbEUlT_E_NS1_11comp_targetILNS1_3genE10ELNS1_11target_archE1201ELNS1_3gpuE5ELNS1_3repE0EEENS1_30default_config_static_selectorELNS0_4arch9wavefront6targetE0EEEvT1_: ; @_ZN7rocprim17ROCPRIM_400000_NS6detail17trampoline_kernelINS0_14default_configENS1_35adjacent_difference_config_selectorILb0EsEEZNS1_24adjacent_difference_implIS3_Lb0ELb0EPKsPsN6thrust23THRUST_200600_302600_NS4plusIsEEEE10hipError_tPvRmT2_T3_mT4_P12ihipStream_tbEUlT_E_NS1_11comp_targetILNS1_3genE10ELNS1_11target_archE1201ELNS1_3gpuE5ELNS1_3repE0EEENS1_30default_config_static_selectorELNS0_4arch9wavefront6targetE0EEEvT1_
; %bb.0:
	.section	.rodata,"a",@progbits
	.p2align	6, 0x0
	.amdhsa_kernel _ZN7rocprim17ROCPRIM_400000_NS6detail17trampoline_kernelINS0_14default_configENS1_35adjacent_difference_config_selectorILb0EsEEZNS1_24adjacent_difference_implIS3_Lb0ELb0EPKsPsN6thrust23THRUST_200600_302600_NS4plusIsEEEE10hipError_tPvRmT2_T3_mT4_P12ihipStream_tbEUlT_E_NS1_11comp_targetILNS1_3genE10ELNS1_11target_archE1201ELNS1_3gpuE5ELNS1_3repE0EEENS1_30default_config_static_selectorELNS0_4arch9wavefront6targetE0EEEvT1_
		.amdhsa_group_segment_fixed_size 0
		.amdhsa_private_segment_fixed_size 0
		.amdhsa_kernarg_size 56
		.amdhsa_user_sgpr_count 15
		.amdhsa_user_sgpr_dispatch_ptr 0
		.amdhsa_user_sgpr_queue_ptr 0
		.amdhsa_user_sgpr_kernarg_segment_ptr 1
		.amdhsa_user_sgpr_dispatch_id 0
		.amdhsa_user_sgpr_private_segment_size 0
		.amdhsa_wavefront_size32 1
		.amdhsa_uses_dynamic_stack 0
		.amdhsa_enable_private_segment 0
		.amdhsa_system_sgpr_workgroup_id_x 1
		.amdhsa_system_sgpr_workgroup_id_y 0
		.amdhsa_system_sgpr_workgroup_id_z 0
		.amdhsa_system_sgpr_workgroup_info 0
		.amdhsa_system_vgpr_workitem_id 0
		.amdhsa_next_free_vgpr 1
		.amdhsa_next_free_sgpr 1
		.amdhsa_reserve_vcc 0
		.amdhsa_float_round_mode_32 0
		.amdhsa_float_round_mode_16_64 0
		.amdhsa_float_denorm_mode_32 3
		.amdhsa_float_denorm_mode_16_64 3
		.amdhsa_dx10_clamp 1
		.amdhsa_ieee_mode 1
		.amdhsa_fp16_overflow 0
		.amdhsa_workgroup_processor_mode 1
		.amdhsa_memory_ordered 1
		.amdhsa_forward_progress 0
		.amdhsa_shared_vgpr_count 0
		.amdhsa_exception_fp_ieee_invalid_op 0
		.amdhsa_exception_fp_denorm_src 0
		.amdhsa_exception_fp_ieee_div_zero 0
		.amdhsa_exception_fp_ieee_overflow 0
		.amdhsa_exception_fp_ieee_underflow 0
		.amdhsa_exception_fp_ieee_inexact 0
		.amdhsa_exception_int_div_zero 0
	.end_amdhsa_kernel
	.section	.text._ZN7rocprim17ROCPRIM_400000_NS6detail17trampoline_kernelINS0_14default_configENS1_35adjacent_difference_config_selectorILb0EsEEZNS1_24adjacent_difference_implIS3_Lb0ELb0EPKsPsN6thrust23THRUST_200600_302600_NS4plusIsEEEE10hipError_tPvRmT2_T3_mT4_P12ihipStream_tbEUlT_E_NS1_11comp_targetILNS1_3genE10ELNS1_11target_archE1201ELNS1_3gpuE5ELNS1_3repE0EEENS1_30default_config_static_selectorELNS0_4arch9wavefront6targetE0EEEvT1_,"axG",@progbits,_ZN7rocprim17ROCPRIM_400000_NS6detail17trampoline_kernelINS0_14default_configENS1_35adjacent_difference_config_selectorILb0EsEEZNS1_24adjacent_difference_implIS3_Lb0ELb0EPKsPsN6thrust23THRUST_200600_302600_NS4plusIsEEEE10hipError_tPvRmT2_T3_mT4_P12ihipStream_tbEUlT_E_NS1_11comp_targetILNS1_3genE10ELNS1_11target_archE1201ELNS1_3gpuE5ELNS1_3repE0EEENS1_30default_config_static_selectorELNS0_4arch9wavefront6targetE0EEEvT1_,comdat
.Lfunc_end749:
	.size	_ZN7rocprim17ROCPRIM_400000_NS6detail17trampoline_kernelINS0_14default_configENS1_35adjacent_difference_config_selectorILb0EsEEZNS1_24adjacent_difference_implIS3_Lb0ELb0EPKsPsN6thrust23THRUST_200600_302600_NS4plusIsEEEE10hipError_tPvRmT2_T3_mT4_P12ihipStream_tbEUlT_E_NS1_11comp_targetILNS1_3genE10ELNS1_11target_archE1201ELNS1_3gpuE5ELNS1_3repE0EEENS1_30default_config_static_selectorELNS0_4arch9wavefront6targetE0EEEvT1_, .Lfunc_end749-_ZN7rocprim17ROCPRIM_400000_NS6detail17trampoline_kernelINS0_14default_configENS1_35adjacent_difference_config_selectorILb0EsEEZNS1_24adjacent_difference_implIS3_Lb0ELb0EPKsPsN6thrust23THRUST_200600_302600_NS4plusIsEEEE10hipError_tPvRmT2_T3_mT4_P12ihipStream_tbEUlT_E_NS1_11comp_targetILNS1_3genE10ELNS1_11target_archE1201ELNS1_3gpuE5ELNS1_3repE0EEENS1_30default_config_static_selectorELNS0_4arch9wavefront6targetE0EEEvT1_
                                        ; -- End function
	.section	.AMDGPU.csdata,"",@progbits
; Kernel info:
; codeLenInByte = 0
; NumSgprs: 0
; NumVgprs: 0
; ScratchSize: 0
; MemoryBound: 0
; FloatMode: 240
; IeeeMode: 1
; LDSByteSize: 0 bytes/workgroup (compile time only)
; SGPRBlocks: 0
; VGPRBlocks: 0
; NumSGPRsForWavesPerEU: 1
; NumVGPRsForWavesPerEU: 1
; Occupancy: 16
; WaveLimiterHint : 0
; COMPUTE_PGM_RSRC2:SCRATCH_EN: 0
; COMPUTE_PGM_RSRC2:USER_SGPR: 15
; COMPUTE_PGM_RSRC2:TRAP_HANDLER: 0
; COMPUTE_PGM_RSRC2:TGID_X_EN: 1
; COMPUTE_PGM_RSRC2:TGID_Y_EN: 0
; COMPUTE_PGM_RSRC2:TGID_Z_EN: 0
; COMPUTE_PGM_RSRC2:TIDIG_COMP_CNT: 0
	.section	.text._ZN7rocprim17ROCPRIM_400000_NS6detail17trampoline_kernelINS0_14default_configENS1_35adjacent_difference_config_selectorILb0EsEEZNS1_24adjacent_difference_implIS3_Lb0ELb0EPKsPsN6thrust23THRUST_200600_302600_NS4plusIsEEEE10hipError_tPvRmT2_T3_mT4_P12ihipStream_tbEUlT_E_NS1_11comp_targetILNS1_3genE5ELNS1_11target_archE942ELNS1_3gpuE9ELNS1_3repE0EEENS1_30default_config_static_selectorELNS0_4arch9wavefront6targetE0EEEvT1_,"axG",@progbits,_ZN7rocprim17ROCPRIM_400000_NS6detail17trampoline_kernelINS0_14default_configENS1_35adjacent_difference_config_selectorILb0EsEEZNS1_24adjacent_difference_implIS3_Lb0ELb0EPKsPsN6thrust23THRUST_200600_302600_NS4plusIsEEEE10hipError_tPvRmT2_T3_mT4_P12ihipStream_tbEUlT_E_NS1_11comp_targetILNS1_3genE5ELNS1_11target_archE942ELNS1_3gpuE9ELNS1_3repE0EEENS1_30default_config_static_selectorELNS0_4arch9wavefront6targetE0EEEvT1_,comdat
	.protected	_ZN7rocprim17ROCPRIM_400000_NS6detail17trampoline_kernelINS0_14default_configENS1_35adjacent_difference_config_selectorILb0EsEEZNS1_24adjacent_difference_implIS3_Lb0ELb0EPKsPsN6thrust23THRUST_200600_302600_NS4plusIsEEEE10hipError_tPvRmT2_T3_mT4_P12ihipStream_tbEUlT_E_NS1_11comp_targetILNS1_3genE5ELNS1_11target_archE942ELNS1_3gpuE9ELNS1_3repE0EEENS1_30default_config_static_selectorELNS0_4arch9wavefront6targetE0EEEvT1_ ; -- Begin function _ZN7rocprim17ROCPRIM_400000_NS6detail17trampoline_kernelINS0_14default_configENS1_35adjacent_difference_config_selectorILb0EsEEZNS1_24adjacent_difference_implIS3_Lb0ELb0EPKsPsN6thrust23THRUST_200600_302600_NS4plusIsEEEE10hipError_tPvRmT2_T3_mT4_P12ihipStream_tbEUlT_E_NS1_11comp_targetILNS1_3genE5ELNS1_11target_archE942ELNS1_3gpuE9ELNS1_3repE0EEENS1_30default_config_static_selectorELNS0_4arch9wavefront6targetE0EEEvT1_
	.globl	_ZN7rocprim17ROCPRIM_400000_NS6detail17trampoline_kernelINS0_14default_configENS1_35adjacent_difference_config_selectorILb0EsEEZNS1_24adjacent_difference_implIS3_Lb0ELb0EPKsPsN6thrust23THRUST_200600_302600_NS4plusIsEEEE10hipError_tPvRmT2_T3_mT4_P12ihipStream_tbEUlT_E_NS1_11comp_targetILNS1_3genE5ELNS1_11target_archE942ELNS1_3gpuE9ELNS1_3repE0EEENS1_30default_config_static_selectorELNS0_4arch9wavefront6targetE0EEEvT1_
	.p2align	8
	.type	_ZN7rocprim17ROCPRIM_400000_NS6detail17trampoline_kernelINS0_14default_configENS1_35adjacent_difference_config_selectorILb0EsEEZNS1_24adjacent_difference_implIS3_Lb0ELb0EPKsPsN6thrust23THRUST_200600_302600_NS4plusIsEEEE10hipError_tPvRmT2_T3_mT4_P12ihipStream_tbEUlT_E_NS1_11comp_targetILNS1_3genE5ELNS1_11target_archE942ELNS1_3gpuE9ELNS1_3repE0EEENS1_30default_config_static_selectorELNS0_4arch9wavefront6targetE0EEEvT1_,@function
_ZN7rocprim17ROCPRIM_400000_NS6detail17trampoline_kernelINS0_14default_configENS1_35adjacent_difference_config_selectorILb0EsEEZNS1_24adjacent_difference_implIS3_Lb0ELb0EPKsPsN6thrust23THRUST_200600_302600_NS4plusIsEEEE10hipError_tPvRmT2_T3_mT4_P12ihipStream_tbEUlT_E_NS1_11comp_targetILNS1_3genE5ELNS1_11target_archE942ELNS1_3gpuE9ELNS1_3repE0EEENS1_30default_config_static_selectorELNS0_4arch9wavefront6targetE0EEEvT1_: ; @_ZN7rocprim17ROCPRIM_400000_NS6detail17trampoline_kernelINS0_14default_configENS1_35adjacent_difference_config_selectorILb0EsEEZNS1_24adjacent_difference_implIS3_Lb0ELb0EPKsPsN6thrust23THRUST_200600_302600_NS4plusIsEEEE10hipError_tPvRmT2_T3_mT4_P12ihipStream_tbEUlT_E_NS1_11comp_targetILNS1_3genE5ELNS1_11target_archE942ELNS1_3gpuE9ELNS1_3repE0EEENS1_30default_config_static_selectorELNS0_4arch9wavefront6targetE0EEEvT1_
; %bb.0:
	.section	.rodata,"a",@progbits
	.p2align	6, 0x0
	.amdhsa_kernel _ZN7rocprim17ROCPRIM_400000_NS6detail17trampoline_kernelINS0_14default_configENS1_35adjacent_difference_config_selectorILb0EsEEZNS1_24adjacent_difference_implIS3_Lb0ELb0EPKsPsN6thrust23THRUST_200600_302600_NS4plusIsEEEE10hipError_tPvRmT2_T3_mT4_P12ihipStream_tbEUlT_E_NS1_11comp_targetILNS1_3genE5ELNS1_11target_archE942ELNS1_3gpuE9ELNS1_3repE0EEENS1_30default_config_static_selectorELNS0_4arch9wavefront6targetE0EEEvT1_
		.amdhsa_group_segment_fixed_size 0
		.amdhsa_private_segment_fixed_size 0
		.amdhsa_kernarg_size 56
		.amdhsa_user_sgpr_count 15
		.amdhsa_user_sgpr_dispatch_ptr 0
		.amdhsa_user_sgpr_queue_ptr 0
		.amdhsa_user_sgpr_kernarg_segment_ptr 1
		.amdhsa_user_sgpr_dispatch_id 0
		.amdhsa_user_sgpr_private_segment_size 0
		.amdhsa_wavefront_size32 1
		.amdhsa_uses_dynamic_stack 0
		.amdhsa_enable_private_segment 0
		.amdhsa_system_sgpr_workgroup_id_x 1
		.amdhsa_system_sgpr_workgroup_id_y 0
		.amdhsa_system_sgpr_workgroup_id_z 0
		.amdhsa_system_sgpr_workgroup_info 0
		.amdhsa_system_vgpr_workitem_id 0
		.amdhsa_next_free_vgpr 1
		.amdhsa_next_free_sgpr 1
		.amdhsa_reserve_vcc 0
		.amdhsa_float_round_mode_32 0
		.amdhsa_float_round_mode_16_64 0
		.amdhsa_float_denorm_mode_32 3
		.amdhsa_float_denorm_mode_16_64 3
		.amdhsa_dx10_clamp 1
		.amdhsa_ieee_mode 1
		.amdhsa_fp16_overflow 0
		.amdhsa_workgroup_processor_mode 1
		.amdhsa_memory_ordered 1
		.amdhsa_forward_progress 0
		.amdhsa_shared_vgpr_count 0
		.amdhsa_exception_fp_ieee_invalid_op 0
		.amdhsa_exception_fp_denorm_src 0
		.amdhsa_exception_fp_ieee_div_zero 0
		.amdhsa_exception_fp_ieee_overflow 0
		.amdhsa_exception_fp_ieee_underflow 0
		.amdhsa_exception_fp_ieee_inexact 0
		.amdhsa_exception_int_div_zero 0
	.end_amdhsa_kernel
	.section	.text._ZN7rocprim17ROCPRIM_400000_NS6detail17trampoline_kernelINS0_14default_configENS1_35adjacent_difference_config_selectorILb0EsEEZNS1_24adjacent_difference_implIS3_Lb0ELb0EPKsPsN6thrust23THRUST_200600_302600_NS4plusIsEEEE10hipError_tPvRmT2_T3_mT4_P12ihipStream_tbEUlT_E_NS1_11comp_targetILNS1_3genE5ELNS1_11target_archE942ELNS1_3gpuE9ELNS1_3repE0EEENS1_30default_config_static_selectorELNS0_4arch9wavefront6targetE0EEEvT1_,"axG",@progbits,_ZN7rocprim17ROCPRIM_400000_NS6detail17trampoline_kernelINS0_14default_configENS1_35adjacent_difference_config_selectorILb0EsEEZNS1_24adjacent_difference_implIS3_Lb0ELb0EPKsPsN6thrust23THRUST_200600_302600_NS4plusIsEEEE10hipError_tPvRmT2_T3_mT4_P12ihipStream_tbEUlT_E_NS1_11comp_targetILNS1_3genE5ELNS1_11target_archE942ELNS1_3gpuE9ELNS1_3repE0EEENS1_30default_config_static_selectorELNS0_4arch9wavefront6targetE0EEEvT1_,comdat
.Lfunc_end750:
	.size	_ZN7rocprim17ROCPRIM_400000_NS6detail17trampoline_kernelINS0_14default_configENS1_35adjacent_difference_config_selectorILb0EsEEZNS1_24adjacent_difference_implIS3_Lb0ELb0EPKsPsN6thrust23THRUST_200600_302600_NS4plusIsEEEE10hipError_tPvRmT2_T3_mT4_P12ihipStream_tbEUlT_E_NS1_11comp_targetILNS1_3genE5ELNS1_11target_archE942ELNS1_3gpuE9ELNS1_3repE0EEENS1_30default_config_static_selectorELNS0_4arch9wavefront6targetE0EEEvT1_, .Lfunc_end750-_ZN7rocprim17ROCPRIM_400000_NS6detail17trampoline_kernelINS0_14default_configENS1_35adjacent_difference_config_selectorILb0EsEEZNS1_24adjacent_difference_implIS3_Lb0ELb0EPKsPsN6thrust23THRUST_200600_302600_NS4plusIsEEEE10hipError_tPvRmT2_T3_mT4_P12ihipStream_tbEUlT_E_NS1_11comp_targetILNS1_3genE5ELNS1_11target_archE942ELNS1_3gpuE9ELNS1_3repE0EEENS1_30default_config_static_selectorELNS0_4arch9wavefront6targetE0EEEvT1_
                                        ; -- End function
	.section	.AMDGPU.csdata,"",@progbits
; Kernel info:
; codeLenInByte = 0
; NumSgprs: 0
; NumVgprs: 0
; ScratchSize: 0
; MemoryBound: 0
; FloatMode: 240
; IeeeMode: 1
; LDSByteSize: 0 bytes/workgroup (compile time only)
; SGPRBlocks: 0
; VGPRBlocks: 0
; NumSGPRsForWavesPerEU: 1
; NumVGPRsForWavesPerEU: 1
; Occupancy: 16
; WaveLimiterHint : 0
; COMPUTE_PGM_RSRC2:SCRATCH_EN: 0
; COMPUTE_PGM_RSRC2:USER_SGPR: 15
; COMPUTE_PGM_RSRC2:TRAP_HANDLER: 0
; COMPUTE_PGM_RSRC2:TGID_X_EN: 1
; COMPUTE_PGM_RSRC2:TGID_Y_EN: 0
; COMPUTE_PGM_RSRC2:TGID_Z_EN: 0
; COMPUTE_PGM_RSRC2:TIDIG_COMP_CNT: 0
	.section	.text._ZN7rocprim17ROCPRIM_400000_NS6detail17trampoline_kernelINS0_14default_configENS1_35adjacent_difference_config_selectorILb0EsEEZNS1_24adjacent_difference_implIS3_Lb0ELb0EPKsPsN6thrust23THRUST_200600_302600_NS4plusIsEEEE10hipError_tPvRmT2_T3_mT4_P12ihipStream_tbEUlT_E_NS1_11comp_targetILNS1_3genE4ELNS1_11target_archE910ELNS1_3gpuE8ELNS1_3repE0EEENS1_30default_config_static_selectorELNS0_4arch9wavefront6targetE0EEEvT1_,"axG",@progbits,_ZN7rocprim17ROCPRIM_400000_NS6detail17trampoline_kernelINS0_14default_configENS1_35adjacent_difference_config_selectorILb0EsEEZNS1_24adjacent_difference_implIS3_Lb0ELb0EPKsPsN6thrust23THRUST_200600_302600_NS4plusIsEEEE10hipError_tPvRmT2_T3_mT4_P12ihipStream_tbEUlT_E_NS1_11comp_targetILNS1_3genE4ELNS1_11target_archE910ELNS1_3gpuE8ELNS1_3repE0EEENS1_30default_config_static_selectorELNS0_4arch9wavefront6targetE0EEEvT1_,comdat
	.protected	_ZN7rocprim17ROCPRIM_400000_NS6detail17trampoline_kernelINS0_14default_configENS1_35adjacent_difference_config_selectorILb0EsEEZNS1_24adjacent_difference_implIS3_Lb0ELb0EPKsPsN6thrust23THRUST_200600_302600_NS4plusIsEEEE10hipError_tPvRmT2_T3_mT4_P12ihipStream_tbEUlT_E_NS1_11comp_targetILNS1_3genE4ELNS1_11target_archE910ELNS1_3gpuE8ELNS1_3repE0EEENS1_30default_config_static_selectorELNS0_4arch9wavefront6targetE0EEEvT1_ ; -- Begin function _ZN7rocprim17ROCPRIM_400000_NS6detail17trampoline_kernelINS0_14default_configENS1_35adjacent_difference_config_selectorILb0EsEEZNS1_24adjacent_difference_implIS3_Lb0ELb0EPKsPsN6thrust23THRUST_200600_302600_NS4plusIsEEEE10hipError_tPvRmT2_T3_mT4_P12ihipStream_tbEUlT_E_NS1_11comp_targetILNS1_3genE4ELNS1_11target_archE910ELNS1_3gpuE8ELNS1_3repE0EEENS1_30default_config_static_selectorELNS0_4arch9wavefront6targetE0EEEvT1_
	.globl	_ZN7rocprim17ROCPRIM_400000_NS6detail17trampoline_kernelINS0_14default_configENS1_35adjacent_difference_config_selectorILb0EsEEZNS1_24adjacent_difference_implIS3_Lb0ELb0EPKsPsN6thrust23THRUST_200600_302600_NS4plusIsEEEE10hipError_tPvRmT2_T3_mT4_P12ihipStream_tbEUlT_E_NS1_11comp_targetILNS1_3genE4ELNS1_11target_archE910ELNS1_3gpuE8ELNS1_3repE0EEENS1_30default_config_static_selectorELNS0_4arch9wavefront6targetE0EEEvT1_
	.p2align	8
	.type	_ZN7rocprim17ROCPRIM_400000_NS6detail17trampoline_kernelINS0_14default_configENS1_35adjacent_difference_config_selectorILb0EsEEZNS1_24adjacent_difference_implIS3_Lb0ELb0EPKsPsN6thrust23THRUST_200600_302600_NS4plusIsEEEE10hipError_tPvRmT2_T3_mT4_P12ihipStream_tbEUlT_E_NS1_11comp_targetILNS1_3genE4ELNS1_11target_archE910ELNS1_3gpuE8ELNS1_3repE0EEENS1_30default_config_static_selectorELNS0_4arch9wavefront6targetE0EEEvT1_,@function
_ZN7rocprim17ROCPRIM_400000_NS6detail17trampoline_kernelINS0_14default_configENS1_35adjacent_difference_config_selectorILb0EsEEZNS1_24adjacent_difference_implIS3_Lb0ELb0EPKsPsN6thrust23THRUST_200600_302600_NS4plusIsEEEE10hipError_tPvRmT2_T3_mT4_P12ihipStream_tbEUlT_E_NS1_11comp_targetILNS1_3genE4ELNS1_11target_archE910ELNS1_3gpuE8ELNS1_3repE0EEENS1_30default_config_static_selectorELNS0_4arch9wavefront6targetE0EEEvT1_: ; @_ZN7rocprim17ROCPRIM_400000_NS6detail17trampoline_kernelINS0_14default_configENS1_35adjacent_difference_config_selectorILb0EsEEZNS1_24adjacent_difference_implIS3_Lb0ELb0EPKsPsN6thrust23THRUST_200600_302600_NS4plusIsEEEE10hipError_tPvRmT2_T3_mT4_P12ihipStream_tbEUlT_E_NS1_11comp_targetILNS1_3genE4ELNS1_11target_archE910ELNS1_3gpuE8ELNS1_3repE0EEENS1_30default_config_static_selectorELNS0_4arch9wavefront6targetE0EEEvT1_
; %bb.0:
	.section	.rodata,"a",@progbits
	.p2align	6, 0x0
	.amdhsa_kernel _ZN7rocprim17ROCPRIM_400000_NS6detail17trampoline_kernelINS0_14default_configENS1_35adjacent_difference_config_selectorILb0EsEEZNS1_24adjacent_difference_implIS3_Lb0ELb0EPKsPsN6thrust23THRUST_200600_302600_NS4plusIsEEEE10hipError_tPvRmT2_T3_mT4_P12ihipStream_tbEUlT_E_NS1_11comp_targetILNS1_3genE4ELNS1_11target_archE910ELNS1_3gpuE8ELNS1_3repE0EEENS1_30default_config_static_selectorELNS0_4arch9wavefront6targetE0EEEvT1_
		.amdhsa_group_segment_fixed_size 0
		.amdhsa_private_segment_fixed_size 0
		.amdhsa_kernarg_size 56
		.amdhsa_user_sgpr_count 15
		.amdhsa_user_sgpr_dispatch_ptr 0
		.amdhsa_user_sgpr_queue_ptr 0
		.amdhsa_user_sgpr_kernarg_segment_ptr 1
		.amdhsa_user_sgpr_dispatch_id 0
		.amdhsa_user_sgpr_private_segment_size 0
		.amdhsa_wavefront_size32 1
		.amdhsa_uses_dynamic_stack 0
		.amdhsa_enable_private_segment 0
		.amdhsa_system_sgpr_workgroup_id_x 1
		.amdhsa_system_sgpr_workgroup_id_y 0
		.amdhsa_system_sgpr_workgroup_id_z 0
		.amdhsa_system_sgpr_workgroup_info 0
		.amdhsa_system_vgpr_workitem_id 0
		.amdhsa_next_free_vgpr 1
		.amdhsa_next_free_sgpr 1
		.amdhsa_reserve_vcc 0
		.amdhsa_float_round_mode_32 0
		.amdhsa_float_round_mode_16_64 0
		.amdhsa_float_denorm_mode_32 3
		.amdhsa_float_denorm_mode_16_64 3
		.amdhsa_dx10_clamp 1
		.amdhsa_ieee_mode 1
		.amdhsa_fp16_overflow 0
		.amdhsa_workgroup_processor_mode 1
		.amdhsa_memory_ordered 1
		.amdhsa_forward_progress 0
		.amdhsa_shared_vgpr_count 0
		.amdhsa_exception_fp_ieee_invalid_op 0
		.amdhsa_exception_fp_denorm_src 0
		.amdhsa_exception_fp_ieee_div_zero 0
		.amdhsa_exception_fp_ieee_overflow 0
		.amdhsa_exception_fp_ieee_underflow 0
		.amdhsa_exception_fp_ieee_inexact 0
		.amdhsa_exception_int_div_zero 0
	.end_amdhsa_kernel
	.section	.text._ZN7rocprim17ROCPRIM_400000_NS6detail17trampoline_kernelINS0_14default_configENS1_35adjacent_difference_config_selectorILb0EsEEZNS1_24adjacent_difference_implIS3_Lb0ELb0EPKsPsN6thrust23THRUST_200600_302600_NS4plusIsEEEE10hipError_tPvRmT2_T3_mT4_P12ihipStream_tbEUlT_E_NS1_11comp_targetILNS1_3genE4ELNS1_11target_archE910ELNS1_3gpuE8ELNS1_3repE0EEENS1_30default_config_static_selectorELNS0_4arch9wavefront6targetE0EEEvT1_,"axG",@progbits,_ZN7rocprim17ROCPRIM_400000_NS6detail17trampoline_kernelINS0_14default_configENS1_35adjacent_difference_config_selectorILb0EsEEZNS1_24adjacent_difference_implIS3_Lb0ELb0EPKsPsN6thrust23THRUST_200600_302600_NS4plusIsEEEE10hipError_tPvRmT2_T3_mT4_P12ihipStream_tbEUlT_E_NS1_11comp_targetILNS1_3genE4ELNS1_11target_archE910ELNS1_3gpuE8ELNS1_3repE0EEENS1_30default_config_static_selectorELNS0_4arch9wavefront6targetE0EEEvT1_,comdat
.Lfunc_end751:
	.size	_ZN7rocprim17ROCPRIM_400000_NS6detail17trampoline_kernelINS0_14default_configENS1_35adjacent_difference_config_selectorILb0EsEEZNS1_24adjacent_difference_implIS3_Lb0ELb0EPKsPsN6thrust23THRUST_200600_302600_NS4plusIsEEEE10hipError_tPvRmT2_T3_mT4_P12ihipStream_tbEUlT_E_NS1_11comp_targetILNS1_3genE4ELNS1_11target_archE910ELNS1_3gpuE8ELNS1_3repE0EEENS1_30default_config_static_selectorELNS0_4arch9wavefront6targetE0EEEvT1_, .Lfunc_end751-_ZN7rocprim17ROCPRIM_400000_NS6detail17trampoline_kernelINS0_14default_configENS1_35adjacent_difference_config_selectorILb0EsEEZNS1_24adjacent_difference_implIS3_Lb0ELb0EPKsPsN6thrust23THRUST_200600_302600_NS4plusIsEEEE10hipError_tPvRmT2_T3_mT4_P12ihipStream_tbEUlT_E_NS1_11comp_targetILNS1_3genE4ELNS1_11target_archE910ELNS1_3gpuE8ELNS1_3repE0EEENS1_30default_config_static_selectorELNS0_4arch9wavefront6targetE0EEEvT1_
                                        ; -- End function
	.section	.AMDGPU.csdata,"",@progbits
; Kernel info:
; codeLenInByte = 0
; NumSgprs: 0
; NumVgprs: 0
; ScratchSize: 0
; MemoryBound: 0
; FloatMode: 240
; IeeeMode: 1
; LDSByteSize: 0 bytes/workgroup (compile time only)
; SGPRBlocks: 0
; VGPRBlocks: 0
; NumSGPRsForWavesPerEU: 1
; NumVGPRsForWavesPerEU: 1
; Occupancy: 16
; WaveLimiterHint : 0
; COMPUTE_PGM_RSRC2:SCRATCH_EN: 0
; COMPUTE_PGM_RSRC2:USER_SGPR: 15
; COMPUTE_PGM_RSRC2:TRAP_HANDLER: 0
; COMPUTE_PGM_RSRC2:TGID_X_EN: 1
; COMPUTE_PGM_RSRC2:TGID_Y_EN: 0
; COMPUTE_PGM_RSRC2:TGID_Z_EN: 0
; COMPUTE_PGM_RSRC2:TIDIG_COMP_CNT: 0
	.section	.text._ZN7rocprim17ROCPRIM_400000_NS6detail17trampoline_kernelINS0_14default_configENS1_35adjacent_difference_config_selectorILb0EsEEZNS1_24adjacent_difference_implIS3_Lb0ELb0EPKsPsN6thrust23THRUST_200600_302600_NS4plusIsEEEE10hipError_tPvRmT2_T3_mT4_P12ihipStream_tbEUlT_E_NS1_11comp_targetILNS1_3genE3ELNS1_11target_archE908ELNS1_3gpuE7ELNS1_3repE0EEENS1_30default_config_static_selectorELNS0_4arch9wavefront6targetE0EEEvT1_,"axG",@progbits,_ZN7rocprim17ROCPRIM_400000_NS6detail17trampoline_kernelINS0_14default_configENS1_35adjacent_difference_config_selectorILb0EsEEZNS1_24adjacent_difference_implIS3_Lb0ELb0EPKsPsN6thrust23THRUST_200600_302600_NS4plusIsEEEE10hipError_tPvRmT2_T3_mT4_P12ihipStream_tbEUlT_E_NS1_11comp_targetILNS1_3genE3ELNS1_11target_archE908ELNS1_3gpuE7ELNS1_3repE0EEENS1_30default_config_static_selectorELNS0_4arch9wavefront6targetE0EEEvT1_,comdat
	.protected	_ZN7rocprim17ROCPRIM_400000_NS6detail17trampoline_kernelINS0_14default_configENS1_35adjacent_difference_config_selectorILb0EsEEZNS1_24adjacent_difference_implIS3_Lb0ELb0EPKsPsN6thrust23THRUST_200600_302600_NS4plusIsEEEE10hipError_tPvRmT2_T3_mT4_P12ihipStream_tbEUlT_E_NS1_11comp_targetILNS1_3genE3ELNS1_11target_archE908ELNS1_3gpuE7ELNS1_3repE0EEENS1_30default_config_static_selectorELNS0_4arch9wavefront6targetE0EEEvT1_ ; -- Begin function _ZN7rocprim17ROCPRIM_400000_NS6detail17trampoline_kernelINS0_14default_configENS1_35adjacent_difference_config_selectorILb0EsEEZNS1_24adjacent_difference_implIS3_Lb0ELb0EPKsPsN6thrust23THRUST_200600_302600_NS4plusIsEEEE10hipError_tPvRmT2_T3_mT4_P12ihipStream_tbEUlT_E_NS1_11comp_targetILNS1_3genE3ELNS1_11target_archE908ELNS1_3gpuE7ELNS1_3repE0EEENS1_30default_config_static_selectorELNS0_4arch9wavefront6targetE0EEEvT1_
	.globl	_ZN7rocprim17ROCPRIM_400000_NS6detail17trampoline_kernelINS0_14default_configENS1_35adjacent_difference_config_selectorILb0EsEEZNS1_24adjacent_difference_implIS3_Lb0ELb0EPKsPsN6thrust23THRUST_200600_302600_NS4plusIsEEEE10hipError_tPvRmT2_T3_mT4_P12ihipStream_tbEUlT_E_NS1_11comp_targetILNS1_3genE3ELNS1_11target_archE908ELNS1_3gpuE7ELNS1_3repE0EEENS1_30default_config_static_selectorELNS0_4arch9wavefront6targetE0EEEvT1_
	.p2align	8
	.type	_ZN7rocprim17ROCPRIM_400000_NS6detail17trampoline_kernelINS0_14default_configENS1_35adjacent_difference_config_selectorILb0EsEEZNS1_24adjacent_difference_implIS3_Lb0ELb0EPKsPsN6thrust23THRUST_200600_302600_NS4plusIsEEEE10hipError_tPvRmT2_T3_mT4_P12ihipStream_tbEUlT_E_NS1_11comp_targetILNS1_3genE3ELNS1_11target_archE908ELNS1_3gpuE7ELNS1_3repE0EEENS1_30default_config_static_selectorELNS0_4arch9wavefront6targetE0EEEvT1_,@function
_ZN7rocprim17ROCPRIM_400000_NS6detail17trampoline_kernelINS0_14default_configENS1_35adjacent_difference_config_selectorILb0EsEEZNS1_24adjacent_difference_implIS3_Lb0ELb0EPKsPsN6thrust23THRUST_200600_302600_NS4plusIsEEEE10hipError_tPvRmT2_T3_mT4_P12ihipStream_tbEUlT_E_NS1_11comp_targetILNS1_3genE3ELNS1_11target_archE908ELNS1_3gpuE7ELNS1_3repE0EEENS1_30default_config_static_selectorELNS0_4arch9wavefront6targetE0EEEvT1_: ; @_ZN7rocprim17ROCPRIM_400000_NS6detail17trampoline_kernelINS0_14default_configENS1_35adjacent_difference_config_selectorILb0EsEEZNS1_24adjacent_difference_implIS3_Lb0ELb0EPKsPsN6thrust23THRUST_200600_302600_NS4plusIsEEEE10hipError_tPvRmT2_T3_mT4_P12ihipStream_tbEUlT_E_NS1_11comp_targetILNS1_3genE3ELNS1_11target_archE908ELNS1_3gpuE7ELNS1_3repE0EEENS1_30default_config_static_selectorELNS0_4arch9wavefront6targetE0EEEvT1_
; %bb.0:
	.section	.rodata,"a",@progbits
	.p2align	6, 0x0
	.amdhsa_kernel _ZN7rocprim17ROCPRIM_400000_NS6detail17trampoline_kernelINS0_14default_configENS1_35adjacent_difference_config_selectorILb0EsEEZNS1_24adjacent_difference_implIS3_Lb0ELb0EPKsPsN6thrust23THRUST_200600_302600_NS4plusIsEEEE10hipError_tPvRmT2_T3_mT4_P12ihipStream_tbEUlT_E_NS1_11comp_targetILNS1_3genE3ELNS1_11target_archE908ELNS1_3gpuE7ELNS1_3repE0EEENS1_30default_config_static_selectorELNS0_4arch9wavefront6targetE0EEEvT1_
		.amdhsa_group_segment_fixed_size 0
		.amdhsa_private_segment_fixed_size 0
		.amdhsa_kernarg_size 56
		.amdhsa_user_sgpr_count 15
		.amdhsa_user_sgpr_dispatch_ptr 0
		.amdhsa_user_sgpr_queue_ptr 0
		.amdhsa_user_sgpr_kernarg_segment_ptr 1
		.amdhsa_user_sgpr_dispatch_id 0
		.amdhsa_user_sgpr_private_segment_size 0
		.amdhsa_wavefront_size32 1
		.amdhsa_uses_dynamic_stack 0
		.amdhsa_enable_private_segment 0
		.amdhsa_system_sgpr_workgroup_id_x 1
		.amdhsa_system_sgpr_workgroup_id_y 0
		.amdhsa_system_sgpr_workgroup_id_z 0
		.amdhsa_system_sgpr_workgroup_info 0
		.amdhsa_system_vgpr_workitem_id 0
		.amdhsa_next_free_vgpr 1
		.amdhsa_next_free_sgpr 1
		.amdhsa_reserve_vcc 0
		.amdhsa_float_round_mode_32 0
		.amdhsa_float_round_mode_16_64 0
		.amdhsa_float_denorm_mode_32 3
		.amdhsa_float_denorm_mode_16_64 3
		.amdhsa_dx10_clamp 1
		.amdhsa_ieee_mode 1
		.amdhsa_fp16_overflow 0
		.amdhsa_workgroup_processor_mode 1
		.amdhsa_memory_ordered 1
		.amdhsa_forward_progress 0
		.amdhsa_shared_vgpr_count 0
		.amdhsa_exception_fp_ieee_invalid_op 0
		.amdhsa_exception_fp_denorm_src 0
		.amdhsa_exception_fp_ieee_div_zero 0
		.amdhsa_exception_fp_ieee_overflow 0
		.amdhsa_exception_fp_ieee_underflow 0
		.amdhsa_exception_fp_ieee_inexact 0
		.amdhsa_exception_int_div_zero 0
	.end_amdhsa_kernel
	.section	.text._ZN7rocprim17ROCPRIM_400000_NS6detail17trampoline_kernelINS0_14default_configENS1_35adjacent_difference_config_selectorILb0EsEEZNS1_24adjacent_difference_implIS3_Lb0ELb0EPKsPsN6thrust23THRUST_200600_302600_NS4plusIsEEEE10hipError_tPvRmT2_T3_mT4_P12ihipStream_tbEUlT_E_NS1_11comp_targetILNS1_3genE3ELNS1_11target_archE908ELNS1_3gpuE7ELNS1_3repE0EEENS1_30default_config_static_selectorELNS0_4arch9wavefront6targetE0EEEvT1_,"axG",@progbits,_ZN7rocprim17ROCPRIM_400000_NS6detail17trampoline_kernelINS0_14default_configENS1_35adjacent_difference_config_selectorILb0EsEEZNS1_24adjacent_difference_implIS3_Lb0ELb0EPKsPsN6thrust23THRUST_200600_302600_NS4plusIsEEEE10hipError_tPvRmT2_T3_mT4_P12ihipStream_tbEUlT_E_NS1_11comp_targetILNS1_3genE3ELNS1_11target_archE908ELNS1_3gpuE7ELNS1_3repE0EEENS1_30default_config_static_selectorELNS0_4arch9wavefront6targetE0EEEvT1_,comdat
.Lfunc_end752:
	.size	_ZN7rocprim17ROCPRIM_400000_NS6detail17trampoline_kernelINS0_14default_configENS1_35adjacent_difference_config_selectorILb0EsEEZNS1_24adjacent_difference_implIS3_Lb0ELb0EPKsPsN6thrust23THRUST_200600_302600_NS4plusIsEEEE10hipError_tPvRmT2_T3_mT4_P12ihipStream_tbEUlT_E_NS1_11comp_targetILNS1_3genE3ELNS1_11target_archE908ELNS1_3gpuE7ELNS1_3repE0EEENS1_30default_config_static_selectorELNS0_4arch9wavefront6targetE0EEEvT1_, .Lfunc_end752-_ZN7rocprim17ROCPRIM_400000_NS6detail17trampoline_kernelINS0_14default_configENS1_35adjacent_difference_config_selectorILb0EsEEZNS1_24adjacent_difference_implIS3_Lb0ELb0EPKsPsN6thrust23THRUST_200600_302600_NS4plusIsEEEE10hipError_tPvRmT2_T3_mT4_P12ihipStream_tbEUlT_E_NS1_11comp_targetILNS1_3genE3ELNS1_11target_archE908ELNS1_3gpuE7ELNS1_3repE0EEENS1_30default_config_static_selectorELNS0_4arch9wavefront6targetE0EEEvT1_
                                        ; -- End function
	.section	.AMDGPU.csdata,"",@progbits
; Kernel info:
; codeLenInByte = 0
; NumSgprs: 0
; NumVgprs: 0
; ScratchSize: 0
; MemoryBound: 0
; FloatMode: 240
; IeeeMode: 1
; LDSByteSize: 0 bytes/workgroup (compile time only)
; SGPRBlocks: 0
; VGPRBlocks: 0
; NumSGPRsForWavesPerEU: 1
; NumVGPRsForWavesPerEU: 1
; Occupancy: 16
; WaveLimiterHint : 0
; COMPUTE_PGM_RSRC2:SCRATCH_EN: 0
; COMPUTE_PGM_RSRC2:USER_SGPR: 15
; COMPUTE_PGM_RSRC2:TRAP_HANDLER: 0
; COMPUTE_PGM_RSRC2:TGID_X_EN: 1
; COMPUTE_PGM_RSRC2:TGID_Y_EN: 0
; COMPUTE_PGM_RSRC2:TGID_Z_EN: 0
; COMPUTE_PGM_RSRC2:TIDIG_COMP_CNT: 0
	.section	.text._ZN7rocprim17ROCPRIM_400000_NS6detail17trampoline_kernelINS0_14default_configENS1_35adjacent_difference_config_selectorILb0EsEEZNS1_24adjacent_difference_implIS3_Lb0ELb0EPKsPsN6thrust23THRUST_200600_302600_NS4plusIsEEEE10hipError_tPvRmT2_T3_mT4_P12ihipStream_tbEUlT_E_NS1_11comp_targetILNS1_3genE2ELNS1_11target_archE906ELNS1_3gpuE6ELNS1_3repE0EEENS1_30default_config_static_selectorELNS0_4arch9wavefront6targetE0EEEvT1_,"axG",@progbits,_ZN7rocprim17ROCPRIM_400000_NS6detail17trampoline_kernelINS0_14default_configENS1_35adjacent_difference_config_selectorILb0EsEEZNS1_24adjacent_difference_implIS3_Lb0ELb0EPKsPsN6thrust23THRUST_200600_302600_NS4plusIsEEEE10hipError_tPvRmT2_T3_mT4_P12ihipStream_tbEUlT_E_NS1_11comp_targetILNS1_3genE2ELNS1_11target_archE906ELNS1_3gpuE6ELNS1_3repE0EEENS1_30default_config_static_selectorELNS0_4arch9wavefront6targetE0EEEvT1_,comdat
	.protected	_ZN7rocprim17ROCPRIM_400000_NS6detail17trampoline_kernelINS0_14default_configENS1_35adjacent_difference_config_selectorILb0EsEEZNS1_24adjacent_difference_implIS3_Lb0ELb0EPKsPsN6thrust23THRUST_200600_302600_NS4plusIsEEEE10hipError_tPvRmT2_T3_mT4_P12ihipStream_tbEUlT_E_NS1_11comp_targetILNS1_3genE2ELNS1_11target_archE906ELNS1_3gpuE6ELNS1_3repE0EEENS1_30default_config_static_selectorELNS0_4arch9wavefront6targetE0EEEvT1_ ; -- Begin function _ZN7rocprim17ROCPRIM_400000_NS6detail17trampoline_kernelINS0_14default_configENS1_35adjacent_difference_config_selectorILb0EsEEZNS1_24adjacent_difference_implIS3_Lb0ELb0EPKsPsN6thrust23THRUST_200600_302600_NS4plusIsEEEE10hipError_tPvRmT2_T3_mT4_P12ihipStream_tbEUlT_E_NS1_11comp_targetILNS1_3genE2ELNS1_11target_archE906ELNS1_3gpuE6ELNS1_3repE0EEENS1_30default_config_static_selectorELNS0_4arch9wavefront6targetE0EEEvT1_
	.globl	_ZN7rocprim17ROCPRIM_400000_NS6detail17trampoline_kernelINS0_14default_configENS1_35adjacent_difference_config_selectorILb0EsEEZNS1_24adjacent_difference_implIS3_Lb0ELb0EPKsPsN6thrust23THRUST_200600_302600_NS4plusIsEEEE10hipError_tPvRmT2_T3_mT4_P12ihipStream_tbEUlT_E_NS1_11comp_targetILNS1_3genE2ELNS1_11target_archE906ELNS1_3gpuE6ELNS1_3repE0EEENS1_30default_config_static_selectorELNS0_4arch9wavefront6targetE0EEEvT1_
	.p2align	8
	.type	_ZN7rocprim17ROCPRIM_400000_NS6detail17trampoline_kernelINS0_14default_configENS1_35adjacent_difference_config_selectorILb0EsEEZNS1_24adjacent_difference_implIS3_Lb0ELb0EPKsPsN6thrust23THRUST_200600_302600_NS4plusIsEEEE10hipError_tPvRmT2_T3_mT4_P12ihipStream_tbEUlT_E_NS1_11comp_targetILNS1_3genE2ELNS1_11target_archE906ELNS1_3gpuE6ELNS1_3repE0EEENS1_30default_config_static_selectorELNS0_4arch9wavefront6targetE0EEEvT1_,@function
_ZN7rocprim17ROCPRIM_400000_NS6detail17trampoline_kernelINS0_14default_configENS1_35adjacent_difference_config_selectorILb0EsEEZNS1_24adjacent_difference_implIS3_Lb0ELb0EPKsPsN6thrust23THRUST_200600_302600_NS4plusIsEEEE10hipError_tPvRmT2_T3_mT4_P12ihipStream_tbEUlT_E_NS1_11comp_targetILNS1_3genE2ELNS1_11target_archE906ELNS1_3gpuE6ELNS1_3repE0EEENS1_30default_config_static_selectorELNS0_4arch9wavefront6targetE0EEEvT1_: ; @_ZN7rocprim17ROCPRIM_400000_NS6detail17trampoline_kernelINS0_14default_configENS1_35adjacent_difference_config_selectorILb0EsEEZNS1_24adjacent_difference_implIS3_Lb0ELb0EPKsPsN6thrust23THRUST_200600_302600_NS4plusIsEEEE10hipError_tPvRmT2_T3_mT4_P12ihipStream_tbEUlT_E_NS1_11comp_targetILNS1_3genE2ELNS1_11target_archE906ELNS1_3gpuE6ELNS1_3repE0EEENS1_30default_config_static_selectorELNS0_4arch9wavefront6targetE0EEEvT1_
; %bb.0:
	.section	.rodata,"a",@progbits
	.p2align	6, 0x0
	.amdhsa_kernel _ZN7rocprim17ROCPRIM_400000_NS6detail17trampoline_kernelINS0_14default_configENS1_35adjacent_difference_config_selectorILb0EsEEZNS1_24adjacent_difference_implIS3_Lb0ELb0EPKsPsN6thrust23THRUST_200600_302600_NS4plusIsEEEE10hipError_tPvRmT2_T3_mT4_P12ihipStream_tbEUlT_E_NS1_11comp_targetILNS1_3genE2ELNS1_11target_archE906ELNS1_3gpuE6ELNS1_3repE0EEENS1_30default_config_static_selectorELNS0_4arch9wavefront6targetE0EEEvT1_
		.amdhsa_group_segment_fixed_size 0
		.amdhsa_private_segment_fixed_size 0
		.amdhsa_kernarg_size 56
		.amdhsa_user_sgpr_count 15
		.amdhsa_user_sgpr_dispatch_ptr 0
		.amdhsa_user_sgpr_queue_ptr 0
		.amdhsa_user_sgpr_kernarg_segment_ptr 1
		.amdhsa_user_sgpr_dispatch_id 0
		.amdhsa_user_sgpr_private_segment_size 0
		.amdhsa_wavefront_size32 1
		.amdhsa_uses_dynamic_stack 0
		.amdhsa_enable_private_segment 0
		.amdhsa_system_sgpr_workgroup_id_x 1
		.amdhsa_system_sgpr_workgroup_id_y 0
		.amdhsa_system_sgpr_workgroup_id_z 0
		.amdhsa_system_sgpr_workgroup_info 0
		.amdhsa_system_vgpr_workitem_id 0
		.amdhsa_next_free_vgpr 1
		.amdhsa_next_free_sgpr 1
		.amdhsa_reserve_vcc 0
		.amdhsa_float_round_mode_32 0
		.amdhsa_float_round_mode_16_64 0
		.amdhsa_float_denorm_mode_32 3
		.amdhsa_float_denorm_mode_16_64 3
		.amdhsa_dx10_clamp 1
		.amdhsa_ieee_mode 1
		.amdhsa_fp16_overflow 0
		.amdhsa_workgroup_processor_mode 1
		.amdhsa_memory_ordered 1
		.amdhsa_forward_progress 0
		.amdhsa_shared_vgpr_count 0
		.amdhsa_exception_fp_ieee_invalid_op 0
		.amdhsa_exception_fp_denorm_src 0
		.amdhsa_exception_fp_ieee_div_zero 0
		.amdhsa_exception_fp_ieee_overflow 0
		.amdhsa_exception_fp_ieee_underflow 0
		.amdhsa_exception_fp_ieee_inexact 0
		.amdhsa_exception_int_div_zero 0
	.end_amdhsa_kernel
	.section	.text._ZN7rocprim17ROCPRIM_400000_NS6detail17trampoline_kernelINS0_14default_configENS1_35adjacent_difference_config_selectorILb0EsEEZNS1_24adjacent_difference_implIS3_Lb0ELb0EPKsPsN6thrust23THRUST_200600_302600_NS4plusIsEEEE10hipError_tPvRmT2_T3_mT4_P12ihipStream_tbEUlT_E_NS1_11comp_targetILNS1_3genE2ELNS1_11target_archE906ELNS1_3gpuE6ELNS1_3repE0EEENS1_30default_config_static_selectorELNS0_4arch9wavefront6targetE0EEEvT1_,"axG",@progbits,_ZN7rocprim17ROCPRIM_400000_NS6detail17trampoline_kernelINS0_14default_configENS1_35adjacent_difference_config_selectorILb0EsEEZNS1_24adjacent_difference_implIS3_Lb0ELb0EPKsPsN6thrust23THRUST_200600_302600_NS4plusIsEEEE10hipError_tPvRmT2_T3_mT4_P12ihipStream_tbEUlT_E_NS1_11comp_targetILNS1_3genE2ELNS1_11target_archE906ELNS1_3gpuE6ELNS1_3repE0EEENS1_30default_config_static_selectorELNS0_4arch9wavefront6targetE0EEEvT1_,comdat
.Lfunc_end753:
	.size	_ZN7rocprim17ROCPRIM_400000_NS6detail17trampoline_kernelINS0_14default_configENS1_35adjacent_difference_config_selectorILb0EsEEZNS1_24adjacent_difference_implIS3_Lb0ELb0EPKsPsN6thrust23THRUST_200600_302600_NS4plusIsEEEE10hipError_tPvRmT2_T3_mT4_P12ihipStream_tbEUlT_E_NS1_11comp_targetILNS1_3genE2ELNS1_11target_archE906ELNS1_3gpuE6ELNS1_3repE0EEENS1_30default_config_static_selectorELNS0_4arch9wavefront6targetE0EEEvT1_, .Lfunc_end753-_ZN7rocprim17ROCPRIM_400000_NS6detail17trampoline_kernelINS0_14default_configENS1_35adjacent_difference_config_selectorILb0EsEEZNS1_24adjacent_difference_implIS3_Lb0ELb0EPKsPsN6thrust23THRUST_200600_302600_NS4plusIsEEEE10hipError_tPvRmT2_T3_mT4_P12ihipStream_tbEUlT_E_NS1_11comp_targetILNS1_3genE2ELNS1_11target_archE906ELNS1_3gpuE6ELNS1_3repE0EEENS1_30default_config_static_selectorELNS0_4arch9wavefront6targetE0EEEvT1_
                                        ; -- End function
	.section	.AMDGPU.csdata,"",@progbits
; Kernel info:
; codeLenInByte = 0
; NumSgprs: 0
; NumVgprs: 0
; ScratchSize: 0
; MemoryBound: 0
; FloatMode: 240
; IeeeMode: 1
; LDSByteSize: 0 bytes/workgroup (compile time only)
; SGPRBlocks: 0
; VGPRBlocks: 0
; NumSGPRsForWavesPerEU: 1
; NumVGPRsForWavesPerEU: 1
; Occupancy: 16
; WaveLimiterHint : 0
; COMPUTE_PGM_RSRC2:SCRATCH_EN: 0
; COMPUTE_PGM_RSRC2:USER_SGPR: 15
; COMPUTE_PGM_RSRC2:TRAP_HANDLER: 0
; COMPUTE_PGM_RSRC2:TGID_X_EN: 1
; COMPUTE_PGM_RSRC2:TGID_Y_EN: 0
; COMPUTE_PGM_RSRC2:TGID_Z_EN: 0
; COMPUTE_PGM_RSRC2:TIDIG_COMP_CNT: 0
	.section	.text._ZN7rocprim17ROCPRIM_400000_NS6detail17trampoline_kernelINS0_14default_configENS1_35adjacent_difference_config_selectorILb0EsEEZNS1_24adjacent_difference_implIS3_Lb0ELb0EPKsPsN6thrust23THRUST_200600_302600_NS4plusIsEEEE10hipError_tPvRmT2_T3_mT4_P12ihipStream_tbEUlT_E_NS1_11comp_targetILNS1_3genE9ELNS1_11target_archE1100ELNS1_3gpuE3ELNS1_3repE0EEENS1_30default_config_static_selectorELNS0_4arch9wavefront6targetE0EEEvT1_,"axG",@progbits,_ZN7rocprim17ROCPRIM_400000_NS6detail17trampoline_kernelINS0_14default_configENS1_35adjacent_difference_config_selectorILb0EsEEZNS1_24adjacent_difference_implIS3_Lb0ELb0EPKsPsN6thrust23THRUST_200600_302600_NS4plusIsEEEE10hipError_tPvRmT2_T3_mT4_P12ihipStream_tbEUlT_E_NS1_11comp_targetILNS1_3genE9ELNS1_11target_archE1100ELNS1_3gpuE3ELNS1_3repE0EEENS1_30default_config_static_selectorELNS0_4arch9wavefront6targetE0EEEvT1_,comdat
	.protected	_ZN7rocprim17ROCPRIM_400000_NS6detail17trampoline_kernelINS0_14default_configENS1_35adjacent_difference_config_selectorILb0EsEEZNS1_24adjacent_difference_implIS3_Lb0ELb0EPKsPsN6thrust23THRUST_200600_302600_NS4plusIsEEEE10hipError_tPvRmT2_T3_mT4_P12ihipStream_tbEUlT_E_NS1_11comp_targetILNS1_3genE9ELNS1_11target_archE1100ELNS1_3gpuE3ELNS1_3repE0EEENS1_30default_config_static_selectorELNS0_4arch9wavefront6targetE0EEEvT1_ ; -- Begin function _ZN7rocprim17ROCPRIM_400000_NS6detail17trampoline_kernelINS0_14default_configENS1_35adjacent_difference_config_selectorILb0EsEEZNS1_24adjacent_difference_implIS3_Lb0ELb0EPKsPsN6thrust23THRUST_200600_302600_NS4plusIsEEEE10hipError_tPvRmT2_T3_mT4_P12ihipStream_tbEUlT_E_NS1_11comp_targetILNS1_3genE9ELNS1_11target_archE1100ELNS1_3gpuE3ELNS1_3repE0EEENS1_30default_config_static_selectorELNS0_4arch9wavefront6targetE0EEEvT1_
	.globl	_ZN7rocprim17ROCPRIM_400000_NS6detail17trampoline_kernelINS0_14default_configENS1_35adjacent_difference_config_selectorILb0EsEEZNS1_24adjacent_difference_implIS3_Lb0ELb0EPKsPsN6thrust23THRUST_200600_302600_NS4plusIsEEEE10hipError_tPvRmT2_T3_mT4_P12ihipStream_tbEUlT_E_NS1_11comp_targetILNS1_3genE9ELNS1_11target_archE1100ELNS1_3gpuE3ELNS1_3repE0EEENS1_30default_config_static_selectorELNS0_4arch9wavefront6targetE0EEEvT1_
	.p2align	8
	.type	_ZN7rocprim17ROCPRIM_400000_NS6detail17trampoline_kernelINS0_14default_configENS1_35adjacent_difference_config_selectorILb0EsEEZNS1_24adjacent_difference_implIS3_Lb0ELb0EPKsPsN6thrust23THRUST_200600_302600_NS4plusIsEEEE10hipError_tPvRmT2_T3_mT4_P12ihipStream_tbEUlT_E_NS1_11comp_targetILNS1_3genE9ELNS1_11target_archE1100ELNS1_3gpuE3ELNS1_3repE0EEENS1_30default_config_static_selectorELNS0_4arch9wavefront6targetE0EEEvT1_,@function
_ZN7rocprim17ROCPRIM_400000_NS6detail17trampoline_kernelINS0_14default_configENS1_35adjacent_difference_config_selectorILb0EsEEZNS1_24adjacent_difference_implIS3_Lb0ELb0EPKsPsN6thrust23THRUST_200600_302600_NS4plusIsEEEE10hipError_tPvRmT2_T3_mT4_P12ihipStream_tbEUlT_E_NS1_11comp_targetILNS1_3genE9ELNS1_11target_archE1100ELNS1_3gpuE3ELNS1_3repE0EEENS1_30default_config_static_selectorELNS0_4arch9wavefront6targetE0EEEvT1_: ; @_ZN7rocprim17ROCPRIM_400000_NS6detail17trampoline_kernelINS0_14default_configENS1_35adjacent_difference_config_selectorILb0EsEEZNS1_24adjacent_difference_implIS3_Lb0ELb0EPKsPsN6thrust23THRUST_200600_302600_NS4plusIsEEEE10hipError_tPvRmT2_T3_mT4_P12ihipStream_tbEUlT_E_NS1_11comp_targetILNS1_3genE9ELNS1_11target_archE1100ELNS1_3gpuE3ELNS1_3repE0EEENS1_30default_config_static_selectorELNS0_4arch9wavefront6targetE0EEEvT1_
; %bb.0:
	s_load_b256 s[4:11], s[0:1], 0x0
	s_waitcnt lgkmcnt(0)
	s_lshl_b64 s[6:7], s[6:7], 1
	s_delay_alu instid0(SALU_CYCLE_1)
	s_add_u32 s17, s4, s6
	s_addc_u32 s18, s5, s7
	s_add_u32 s2, 0, 0x45249
	s_addc_u32 s3, 0, 0
	;; [unrolled: 2-line block ×3, first 2 shown]
	s_addc_u32 s3, 0, 0
	s_add_u32 s2, s2, 0
	s_addc_u32 s3, 0, s3
	v_add_co_u32 v1, s2, 0x92492040, s2
	s_delay_alu instid0(VALU_DEP_1) | instskip(SKIP_1) | instid1(VALU_DEP_1)
	s_cmp_lg_u32 s2, 0
	s_addc_u32 s2, s3, 0x924924
	v_readfirstlane_b32 s3, v1
	s_mul_i32 s5, s10, s2
	s_mul_hi_u32 s4, s10, s2
	s_mul_hi_u32 s12, s11, s2
	s_mul_i32 s2, s11, s2
	s_mul_hi_u32 s13, s10, s3
	s_mul_hi_u32 s14, s11, s3
	s_mul_i32 s3, s11, s3
	s_add_u32 s5, s13, s5
	s_addc_u32 s4, 0, s4
	s_add_u32 s3, s5, s3
	s_addc_u32 s3, s4, s14
	s_addc_u32 s4, s12, 0
	s_add_u32 s5, s3, s2
	s_addc_u32 s4, 0, s4
	s_mul_i32 s3, s5, 0x1c0
	s_add_u32 s2, s5, 1
	v_sub_co_u32 v1, s3, s10, s3
	s_mul_hi_u32 s12, s5, 0x1c0
	s_addc_u32 s13, s4, 0
	s_mul_i32 s14, s4, 0x1c0
	s_delay_alu instid0(VALU_DEP_1)
	v_subrev_co_u32 v2, s16, 0x1c0, v1
	s_add_u32 s19, s5, 2
	s_addc_u32 s20, s4, 0
	s_add_i32 s12, s12, s14
	s_cmp_lg_u32 s3, 0
	v_readfirstlane_b32 s3, v2
	s_subb_u32 s12, s11, s12
	s_cmp_lg_u32 s16, 0
	s_subb_u32 s14, s12, 0
	s_delay_alu instid0(VALU_DEP_1) | instskip(SKIP_4) | instid1(SALU_CYCLE_1)
	s_cmpk_gt_u32 s3, 0x1bf
	s_cselect_b32 s3, -1, 0
	s_cmp_eq_u32 s14, 0
	v_readfirstlane_b32 s14, v1
	s_cselect_b32 s3, s3, -1
	s_cmp_lg_u32 s3, 0
	s_cselect_b32 s16, s19, s2
	s_cselect_b32 s13, s20, s13
	s_cmpk_gt_u32 s14, 0x1bf
	s_mov_b32 s14, -1
	s_cselect_b32 s2, -1, 0
	s_cmp_eq_u32 s12, 0
	s_cselect_b32 s2, s2, -1
	s_delay_alu instid0(SALU_CYCLE_1)
	s_cmp_lg_u32 s2, 0
	s_load_b64 s[2:3], s[0:1], 0x30
	s_cselect_b32 s4, s13, s4
	s_cselect_b32 s5, s16, s5
	s_mul_i32 s0, s4, 0x1c0
	s_mul_hi_u32 s1, s5, 0x1c0
	s_mul_i32 s12, s5, 0x1c0
	s_add_i32 s1, s1, s0
	s_sub_u32 s0, s10, s12
	s_subb_u32 s1, s11, s1
	s_delay_alu instid0(SALU_CYCLE_1) | instskip(SKIP_1) | instid1(SALU_CYCLE_1)
	s_cmp_lg_u64 s[0:1], 0
	s_cselect_b32 s0, -1, 0
	v_cndmask_b32_e64 v1, 0, 1, s0
	s_delay_alu instid0(VALU_DEP_1) | instskip(NEXT) | instid1(VALU_DEP_1)
	v_readfirstlane_b32 s0, v1
	s_add_u32 s0, s5, s0
	s_addc_u32 s1, s4, 0
	s_waitcnt lgkmcnt(0)
	s_add_u32 s4, s2, s15
	s_addc_u32 s5, s3, 0
	s_add_u32 s12, s0, -1
	s_addc_u32 s13, s1, -1
	s_mul_i32 s2, s15, 0x1c0
	v_cmp_ge_u64_e64 s16, s[4:5], s[12:13]
	s_mov_b32 s3, 0
	s_mul_i32 s11, s12, 0xfffffe40
	s_delay_alu instid0(VALU_DEP_1)
	s_and_b32 vcc_lo, exec_lo, s16
	s_cbranch_vccz .LBB754_16
; %bb.1:
	s_lshl_b64 s[14:15], s[2:3], 1
	s_add_i32 s19, s11, s10
	s_add_u32 s14, s17, s14
	s_addc_u32 s15, s18, s15
	s_mov_b32 s3, exec_lo
                                        ; implicit-def: $vgpr1_vgpr2_vgpr3_vgpr4
	v_cmpx_gt_u32_e64 s19, v0
	s_cbranch_execz .LBB754_3
; %bb.2:
	v_lshlrev_b32_e32 v1, 1, v0
	global_load_d16_b16 v1, v1, s[14:15]
.LBB754_3:
	s_or_b32 exec_lo, exec_lo, s3
	v_or_b32_e32 v5, 64, v0
	s_mov_b32 s3, exec_lo
	s_delay_alu instid0(VALU_DEP_1)
	v_cmpx_gt_u32_e64 s19, v5
	s_cbranch_execz .LBB754_5
; %bb.4:
	v_lshlrev_b32_e32 v5, 1, v0
	global_load_d16_hi_b16 v1, v5, s[14:15] offset:128
.LBB754_5:
	s_or_b32 exec_lo, exec_lo, s3
	v_or_b32_e32 v5, 0x80, v0
	s_mov_b32 s3, exec_lo
	s_delay_alu instid0(VALU_DEP_1)
	v_cmpx_gt_u32_e64 s19, v5
	s_cbranch_execz .LBB754_7
; %bb.6:
	v_lshlrev_b32_e32 v5, 1, v0
	global_load_d16_b16 v2, v5, s[14:15] offset:256
.LBB754_7:
	s_or_b32 exec_lo, exec_lo, s3
	v_or_b32_e32 v5, 0xc0, v0
	s_mov_b32 s3, exec_lo
	s_delay_alu instid0(VALU_DEP_1)
	v_cmpx_gt_u32_e64 s19, v5
	s_cbranch_execz .LBB754_9
; %bb.8:
	v_lshlrev_b32_e32 v5, 1, v0
	global_load_d16_hi_b16 v2, v5, s[14:15] offset:384
.LBB754_9:
	s_or_b32 exec_lo, exec_lo, s3
	v_or_b32_e32 v5, 0x100, v0
	s_mov_b32 s3, exec_lo
	s_delay_alu instid0(VALU_DEP_1)
	v_cmpx_gt_u32_e64 s19, v5
	s_cbranch_execz .LBB754_11
; %bb.10:
	v_lshlrev_b32_e32 v5, 1, v0
	global_load_d16_b16 v3, v5, s[14:15] offset:512
.LBB754_11:
	;; [unrolled: 20-line block ×3, first 2 shown]
	s_or_b32 exec_lo, exec_lo, s3
	v_lshlrev_b32_e32 v5, 1, v0
	s_mov_b32 s14, 0
	s_waitcnt vmcnt(0)
	ds_store_b16 v5, v1
	ds_store_b16_d16_hi v5, v1 offset:128
	ds_store_b16 v5, v2 offset:256
	ds_store_b16_d16_hi v5, v2 offset:384
	ds_store_b16 v5, v3 offset:512
	;; [unrolled: 2-line block ×3, first 2 shown]
	s_waitcnt lgkmcnt(0)
	s_barrier
.LBB754_16:
	v_lshlrev_b32_e32 v8, 1, v0
	s_and_b32 vcc_lo, exec_lo, s14
	s_cbranch_vccz .LBB754_18
; %bb.17:
	s_mov_b32 s3, 0
	s_delay_alu instid0(SALU_CYCLE_1) | instskip(NEXT) | instid1(SALU_CYCLE_1)
	s_lshl_b64 s[14:15], s[2:3], 1
	s_add_u32 s14, s17, s14
	s_addc_u32 s15, s18, s15
	s_clause 0x6
	global_load_u16 v1, v8, s[14:15]
	global_load_u16 v2, v8, s[14:15] offset:128
	global_load_u16 v3, v8, s[14:15] offset:256
	global_load_u16 v4, v8, s[14:15] offset:384
	global_load_u16 v5, v8, s[14:15] offset:512
	global_load_u16 v6, v8, s[14:15] offset:640
	global_load_u16 v7, v8, s[14:15] offset:768
	s_waitcnt vmcnt(6)
	ds_store_b16 v8, v1
	s_waitcnt vmcnt(5)
	ds_store_b16 v8, v2 offset:128
	s_waitcnt vmcnt(4)
	ds_store_b16 v8, v3 offset:256
	;; [unrolled: 2-line block ×6, first 2 shown]
	s_waitcnt lgkmcnt(0)
	s_barrier
.LBB754_18:
	v_mul_u32_u24_e32 v1, 7, v0
	buffer_gl0_inv
	s_cmp_eq_u64 s[4:5], 0
	v_lshlrev_b32_e32 v1, 1, v1
	ds_load_b96 v[5:7], v1
	ds_load_u16 v11, v1 offset:12
	s_waitcnt lgkmcnt(0)
	s_barrier
	buffer_gl0_inv
	v_lshrrev_b32_e32 v10, 16, v5
	v_lshrrev_b32_e32 v12, 16, v6
	;; [unrolled: 1-line block ×3, first 2 shown]
	s_cbranch_scc1 .LBB754_23
; %bb.19:
	s_mov_b32 s3, 0
	v_mov_b32_e32 v1, 0
	s_lshl_b64 s[14:15], s[2:3], 1
	s_delay_alu instid0(SALU_CYCLE_1)
	s_add_u32 s14, s17, s14
	s_addc_u32 s15, s18, s15
	s_cmp_eq_u64 s[4:5], s[12:13]
	global_load_u16 v15, v1, s[14:15] offset:-2
	s_cbranch_scc1 .LBB754_24
; %bb.20:
	v_add_nc_u16 v3, v13, v7
	v_add_nc_u16 v4, v7, v12
	;; [unrolled: 1-line block ×5, first 2 shown]
	s_waitcnt vmcnt(0)
	v_mov_b32_e32 v14, v15
	s_mov_b32 s3, exec_lo
	ds_store_b16 v8, v11
	s_waitcnt lgkmcnt(0)
	s_barrier
	buffer_gl0_inv
	v_cmpx_ne_u32_e32 0, v0
	s_cbranch_execz .LBB754_22
; %bb.21:
	v_add_nc_u32_e32 v9, -2, v8
	ds_load_u16 v14, v9
.LBB754_22:
	s_or_b32 exec_lo, exec_lo, s3
	v_add_nc_u16 v9, v11, v13
	v_lshlrev_b32_e32 v1, 16, v1
	v_perm_b32 v2, v2, v16, 0x5040100
	v_perm_b32 v3, v3, v4, 0x5040100
	s_cbranch_execz .LBB754_25
	s_branch .LBB754_28
.LBB754_23:
	s_mov_b32 s3, 0
                                        ; implicit-def: $vgpr9
                                        ; implicit-def: $vgpr14
                                        ; implicit-def: $vgpr1_vgpr2_vgpr3_vgpr4
	s_branch .LBB754_29
.LBB754_24:
                                        ; implicit-def: $vgpr9
                                        ; implicit-def: $vgpr14
                                        ; implicit-def: $vgpr1_vgpr2_vgpr3_vgpr4
.LBB754_25:
	v_mul_u32_u24_e32 v4, 7, v0
	s_mov_b32 s3, exec_lo
	ds_store_b16 v8, v11
	s_waitcnt vmcnt(0) lgkmcnt(0)
	s_barrier
	buffer_gl0_inv
	v_cmpx_ne_u32_e32 0, v0
	s_cbranch_execz .LBB754_27
; %bb.26:
	v_add_nc_u32_e32 v1, -2, v8
	ds_load_u16 v15, v1
.LBB754_27:
	s_or_b32 exec_lo, exec_lo, s3
	v_add_nc_u16 v3, v11, v13
	v_add_nc_u32_e32 v2, 6, v4
	s_mul_i32 s3, s4, 0xfffffe40
	v_add_nc_u16 v1, v13, v7
	s_add_i32 s3, s3, s10
	v_lshlrev_b32_e32 v16, 16, v13
	v_cmp_gt_u32_e32 vcc_lo, s3, v2
	v_add_nc_u16 v2, v12, v6
	v_lshlrev_b32_e32 v21, 16, v10
	v_add_nc_u16 v17, v7, v12
	v_dual_cndmask_b32 v9, v11, v3 :: v_dual_add_nc_u32 v20, 1, v4
	s_delay_alu instid0(VALU_DEP_4) | instskip(SKIP_3) | instid1(VALU_DEP_2)
	v_lshlrev_b32_e32 v2, 16, v2
	v_lshlrev_b32_e32 v1, 16, v1
	v_add_nc_u32_e32 v14, 5, v4
	v_add_nc_u32_e32 v3, 3, v4
	v_cmp_gt_u32_e32 vcc_lo, s3, v14
	s_delay_alu instid0(VALU_DEP_4) | instskip(NEXT) | instid1(VALU_DEP_3)
	v_dual_cndmask_b32 v1, v16, v1 :: v_dual_add_nc_u32 v16, 4, v4
	v_cmp_gt_u32_e32 vcc_lo, s3, v3
	v_add_nc_u16 v3, v6, v10
	s_delay_alu instid0(VALU_DEP_3) | instskip(SKIP_3) | instid1(VALU_DEP_2)
	v_bfi_b32 v18, 0xffff, v7, v1
	v_bfi_b32 v1, 0xffff, v17, v1
	v_lshlrev_b32_e32 v14, 16, v12
	v_add_nc_u16 v17, v10, v5
	v_cndmask_b32_e32 v2, v14, v2, vcc_lo
	v_add_nc_u32_e32 v14, 2, v4
	v_cmp_gt_u32_e32 vcc_lo, s3, v16
	s_delay_alu instid0(VALU_DEP_4) | instskip(NEXT) | instid1(VALU_DEP_4)
	v_lshlrev_b32_e32 v17, 16, v17
	v_bfi_b32 v19, 0xffff, v6, v2
	v_bfi_b32 v2, 0xffff, v3, v2
	v_cndmask_b32_e32 v3, v18, v1, vcc_lo
	v_cmp_gt_u32_e32 vcc_lo, s3, v14
	s_delay_alu instid0(VALU_DEP_3)
	v_cndmask_b32_e32 v2, v19, v2, vcc_lo
	v_cmp_gt_u32_e32 vcc_lo, s3, v20
	v_cndmask_b32_e32 v1, v21, v17, vcc_lo
	v_cmp_gt_u32_e32 vcc_lo, s3, v4
	s_waitcnt lgkmcnt(0)
	v_cndmask_b32_e32 v14, 0, v15, vcc_lo
.LBB754_28:
	s_mov_b32 s3, -1
	s_cbranch_execnz .LBB754_37
.LBB754_29:
	s_delay_alu instid0(VALU_DEP_1)
	v_add_nc_u16 v9, v11, v13
	v_add_nc_u16 v19, v13, v7
	;; [unrolled: 1-line block ×4, first 2 shown]
	s_waitcnt vmcnt(0)
	v_add_nc_u16 v15, v6, v10
	v_add_nc_u16 v16, v10, v5
	v_cmp_ne_u32_e32 vcc_lo, 0, v0
	s_cmp_lg_u64 s[0:1], 1
	s_cbranch_scc0 .LBB754_33
; %bb.30:
	v_perm_b32 v3, v19, v18, 0x5040100
	v_perm_b32 v2, v17, v15, 0x5040100
	;; [unrolled: 1-line block ×3, first 2 shown]
	s_mov_b32 s0, 0
	ds_store_b16 v8, v11
	s_waitcnt lgkmcnt(0)
	s_barrier
	buffer_gl0_inv
                                        ; implicit-def: $vgpr14
	s_and_saveexec_b32 s1, vcc_lo
	s_cbranch_execz .LBB754_32
; %bb.31:
	v_add_nc_u32_e32 v4, -2, v8
	s_or_b32 s3, s3, exec_lo
	ds_load_u16 v14, v4
.LBB754_32:
	s_or_b32 exec_lo, exec_lo, s1
	s_delay_alu instid0(SALU_CYCLE_1)
	s_and_b32 vcc_lo, exec_lo, s0
	s_cbranch_vccnz .LBB754_34
	s_branch .LBB754_37
.LBB754_33:
                                        ; implicit-def: $vgpr14
                                        ; implicit-def: $vgpr1_vgpr2_vgpr3_vgpr4
	s_cbranch_execz .LBB754_37
.LBB754_34:
	v_mad_u32_u24 v1, v0, 7, 5
	v_lshlrev_b32_e32 v3, 16, v19
	v_lshlrev_b32_e32 v12, 16, v12
	s_waitcnt lgkmcnt(0)
	v_lshlrev_b32_e32 v14, 16, v17
	v_lshlrev_b32_e32 v2, 16, v13
	v_cmp_gt_u32_e32 vcc_lo, s10, v1
	v_mad_u32_u24 v4, v0, 7, 4
	v_mad_u32_u24 v13, v0, 7, 3
	ds_store_b16 v8, v11
	s_waitcnt lgkmcnt(0)
	v_cndmask_b32_e32 v1, v2, v3, vcc_lo
	v_mad_u32_u24 v3, v0, 7, 6
	v_mul_u32_u24_e32 v2, 7, v0
	s_barrier
	buffer_gl0_inv
	v_bfi_b32 v7, 0xffff, v7, v1
	v_cmp_gt_u32_e32 vcc_lo, s10, v3
	v_bfi_b32 v1, 0xffff, v18, v1
	v_cmp_gt_u32_e64 s0, s10, v2
	v_cndmask_b32_e32 v9, v11, v9, vcc_lo
	v_cmp_gt_u32_e32 vcc_lo, s10, v4
	v_mad_u32_u24 v4, v0, 7, 1
	v_mad_u32_u24 v11, v0, 7, 2
	v_cndmask_b32_e32 v3, v7, v1, vcc_lo
	v_cmp_gt_u32_e32 vcc_lo, s10, v13
	v_lshlrev_b32_e32 v7, 16, v10
	v_lshlrev_b32_e32 v10, 16, v16
	v_cmp_gt_u32_e64 s1, s10, v11
	v_cndmask_b32_e32 v1, v12, v14, vcc_lo
	v_cmp_gt_u32_e32 vcc_lo, s10, v4
                                        ; implicit-def: $vgpr14
	s_delay_alu instid0(VALU_DEP_2) | instskip(SKIP_3) | instid1(VALU_DEP_3)
	v_bfi_b32 v6, 0xffff, v6, v1
	v_bfi_b32 v1, 0xffff, v15, v1
	v_cndmask_b32_e32 v4, v7, v10, vcc_lo
	v_cmp_ne_u32_e32 vcc_lo, 0, v0
	v_cndmask_b32_e64 v2, v6, v1, s1
	s_delay_alu instid0(VALU_DEP_3) | instskip(SKIP_1) | instid1(SALU_CYCLE_1)
	v_bfi_b32 v1, 0xffff, v5, v4
	s_and_b32 s1, vcc_lo, s0
	s_and_saveexec_b32 s0, s1
	s_cbranch_execz .LBB754_36
; %bb.35:
	v_add_nc_u32_e32 v4, -2, v8
	s_or_b32 s3, s3, exec_lo
	ds_load_u16 v14, v4
.LBB754_36:
	s_or_b32 exec_lo, exec_lo, s0
.LBB754_37:
	s_and_saveexec_b32 s0, s3
	s_cbranch_execz .LBB754_39
; %bb.38:
	s_waitcnt lgkmcnt(0)
	v_add_nc_u16 v4, v14, v5
	s_delay_alu instid0(VALU_DEP_1)
	v_bfi_b32 v1, 0xffff, v4, v1
.LBB754_39:
	s_or_b32 exec_lo, exec_lo, s0
	v_mul_u32_u24_e32 v6, 14, v0
	v_mul_i32_i24_e32 v7, -12, v0
	s_add_u32 s0, s8, s6
	s_addc_u32 s1, s9, s7
	s_and_b32 vcc_lo, exec_lo, s16
	s_waitcnt vmcnt(0) lgkmcnt(0)
	s_barrier
	buffer_gl0_inv
	s_cbranch_vccz .LBB754_53
; %bb.40:
	v_mad_u32_u24 v4, v0, 14, v7
	ds_store_b96 v6, v[1:3]
	ds_store_b16 v6, v9 offset:12
	s_waitcnt lgkmcnt(0)
	s_barrier
	buffer_gl0_inv
	ds_load_u16 v15, v4 offset:128
	ds_load_u16 v14, v4 offset:256
	;; [unrolled: 1-line block ×6, first 2 shown]
	s_mov_b32 s3, 0
	s_add_i32 s11, s11, s10
	s_lshl_b64 s[4:5], s[2:3], 1
	s_delay_alu instid0(SALU_CYCLE_1) | instskip(SKIP_2) | instid1(VALU_DEP_1)
	s_add_u32 s3, s0, s4
	s_addc_u32 s4, s1, s5
	v_add_co_u32 v4, s3, s3, v8
	v_add_co_ci_u32_e64 v5, null, s4, 0, s3
	s_mov_b32 s3, exec_lo
	v_cmpx_gt_u32_e64 s11, v0
	s_cbranch_execz .LBB754_42
; %bb.41:
	v_add_nc_u32_e32 v16, v6, v7
	ds_load_u16 v16, v16
	s_waitcnt lgkmcnt(0)
	global_store_b16 v[4:5], v16, off
.LBB754_42:
	s_or_b32 exec_lo, exec_lo, s3
	v_or_b32_e32 v16, 64, v0
	s_mov_b32 s3, exec_lo
	s_delay_alu instid0(VALU_DEP_1)
	v_cmpx_gt_u32_e64 s11, v16
	s_cbranch_execz .LBB754_44
; %bb.43:
	s_waitcnt lgkmcnt(5)
	global_store_b16 v[4:5], v15, off offset:128
.LBB754_44:
	s_or_b32 exec_lo, exec_lo, s3
	s_waitcnt lgkmcnt(5)
	v_or_b32_e32 v15, 0x80, v0
	s_mov_b32 s3, exec_lo
	s_delay_alu instid0(VALU_DEP_1)
	v_cmpx_gt_u32_e64 s11, v15
	s_cbranch_execz .LBB754_46
; %bb.45:
	s_waitcnt lgkmcnt(4)
	global_store_b16 v[4:5], v14, off offset:256
.LBB754_46:
	s_or_b32 exec_lo, exec_lo, s3
	s_waitcnt lgkmcnt(4)
	;; [unrolled: 11-line block ×5, first 2 shown]
	v_or_b32_e32 v11, 0x180, v0
	s_delay_alu instid0(VALU_DEP_1)
	v_cmp_gt_u32_e64 s4, s11, v11
	s_branch .LBB754_55
.LBB754_53:
	s_mov_b32 s4, 0
                                        ; implicit-def: $vgpr10
                                        ; implicit-def: $vgpr4_vgpr5
	s_cbranch_execz .LBB754_55
; %bb.54:
	v_mad_u32_u24 v0, v0, 14, v7
	ds_store_b96 v6, v[1:3]
	ds_store_b16 v6, v9 offset:12
	s_waitcnt lgkmcnt(0)
	s_waitcnt_vscnt null, 0x0
	s_barrier
	buffer_gl0_inv
	ds_load_u16 v1, v0
	ds_load_u16 v2, v0 offset:128
	ds_load_u16 v3, v0 offset:256
	;; [unrolled: 1-line block ×6, first 2 shown]
	s_mov_b32 s3, 0
	s_delay_alu instid0(SALU_CYCLE_1) | instskip(NEXT) | instid1(SALU_CYCLE_1)
	s_lshl_b64 s[2:3], s[2:3], 1
	s_add_u32 s0, s0, s2
	s_addc_u32 s1, s1, s3
	v_add_co_u32 v4, s2, s0, v8
	s_delay_alu instid0(VALU_DEP_1)
	v_add_co_ci_u32_e64 v5, null, s1, 0, s2
	s_or_b32 s4, s4, exec_lo
	s_waitcnt lgkmcnt(6)
	global_store_b16 v8, v1, s[0:1]
	s_waitcnt lgkmcnt(5)
	global_store_b16 v8, v2, s[0:1] offset:128
	s_waitcnt lgkmcnt(4)
	global_store_b16 v8, v3, s[0:1] offset:256
	;; [unrolled: 2-line block ×5, first 2 shown]
.LBB754_55:
	s_delay_alu instid0(VALU_DEP_1)
	s_and_saveexec_b32 s0, s4
	s_cbranch_execnz .LBB754_57
; %bb.56:
	s_nop 0
	s_sendmsg sendmsg(MSG_DEALLOC_VGPRS)
	s_endpgm
.LBB754_57:
	s_waitcnt lgkmcnt(0)
	global_store_b16 v[4:5], v10, off offset:768
	s_nop 0
	s_sendmsg sendmsg(MSG_DEALLOC_VGPRS)
	s_endpgm
	.section	.rodata,"a",@progbits
	.p2align	6, 0x0
	.amdhsa_kernel _ZN7rocprim17ROCPRIM_400000_NS6detail17trampoline_kernelINS0_14default_configENS1_35adjacent_difference_config_selectorILb0EsEEZNS1_24adjacent_difference_implIS3_Lb0ELb0EPKsPsN6thrust23THRUST_200600_302600_NS4plusIsEEEE10hipError_tPvRmT2_T3_mT4_P12ihipStream_tbEUlT_E_NS1_11comp_targetILNS1_3genE9ELNS1_11target_archE1100ELNS1_3gpuE3ELNS1_3repE0EEENS1_30default_config_static_selectorELNS0_4arch9wavefront6targetE0EEEvT1_
		.amdhsa_group_segment_fixed_size 896
		.amdhsa_private_segment_fixed_size 0
		.amdhsa_kernarg_size 56
		.amdhsa_user_sgpr_count 15
		.amdhsa_user_sgpr_dispatch_ptr 0
		.amdhsa_user_sgpr_queue_ptr 0
		.amdhsa_user_sgpr_kernarg_segment_ptr 1
		.amdhsa_user_sgpr_dispatch_id 0
		.amdhsa_user_sgpr_private_segment_size 0
		.amdhsa_wavefront_size32 1
		.amdhsa_uses_dynamic_stack 0
		.amdhsa_enable_private_segment 0
		.amdhsa_system_sgpr_workgroup_id_x 1
		.amdhsa_system_sgpr_workgroup_id_y 0
		.amdhsa_system_sgpr_workgroup_id_z 0
		.amdhsa_system_sgpr_workgroup_info 0
		.amdhsa_system_vgpr_workitem_id 0
		.amdhsa_next_free_vgpr 22
		.amdhsa_next_free_sgpr 21
		.amdhsa_reserve_vcc 1
		.amdhsa_float_round_mode_32 0
		.amdhsa_float_round_mode_16_64 0
		.amdhsa_float_denorm_mode_32 3
		.amdhsa_float_denorm_mode_16_64 3
		.amdhsa_dx10_clamp 1
		.amdhsa_ieee_mode 1
		.amdhsa_fp16_overflow 0
		.amdhsa_workgroup_processor_mode 1
		.amdhsa_memory_ordered 1
		.amdhsa_forward_progress 0
		.amdhsa_shared_vgpr_count 0
		.amdhsa_exception_fp_ieee_invalid_op 0
		.amdhsa_exception_fp_denorm_src 0
		.amdhsa_exception_fp_ieee_div_zero 0
		.amdhsa_exception_fp_ieee_overflow 0
		.amdhsa_exception_fp_ieee_underflow 0
		.amdhsa_exception_fp_ieee_inexact 0
		.amdhsa_exception_int_div_zero 0
	.end_amdhsa_kernel
	.section	.text._ZN7rocprim17ROCPRIM_400000_NS6detail17trampoline_kernelINS0_14default_configENS1_35adjacent_difference_config_selectorILb0EsEEZNS1_24adjacent_difference_implIS3_Lb0ELb0EPKsPsN6thrust23THRUST_200600_302600_NS4plusIsEEEE10hipError_tPvRmT2_T3_mT4_P12ihipStream_tbEUlT_E_NS1_11comp_targetILNS1_3genE9ELNS1_11target_archE1100ELNS1_3gpuE3ELNS1_3repE0EEENS1_30default_config_static_selectorELNS0_4arch9wavefront6targetE0EEEvT1_,"axG",@progbits,_ZN7rocprim17ROCPRIM_400000_NS6detail17trampoline_kernelINS0_14default_configENS1_35adjacent_difference_config_selectorILb0EsEEZNS1_24adjacent_difference_implIS3_Lb0ELb0EPKsPsN6thrust23THRUST_200600_302600_NS4plusIsEEEE10hipError_tPvRmT2_T3_mT4_P12ihipStream_tbEUlT_E_NS1_11comp_targetILNS1_3genE9ELNS1_11target_archE1100ELNS1_3gpuE3ELNS1_3repE0EEENS1_30default_config_static_selectorELNS0_4arch9wavefront6targetE0EEEvT1_,comdat
.Lfunc_end754:
	.size	_ZN7rocprim17ROCPRIM_400000_NS6detail17trampoline_kernelINS0_14default_configENS1_35adjacent_difference_config_selectorILb0EsEEZNS1_24adjacent_difference_implIS3_Lb0ELb0EPKsPsN6thrust23THRUST_200600_302600_NS4plusIsEEEE10hipError_tPvRmT2_T3_mT4_P12ihipStream_tbEUlT_E_NS1_11comp_targetILNS1_3genE9ELNS1_11target_archE1100ELNS1_3gpuE3ELNS1_3repE0EEENS1_30default_config_static_selectorELNS0_4arch9wavefront6targetE0EEEvT1_, .Lfunc_end754-_ZN7rocprim17ROCPRIM_400000_NS6detail17trampoline_kernelINS0_14default_configENS1_35adjacent_difference_config_selectorILb0EsEEZNS1_24adjacent_difference_implIS3_Lb0ELb0EPKsPsN6thrust23THRUST_200600_302600_NS4plusIsEEEE10hipError_tPvRmT2_T3_mT4_P12ihipStream_tbEUlT_E_NS1_11comp_targetILNS1_3genE9ELNS1_11target_archE1100ELNS1_3gpuE3ELNS1_3repE0EEENS1_30default_config_static_selectorELNS0_4arch9wavefront6targetE0EEEvT1_
                                        ; -- End function
	.section	.AMDGPU.csdata,"",@progbits
; Kernel info:
; codeLenInByte = 2820
; NumSgprs: 23
; NumVgprs: 22
; ScratchSize: 0
; MemoryBound: 0
; FloatMode: 240
; IeeeMode: 1
; LDSByteSize: 896 bytes/workgroup (compile time only)
; SGPRBlocks: 2
; VGPRBlocks: 2
; NumSGPRsForWavesPerEU: 23
; NumVGPRsForWavesPerEU: 22
; Occupancy: 16
; WaveLimiterHint : 1
; COMPUTE_PGM_RSRC2:SCRATCH_EN: 0
; COMPUTE_PGM_RSRC2:USER_SGPR: 15
; COMPUTE_PGM_RSRC2:TRAP_HANDLER: 0
; COMPUTE_PGM_RSRC2:TGID_X_EN: 1
; COMPUTE_PGM_RSRC2:TGID_Y_EN: 0
; COMPUTE_PGM_RSRC2:TGID_Z_EN: 0
; COMPUTE_PGM_RSRC2:TIDIG_COMP_CNT: 0
	.section	.text._ZN7rocprim17ROCPRIM_400000_NS6detail17trampoline_kernelINS0_14default_configENS1_35adjacent_difference_config_selectorILb0EsEEZNS1_24adjacent_difference_implIS3_Lb0ELb0EPKsPsN6thrust23THRUST_200600_302600_NS4plusIsEEEE10hipError_tPvRmT2_T3_mT4_P12ihipStream_tbEUlT_E_NS1_11comp_targetILNS1_3genE8ELNS1_11target_archE1030ELNS1_3gpuE2ELNS1_3repE0EEENS1_30default_config_static_selectorELNS0_4arch9wavefront6targetE0EEEvT1_,"axG",@progbits,_ZN7rocprim17ROCPRIM_400000_NS6detail17trampoline_kernelINS0_14default_configENS1_35adjacent_difference_config_selectorILb0EsEEZNS1_24adjacent_difference_implIS3_Lb0ELb0EPKsPsN6thrust23THRUST_200600_302600_NS4plusIsEEEE10hipError_tPvRmT2_T3_mT4_P12ihipStream_tbEUlT_E_NS1_11comp_targetILNS1_3genE8ELNS1_11target_archE1030ELNS1_3gpuE2ELNS1_3repE0EEENS1_30default_config_static_selectorELNS0_4arch9wavefront6targetE0EEEvT1_,comdat
	.protected	_ZN7rocprim17ROCPRIM_400000_NS6detail17trampoline_kernelINS0_14default_configENS1_35adjacent_difference_config_selectorILb0EsEEZNS1_24adjacent_difference_implIS3_Lb0ELb0EPKsPsN6thrust23THRUST_200600_302600_NS4plusIsEEEE10hipError_tPvRmT2_T3_mT4_P12ihipStream_tbEUlT_E_NS1_11comp_targetILNS1_3genE8ELNS1_11target_archE1030ELNS1_3gpuE2ELNS1_3repE0EEENS1_30default_config_static_selectorELNS0_4arch9wavefront6targetE0EEEvT1_ ; -- Begin function _ZN7rocprim17ROCPRIM_400000_NS6detail17trampoline_kernelINS0_14default_configENS1_35adjacent_difference_config_selectorILb0EsEEZNS1_24adjacent_difference_implIS3_Lb0ELb0EPKsPsN6thrust23THRUST_200600_302600_NS4plusIsEEEE10hipError_tPvRmT2_T3_mT4_P12ihipStream_tbEUlT_E_NS1_11comp_targetILNS1_3genE8ELNS1_11target_archE1030ELNS1_3gpuE2ELNS1_3repE0EEENS1_30default_config_static_selectorELNS0_4arch9wavefront6targetE0EEEvT1_
	.globl	_ZN7rocprim17ROCPRIM_400000_NS6detail17trampoline_kernelINS0_14default_configENS1_35adjacent_difference_config_selectorILb0EsEEZNS1_24adjacent_difference_implIS3_Lb0ELb0EPKsPsN6thrust23THRUST_200600_302600_NS4plusIsEEEE10hipError_tPvRmT2_T3_mT4_P12ihipStream_tbEUlT_E_NS1_11comp_targetILNS1_3genE8ELNS1_11target_archE1030ELNS1_3gpuE2ELNS1_3repE0EEENS1_30default_config_static_selectorELNS0_4arch9wavefront6targetE0EEEvT1_
	.p2align	8
	.type	_ZN7rocprim17ROCPRIM_400000_NS6detail17trampoline_kernelINS0_14default_configENS1_35adjacent_difference_config_selectorILb0EsEEZNS1_24adjacent_difference_implIS3_Lb0ELb0EPKsPsN6thrust23THRUST_200600_302600_NS4plusIsEEEE10hipError_tPvRmT2_T3_mT4_P12ihipStream_tbEUlT_E_NS1_11comp_targetILNS1_3genE8ELNS1_11target_archE1030ELNS1_3gpuE2ELNS1_3repE0EEENS1_30default_config_static_selectorELNS0_4arch9wavefront6targetE0EEEvT1_,@function
_ZN7rocprim17ROCPRIM_400000_NS6detail17trampoline_kernelINS0_14default_configENS1_35adjacent_difference_config_selectorILb0EsEEZNS1_24adjacent_difference_implIS3_Lb0ELb0EPKsPsN6thrust23THRUST_200600_302600_NS4plusIsEEEE10hipError_tPvRmT2_T3_mT4_P12ihipStream_tbEUlT_E_NS1_11comp_targetILNS1_3genE8ELNS1_11target_archE1030ELNS1_3gpuE2ELNS1_3repE0EEENS1_30default_config_static_selectorELNS0_4arch9wavefront6targetE0EEEvT1_: ; @_ZN7rocprim17ROCPRIM_400000_NS6detail17trampoline_kernelINS0_14default_configENS1_35adjacent_difference_config_selectorILb0EsEEZNS1_24adjacent_difference_implIS3_Lb0ELb0EPKsPsN6thrust23THRUST_200600_302600_NS4plusIsEEEE10hipError_tPvRmT2_T3_mT4_P12ihipStream_tbEUlT_E_NS1_11comp_targetILNS1_3genE8ELNS1_11target_archE1030ELNS1_3gpuE2ELNS1_3repE0EEENS1_30default_config_static_selectorELNS0_4arch9wavefront6targetE0EEEvT1_
; %bb.0:
	.section	.rodata,"a",@progbits
	.p2align	6, 0x0
	.amdhsa_kernel _ZN7rocprim17ROCPRIM_400000_NS6detail17trampoline_kernelINS0_14default_configENS1_35adjacent_difference_config_selectorILb0EsEEZNS1_24adjacent_difference_implIS3_Lb0ELb0EPKsPsN6thrust23THRUST_200600_302600_NS4plusIsEEEE10hipError_tPvRmT2_T3_mT4_P12ihipStream_tbEUlT_E_NS1_11comp_targetILNS1_3genE8ELNS1_11target_archE1030ELNS1_3gpuE2ELNS1_3repE0EEENS1_30default_config_static_selectorELNS0_4arch9wavefront6targetE0EEEvT1_
		.amdhsa_group_segment_fixed_size 0
		.amdhsa_private_segment_fixed_size 0
		.amdhsa_kernarg_size 56
		.amdhsa_user_sgpr_count 15
		.amdhsa_user_sgpr_dispatch_ptr 0
		.amdhsa_user_sgpr_queue_ptr 0
		.amdhsa_user_sgpr_kernarg_segment_ptr 1
		.amdhsa_user_sgpr_dispatch_id 0
		.amdhsa_user_sgpr_private_segment_size 0
		.amdhsa_wavefront_size32 1
		.amdhsa_uses_dynamic_stack 0
		.amdhsa_enable_private_segment 0
		.amdhsa_system_sgpr_workgroup_id_x 1
		.amdhsa_system_sgpr_workgroup_id_y 0
		.amdhsa_system_sgpr_workgroup_id_z 0
		.amdhsa_system_sgpr_workgroup_info 0
		.amdhsa_system_vgpr_workitem_id 0
		.amdhsa_next_free_vgpr 1
		.amdhsa_next_free_sgpr 1
		.amdhsa_reserve_vcc 0
		.amdhsa_float_round_mode_32 0
		.amdhsa_float_round_mode_16_64 0
		.amdhsa_float_denorm_mode_32 3
		.amdhsa_float_denorm_mode_16_64 3
		.amdhsa_dx10_clamp 1
		.amdhsa_ieee_mode 1
		.amdhsa_fp16_overflow 0
		.amdhsa_workgroup_processor_mode 1
		.amdhsa_memory_ordered 1
		.amdhsa_forward_progress 0
		.amdhsa_shared_vgpr_count 0
		.amdhsa_exception_fp_ieee_invalid_op 0
		.amdhsa_exception_fp_denorm_src 0
		.amdhsa_exception_fp_ieee_div_zero 0
		.amdhsa_exception_fp_ieee_overflow 0
		.amdhsa_exception_fp_ieee_underflow 0
		.amdhsa_exception_fp_ieee_inexact 0
		.amdhsa_exception_int_div_zero 0
	.end_amdhsa_kernel
	.section	.text._ZN7rocprim17ROCPRIM_400000_NS6detail17trampoline_kernelINS0_14default_configENS1_35adjacent_difference_config_selectorILb0EsEEZNS1_24adjacent_difference_implIS3_Lb0ELb0EPKsPsN6thrust23THRUST_200600_302600_NS4plusIsEEEE10hipError_tPvRmT2_T3_mT4_P12ihipStream_tbEUlT_E_NS1_11comp_targetILNS1_3genE8ELNS1_11target_archE1030ELNS1_3gpuE2ELNS1_3repE0EEENS1_30default_config_static_selectorELNS0_4arch9wavefront6targetE0EEEvT1_,"axG",@progbits,_ZN7rocprim17ROCPRIM_400000_NS6detail17trampoline_kernelINS0_14default_configENS1_35adjacent_difference_config_selectorILb0EsEEZNS1_24adjacent_difference_implIS3_Lb0ELb0EPKsPsN6thrust23THRUST_200600_302600_NS4plusIsEEEE10hipError_tPvRmT2_T3_mT4_P12ihipStream_tbEUlT_E_NS1_11comp_targetILNS1_3genE8ELNS1_11target_archE1030ELNS1_3gpuE2ELNS1_3repE0EEENS1_30default_config_static_selectorELNS0_4arch9wavefront6targetE0EEEvT1_,comdat
.Lfunc_end755:
	.size	_ZN7rocprim17ROCPRIM_400000_NS6detail17trampoline_kernelINS0_14default_configENS1_35adjacent_difference_config_selectorILb0EsEEZNS1_24adjacent_difference_implIS3_Lb0ELb0EPKsPsN6thrust23THRUST_200600_302600_NS4plusIsEEEE10hipError_tPvRmT2_T3_mT4_P12ihipStream_tbEUlT_E_NS1_11comp_targetILNS1_3genE8ELNS1_11target_archE1030ELNS1_3gpuE2ELNS1_3repE0EEENS1_30default_config_static_selectorELNS0_4arch9wavefront6targetE0EEEvT1_, .Lfunc_end755-_ZN7rocprim17ROCPRIM_400000_NS6detail17trampoline_kernelINS0_14default_configENS1_35adjacent_difference_config_selectorILb0EsEEZNS1_24adjacent_difference_implIS3_Lb0ELb0EPKsPsN6thrust23THRUST_200600_302600_NS4plusIsEEEE10hipError_tPvRmT2_T3_mT4_P12ihipStream_tbEUlT_E_NS1_11comp_targetILNS1_3genE8ELNS1_11target_archE1030ELNS1_3gpuE2ELNS1_3repE0EEENS1_30default_config_static_selectorELNS0_4arch9wavefront6targetE0EEEvT1_
                                        ; -- End function
	.section	.AMDGPU.csdata,"",@progbits
; Kernel info:
; codeLenInByte = 0
; NumSgprs: 0
; NumVgprs: 0
; ScratchSize: 0
; MemoryBound: 0
; FloatMode: 240
; IeeeMode: 1
; LDSByteSize: 0 bytes/workgroup (compile time only)
; SGPRBlocks: 0
; VGPRBlocks: 0
; NumSGPRsForWavesPerEU: 1
; NumVGPRsForWavesPerEU: 1
; Occupancy: 16
; WaveLimiterHint : 0
; COMPUTE_PGM_RSRC2:SCRATCH_EN: 0
; COMPUTE_PGM_RSRC2:USER_SGPR: 15
; COMPUTE_PGM_RSRC2:TRAP_HANDLER: 0
; COMPUTE_PGM_RSRC2:TGID_X_EN: 1
; COMPUTE_PGM_RSRC2:TGID_Y_EN: 0
; COMPUTE_PGM_RSRC2:TGID_Z_EN: 0
; COMPUTE_PGM_RSRC2:TIDIG_COMP_CNT: 0
	.section	.text._ZN7rocprim17ROCPRIM_400000_NS6detail17trampoline_kernelINS0_14default_configENS1_25transform_config_selectorIsLb0EEEZNS1_14transform_implILb0ES3_S5_NS0_18transform_iteratorINS0_17counting_iteratorImlEEZNS1_24adjacent_difference_implIS3_Lb1ELb0EPKsPsN6thrust23THRUST_200600_302600_NS4plusIsEEEE10hipError_tPvRmT2_T3_mT4_P12ihipStream_tbEUlmE_sEESD_NS0_8identityIvEEEESI_SL_SM_mSN_SP_bEUlT_E_NS1_11comp_targetILNS1_3genE0ELNS1_11target_archE4294967295ELNS1_3gpuE0ELNS1_3repE0EEENS1_30default_config_static_selectorELNS0_4arch9wavefront6targetE0EEEvT1_,"axG",@progbits,_ZN7rocprim17ROCPRIM_400000_NS6detail17trampoline_kernelINS0_14default_configENS1_25transform_config_selectorIsLb0EEEZNS1_14transform_implILb0ES3_S5_NS0_18transform_iteratorINS0_17counting_iteratorImlEEZNS1_24adjacent_difference_implIS3_Lb1ELb0EPKsPsN6thrust23THRUST_200600_302600_NS4plusIsEEEE10hipError_tPvRmT2_T3_mT4_P12ihipStream_tbEUlmE_sEESD_NS0_8identityIvEEEESI_SL_SM_mSN_SP_bEUlT_E_NS1_11comp_targetILNS1_3genE0ELNS1_11target_archE4294967295ELNS1_3gpuE0ELNS1_3repE0EEENS1_30default_config_static_selectorELNS0_4arch9wavefront6targetE0EEEvT1_,comdat
	.protected	_ZN7rocprim17ROCPRIM_400000_NS6detail17trampoline_kernelINS0_14default_configENS1_25transform_config_selectorIsLb0EEEZNS1_14transform_implILb0ES3_S5_NS0_18transform_iteratorINS0_17counting_iteratorImlEEZNS1_24adjacent_difference_implIS3_Lb1ELb0EPKsPsN6thrust23THRUST_200600_302600_NS4plusIsEEEE10hipError_tPvRmT2_T3_mT4_P12ihipStream_tbEUlmE_sEESD_NS0_8identityIvEEEESI_SL_SM_mSN_SP_bEUlT_E_NS1_11comp_targetILNS1_3genE0ELNS1_11target_archE4294967295ELNS1_3gpuE0ELNS1_3repE0EEENS1_30default_config_static_selectorELNS0_4arch9wavefront6targetE0EEEvT1_ ; -- Begin function _ZN7rocprim17ROCPRIM_400000_NS6detail17trampoline_kernelINS0_14default_configENS1_25transform_config_selectorIsLb0EEEZNS1_14transform_implILb0ES3_S5_NS0_18transform_iteratorINS0_17counting_iteratorImlEEZNS1_24adjacent_difference_implIS3_Lb1ELb0EPKsPsN6thrust23THRUST_200600_302600_NS4plusIsEEEE10hipError_tPvRmT2_T3_mT4_P12ihipStream_tbEUlmE_sEESD_NS0_8identityIvEEEESI_SL_SM_mSN_SP_bEUlT_E_NS1_11comp_targetILNS1_3genE0ELNS1_11target_archE4294967295ELNS1_3gpuE0ELNS1_3repE0EEENS1_30default_config_static_selectorELNS0_4arch9wavefront6targetE0EEEvT1_
	.globl	_ZN7rocprim17ROCPRIM_400000_NS6detail17trampoline_kernelINS0_14default_configENS1_25transform_config_selectorIsLb0EEEZNS1_14transform_implILb0ES3_S5_NS0_18transform_iteratorINS0_17counting_iteratorImlEEZNS1_24adjacent_difference_implIS3_Lb1ELb0EPKsPsN6thrust23THRUST_200600_302600_NS4plusIsEEEE10hipError_tPvRmT2_T3_mT4_P12ihipStream_tbEUlmE_sEESD_NS0_8identityIvEEEESI_SL_SM_mSN_SP_bEUlT_E_NS1_11comp_targetILNS1_3genE0ELNS1_11target_archE4294967295ELNS1_3gpuE0ELNS1_3repE0EEENS1_30default_config_static_selectorELNS0_4arch9wavefront6targetE0EEEvT1_
	.p2align	8
	.type	_ZN7rocprim17ROCPRIM_400000_NS6detail17trampoline_kernelINS0_14default_configENS1_25transform_config_selectorIsLb0EEEZNS1_14transform_implILb0ES3_S5_NS0_18transform_iteratorINS0_17counting_iteratorImlEEZNS1_24adjacent_difference_implIS3_Lb1ELb0EPKsPsN6thrust23THRUST_200600_302600_NS4plusIsEEEE10hipError_tPvRmT2_T3_mT4_P12ihipStream_tbEUlmE_sEESD_NS0_8identityIvEEEESI_SL_SM_mSN_SP_bEUlT_E_NS1_11comp_targetILNS1_3genE0ELNS1_11target_archE4294967295ELNS1_3gpuE0ELNS1_3repE0EEENS1_30default_config_static_selectorELNS0_4arch9wavefront6targetE0EEEvT1_,@function
_ZN7rocprim17ROCPRIM_400000_NS6detail17trampoline_kernelINS0_14default_configENS1_25transform_config_selectorIsLb0EEEZNS1_14transform_implILb0ES3_S5_NS0_18transform_iteratorINS0_17counting_iteratorImlEEZNS1_24adjacent_difference_implIS3_Lb1ELb0EPKsPsN6thrust23THRUST_200600_302600_NS4plusIsEEEE10hipError_tPvRmT2_T3_mT4_P12ihipStream_tbEUlmE_sEESD_NS0_8identityIvEEEESI_SL_SM_mSN_SP_bEUlT_E_NS1_11comp_targetILNS1_3genE0ELNS1_11target_archE4294967295ELNS1_3gpuE0ELNS1_3repE0EEENS1_30default_config_static_selectorELNS0_4arch9wavefront6targetE0EEEvT1_: ; @_ZN7rocprim17ROCPRIM_400000_NS6detail17trampoline_kernelINS0_14default_configENS1_25transform_config_selectorIsLb0EEEZNS1_14transform_implILb0ES3_S5_NS0_18transform_iteratorINS0_17counting_iteratorImlEEZNS1_24adjacent_difference_implIS3_Lb1ELb0EPKsPsN6thrust23THRUST_200600_302600_NS4plusIsEEEE10hipError_tPvRmT2_T3_mT4_P12ihipStream_tbEUlmE_sEESD_NS0_8identityIvEEEESI_SL_SM_mSN_SP_bEUlT_E_NS1_11comp_targetILNS1_3genE0ELNS1_11target_archE4294967295ELNS1_3gpuE0ELNS1_3repE0EEENS1_30default_config_static_selectorELNS0_4arch9wavefront6targetE0EEEvT1_
; %bb.0:
	.section	.rodata,"a",@progbits
	.p2align	6, 0x0
	.amdhsa_kernel _ZN7rocprim17ROCPRIM_400000_NS6detail17trampoline_kernelINS0_14default_configENS1_25transform_config_selectorIsLb0EEEZNS1_14transform_implILb0ES3_S5_NS0_18transform_iteratorINS0_17counting_iteratorImlEEZNS1_24adjacent_difference_implIS3_Lb1ELb0EPKsPsN6thrust23THRUST_200600_302600_NS4plusIsEEEE10hipError_tPvRmT2_T3_mT4_P12ihipStream_tbEUlmE_sEESD_NS0_8identityIvEEEESI_SL_SM_mSN_SP_bEUlT_E_NS1_11comp_targetILNS1_3genE0ELNS1_11target_archE4294967295ELNS1_3gpuE0ELNS1_3repE0EEENS1_30default_config_static_selectorELNS0_4arch9wavefront6targetE0EEEvT1_
		.amdhsa_group_segment_fixed_size 0
		.amdhsa_private_segment_fixed_size 0
		.amdhsa_kernarg_size 56
		.amdhsa_user_sgpr_count 15
		.amdhsa_user_sgpr_dispatch_ptr 0
		.amdhsa_user_sgpr_queue_ptr 0
		.amdhsa_user_sgpr_kernarg_segment_ptr 1
		.amdhsa_user_sgpr_dispatch_id 0
		.amdhsa_user_sgpr_private_segment_size 0
		.amdhsa_wavefront_size32 1
		.amdhsa_uses_dynamic_stack 0
		.amdhsa_enable_private_segment 0
		.amdhsa_system_sgpr_workgroup_id_x 1
		.amdhsa_system_sgpr_workgroup_id_y 0
		.amdhsa_system_sgpr_workgroup_id_z 0
		.amdhsa_system_sgpr_workgroup_info 0
		.amdhsa_system_vgpr_workitem_id 0
		.amdhsa_next_free_vgpr 1
		.amdhsa_next_free_sgpr 1
		.amdhsa_reserve_vcc 0
		.amdhsa_float_round_mode_32 0
		.amdhsa_float_round_mode_16_64 0
		.amdhsa_float_denorm_mode_32 3
		.amdhsa_float_denorm_mode_16_64 3
		.amdhsa_dx10_clamp 1
		.amdhsa_ieee_mode 1
		.amdhsa_fp16_overflow 0
		.amdhsa_workgroup_processor_mode 1
		.amdhsa_memory_ordered 1
		.amdhsa_forward_progress 0
		.amdhsa_shared_vgpr_count 0
		.amdhsa_exception_fp_ieee_invalid_op 0
		.amdhsa_exception_fp_denorm_src 0
		.amdhsa_exception_fp_ieee_div_zero 0
		.amdhsa_exception_fp_ieee_overflow 0
		.amdhsa_exception_fp_ieee_underflow 0
		.amdhsa_exception_fp_ieee_inexact 0
		.amdhsa_exception_int_div_zero 0
	.end_amdhsa_kernel
	.section	.text._ZN7rocprim17ROCPRIM_400000_NS6detail17trampoline_kernelINS0_14default_configENS1_25transform_config_selectorIsLb0EEEZNS1_14transform_implILb0ES3_S5_NS0_18transform_iteratorINS0_17counting_iteratorImlEEZNS1_24adjacent_difference_implIS3_Lb1ELb0EPKsPsN6thrust23THRUST_200600_302600_NS4plusIsEEEE10hipError_tPvRmT2_T3_mT4_P12ihipStream_tbEUlmE_sEESD_NS0_8identityIvEEEESI_SL_SM_mSN_SP_bEUlT_E_NS1_11comp_targetILNS1_3genE0ELNS1_11target_archE4294967295ELNS1_3gpuE0ELNS1_3repE0EEENS1_30default_config_static_selectorELNS0_4arch9wavefront6targetE0EEEvT1_,"axG",@progbits,_ZN7rocprim17ROCPRIM_400000_NS6detail17trampoline_kernelINS0_14default_configENS1_25transform_config_selectorIsLb0EEEZNS1_14transform_implILb0ES3_S5_NS0_18transform_iteratorINS0_17counting_iteratorImlEEZNS1_24adjacent_difference_implIS3_Lb1ELb0EPKsPsN6thrust23THRUST_200600_302600_NS4plusIsEEEE10hipError_tPvRmT2_T3_mT4_P12ihipStream_tbEUlmE_sEESD_NS0_8identityIvEEEESI_SL_SM_mSN_SP_bEUlT_E_NS1_11comp_targetILNS1_3genE0ELNS1_11target_archE4294967295ELNS1_3gpuE0ELNS1_3repE0EEENS1_30default_config_static_selectorELNS0_4arch9wavefront6targetE0EEEvT1_,comdat
.Lfunc_end756:
	.size	_ZN7rocprim17ROCPRIM_400000_NS6detail17trampoline_kernelINS0_14default_configENS1_25transform_config_selectorIsLb0EEEZNS1_14transform_implILb0ES3_S5_NS0_18transform_iteratorINS0_17counting_iteratorImlEEZNS1_24adjacent_difference_implIS3_Lb1ELb0EPKsPsN6thrust23THRUST_200600_302600_NS4plusIsEEEE10hipError_tPvRmT2_T3_mT4_P12ihipStream_tbEUlmE_sEESD_NS0_8identityIvEEEESI_SL_SM_mSN_SP_bEUlT_E_NS1_11comp_targetILNS1_3genE0ELNS1_11target_archE4294967295ELNS1_3gpuE0ELNS1_3repE0EEENS1_30default_config_static_selectorELNS0_4arch9wavefront6targetE0EEEvT1_, .Lfunc_end756-_ZN7rocprim17ROCPRIM_400000_NS6detail17trampoline_kernelINS0_14default_configENS1_25transform_config_selectorIsLb0EEEZNS1_14transform_implILb0ES3_S5_NS0_18transform_iteratorINS0_17counting_iteratorImlEEZNS1_24adjacent_difference_implIS3_Lb1ELb0EPKsPsN6thrust23THRUST_200600_302600_NS4plusIsEEEE10hipError_tPvRmT2_T3_mT4_P12ihipStream_tbEUlmE_sEESD_NS0_8identityIvEEEESI_SL_SM_mSN_SP_bEUlT_E_NS1_11comp_targetILNS1_3genE0ELNS1_11target_archE4294967295ELNS1_3gpuE0ELNS1_3repE0EEENS1_30default_config_static_selectorELNS0_4arch9wavefront6targetE0EEEvT1_
                                        ; -- End function
	.section	.AMDGPU.csdata,"",@progbits
; Kernel info:
; codeLenInByte = 0
; NumSgprs: 0
; NumVgprs: 0
; ScratchSize: 0
; MemoryBound: 0
; FloatMode: 240
; IeeeMode: 1
; LDSByteSize: 0 bytes/workgroup (compile time only)
; SGPRBlocks: 0
; VGPRBlocks: 0
; NumSGPRsForWavesPerEU: 1
; NumVGPRsForWavesPerEU: 1
; Occupancy: 16
; WaveLimiterHint : 0
; COMPUTE_PGM_RSRC2:SCRATCH_EN: 0
; COMPUTE_PGM_RSRC2:USER_SGPR: 15
; COMPUTE_PGM_RSRC2:TRAP_HANDLER: 0
; COMPUTE_PGM_RSRC2:TGID_X_EN: 1
; COMPUTE_PGM_RSRC2:TGID_Y_EN: 0
; COMPUTE_PGM_RSRC2:TGID_Z_EN: 0
; COMPUTE_PGM_RSRC2:TIDIG_COMP_CNT: 0
	.section	.text._ZN7rocprim17ROCPRIM_400000_NS6detail17trampoline_kernelINS0_14default_configENS1_25transform_config_selectorIsLb0EEEZNS1_14transform_implILb0ES3_S5_NS0_18transform_iteratorINS0_17counting_iteratorImlEEZNS1_24adjacent_difference_implIS3_Lb1ELb0EPKsPsN6thrust23THRUST_200600_302600_NS4plusIsEEEE10hipError_tPvRmT2_T3_mT4_P12ihipStream_tbEUlmE_sEESD_NS0_8identityIvEEEESI_SL_SM_mSN_SP_bEUlT_E_NS1_11comp_targetILNS1_3genE5ELNS1_11target_archE942ELNS1_3gpuE9ELNS1_3repE0EEENS1_30default_config_static_selectorELNS0_4arch9wavefront6targetE0EEEvT1_,"axG",@progbits,_ZN7rocprim17ROCPRIM_400000_NS6detail17trampoline_kernelINS0_14default_configENS1_25transform_config_selectorIsLb0EEEZNS1_14transform_implILb0ES3_S5_NS0_18transform_iteratorINS0_17counting_iteratorImlEEZNS1_24adjacent_difference_implIS3_Lb1ELb0EPKsPsN6thrust23THRUST_200600_302600_NS4plusIsEEEE10hipError_tPvRmT2_T3_mT4_P12ihipStream_tbEUlmE_sEESD_NS0_8identityIvEEEESI_SL_SM_mSN_SP_bEUlT_E_NS1_11comp_targetILNS1_3genE5ELNS1_11target_archE942ELNS1_3gpuE9ELNS1_3repE0EEENS1_30default_config_static_selectorELNS0_4arch9wavefront6targetE0EEEvT1_,comdat
	.protected	_ZN7rocprim17ROCPRIM_400000_NS6detail17trampoline_kernelINS0_14default_configENS1_25transform_config_selectorIsLb0EEEZNS1_14transform_implILb0ES3_S5_NS0_18transform_iteratorINS0_17counting_iteratorImlEEZNS1_24adjacent_difference_implIS3_Lb1ELb0EPKsPsN6thrust23THRUST_200600_302600_NS4plusIsEEEE10hipError_tPvRmT2_T3_mT4_P12ihipStream_tbEUlmE_sEESD_NS0_8identityIvEEEESI_SL_SM_mSN_SP_bEUlT_E_NS1_11comp_targetILNS1_3genE5ELNS1_11target_archE942ELNS1_3gpuE9ELNS1_3repE0EEENS1_30default_config_static_selectorELNS0_4arch9wavefront6targetE0EEEvT1_ ; -- Begin function _ZN7rocprim17ROCPRIM_400000_NS6detail17trampoline_kernelINS0_14default_configENS1_25transform_config_selectorIsLb0EEEZNS1_14transform_implILb0ES3_S5_NS0_18transform_iteratorINS0_17counting_iteratorImlEEZNS1_24adjacent_difference_implIS3_Lb1ELb0EPKsPsN6thrust23THRUST_200600_302600_NS4plusIsEEEE10hipError_tPvRmT2_T3_mT4_P12ihipStream_tbEUlmE_sEESD_NS0_8identityIvEEEESI_SL_SM_mSN_SP_bEUlT_E_NS1_11comp_targetILNS1_3genE5ELNS1_11target_archE942ELNS1_3gpuE9ELNS1_3repE0EEENS1_30default_config_static_selectorELNS0_4arch9wavefront6targetE0EEEvT1_
	.globl	_ZN7rocprim17ROCPRIM_400000_NS6detail17trampoline_kernelINS0_14default_configENS1_25transform_config_selectorIsLb0EEEZNS1_14transform_implILb0ES3_S5_NS0_18transform_iteratorINS0_17counting_iteratorImlEEZNS1_24adjacent_difference_implIS3_Lb1ELb0EPKsPsN6thrust23THRUST_200600_302600_NS4plusIsEEEE10hipError_tPvRmT2_T3_mT4_P12ihipStream_tbEUlmE_sEESD_NS0_8identityIvEEEESI_SL_SM_mSN_SP_bEUlT_E_NS1_11comp_targetILNS1_3genE5ELNS1_11target_archE942ELNS1_3gpuE9ELNS1_3repE0EEENS1_30default_config_static_selectorELNS0_4arch9wavefront6targetE0EEEvT1_
	.p2align	8
	.type	_ZN7rocprim17ROCPRIM_400000_NS6detail17trampoline_kernelINS0_14default_configENS1_25transform_config_selectorIsLb0EEEZNS1_14transform_implILb0ES3_S5_NS0_18transform_iteratorINS0_17counting_iteratorImlEEZNS1_24adjacent_difference_implIS3_Lb1ELb0EPKsPsN6thrust23THRUST_200600_302600_NS4plusIsEEEE10hipError_tPvRmT2_T3_mT4_P12ihipStream_tbEUlmE_sEESD_NS0_8identityIvEEEESI_SL_SM_mSN_SP_bEUlT_E_NS1_11comp_targetILNS1_3genE5ELNS1_11target_archE942ELNS1_3gpuE9ELNS1_3repE0EEENS1_30default_config_static_selectorELNS0_4arch9wavefront6targetE0EEEvT1_,@function
_ZN7rocprim17ROCPRIM_400000_NS6detail17trampoline_kernelINS0_14default_configENS1_25transform_config_selectorIsLb0EEEZNS1_14transform_implILb0ES3_S5_NS0_18transform_iteratorINS0_17counting_iteratorImlEEZNS1_24adjacent_difference_implIS3_Lb1ELb0EPKsPsN6thrust23THRUST_200600_302600_NS4plusIsEEEE10hipError_tPvRmT2_T3_mT4_P12ihipStream_tbEUlmE_sEESD_NS0_8identityIvEEEESI_SL_SM_mSN_SP_bEUlT_E_NS1_11comp_targetILNS1_3genE5ELNS1_11target_archE942ELNS1_3gpuE9ELNS1_3repE0EEENS1_30default_config_static_selectorELNS0_4arch9wavefront6targetE0EEEvT1_: ; @_ZN7rocprim17ROCPRIM_400000_NS6detail17trampoline_kernelINS0_14default_configENS1_25transform_config_selectorIsLb0EEEZNS1_14transform_implILb0ES3_S5_NS0_18transform_iteratorINS0_17counting_iteratorImlEEZNS1_24adjacent_difference_implIS3_Lb1ELb0EPKsPsN6thrust23THRUST_200600_302600_NS4plusIsEEEE10hipError_tPvRmT2_T3_mT4_P12ihipStream_tbEUlmE_sEESD_NS0_8identityIvEEEESI_SL_SM_mSN_SP_bEUlT_E_NS1_11comp_targetILNS1_3genE5ELNS1_11target_archE942ELNS1_3gpuE9ELNS1_3repE0EEENS1_30default_config_static_selectorELNS0_4arch9wavefront6targetE0EEEvT1_
; %bb.0:
	.section	.rodata,"a",@progbits
	.p2align	6, 0x0
	.amdhsa_kernel _ZN7rocprim17ROCPRIM_400000_NS6detail17trampoline_kernelINS0_14default_configENS1_25transform_config_selectorIsLb0EEEZNS1_14transform_implILb0ES3_S5_NS0_18transform_iteratorINS0_17counting_iteratorImlEEZNS1_24adjacent_difference_implIS3_Lb1ELb0EPKsPsN6thrust23THRUST_200600_302600_NS4plusIsEEEE10hipError_tPvRmT2_T3_mT4_P12ihipStream_tbEUlmE_sEESD_NS0_8identityIvEEEESI_SL_SM_mSN_SP_bEUlT_E_NS1_11comp_targetILNS1_3genE5ELNS1_11target_archE942ELNS1_3gpuE9ELNS1_3repE0EEENS1_30default_config_static_selectorELNS0_4arch9wavefront6targetE0EEEvT1_
		.amdhsa_group_segment_fixed_size 0
		.amdhsa_private_segment_fixed_size 0
		.amdhsa_kernarg_size 56
		.amdhsa_user_sgpr_count 15
		.amdhsa_user_sgpr_dispatch_ptr 0
		.amdhsa_user_sgpr_queue_ptr 0
		.amdhsa_user_sgpr_kernarg_segment_ptr 1
		.amdhsa_user_sgpr_dispatch_id 0
		.amdhsa_user_sgpr_private_segment_size 0
		.amdhsa_wavefront_size32 1
		.amdhsa_uses_dynamic_stack 0
		.amdhsa_enable_private_segment 0
		.amdhsa_system_sgpr_workgroup_id_x 1
		.amdhsa_system_sgpr_workgroup_id_y 0
		.amdhsa_system_sgpr_workgroup_id_z 0
		.amdhsa_system_sgpr_workgroup_info 0
		.amdhsa_system_vgpr_workitem_id 0
		.amdhsa_next_free_vgpr 1
		.amdhsa_next_free_sgpr 1
		.amdhsa_reserve_vcc 0
		.amdhsa_float_round_mode_32 0
		.amdhsa_float_round_mode_16_64 0
		.amdhsa_float_denorm_mode_32 3
		.amdhsa_float_denorm_mode_16_64 3
		.amdhsa_dx10_clamp 1
		.amdhsa_ieee_mode 1
		.amdhsa_fp16_overflow 0
		.amdhsa_workgroup_processor_mode 1
		.amdhsa_memory_ordered 1
		.amdhsa_forward_progress 0
		.amdhsa_shared_vgpr_count 0
		.amdhsa_exception_fp_ieee_invalid_op 0
		.amdhsa_exception_fp_denorm_src 0
		.amdhsa_exception_fp_ieee_div_zero 0
		.amdhsa_exception_fp_ieee_overflow 0
		.amdhsa_exception_fp_ieee_underflow 0
		.amdhsa_exception_fp_ieee_inexact 0
		.amdhsa_exception_int_div_zero 0
	.end_amdhsa_kernel
	.section	.text._ZN7rocprim17ROCPRIM_400000_NS6detail17trampoline_kernelINS0_14default_configENS1_25transform_config_selectorIsLb0EEEZNS1_14transform_implILb0ES3_S5_NS0_18transform_iteratorINS0_17counting_iteratorImlEEZNS1_24adjacent_difference_implIS3_Lb1ELb0EPKsPsN6thrust23THRUST_200600_302600_NS4plusIsEEEE10hipError_tPvRmT2_T3_mT4_P12ihipStream_tbEUlmE_sEESD_NS0_8identityIvEEEESI_SL_SM_mSN_SP_bEUlT_E_NS1_11comp_targetILNS1_3genE5ELNS1_11target_archE942ELNS1_3gpuE9ELNS1_3repE0EEENS1_30default_config_static_selectorELNS0_4arch9wavefront6targetE0EEEvT1_,"axG",@progbits,_ZN7rocprim17ROCPRIM_400000_NS6detail17trampoline_kernelINS0_14default_configENS1_25transform_config_selectorIsLb0EEEZNS1_14transform_implILb0ES3_S5_NS0_18transform_iteratorINS0_17counting_iteratorImlEEZNS1_24adjacent_difference_implIS3_Lb1ELb0EPKsPsN6thrust23THRUST_200600_302600_NS4plusIsEEEE10hipError_tPvRmT2_T3_mT4_P12ihipStream_tbEUlmE_sEESD_NS0_8identityIvEEEESI_SL_SM_mSN_SP_bEUlT_E_NS1_11comp_targetILNS1_3genE5ELNS1_11target_archE942ELNS1_3gpuE9ELNS1_3repE0EEENS1_30default_config_static_selectorELNS0_4arch9wavefront6targetE0EEEvT1_,comdat
.Lfunc_end757:
	.size	_ZN7rocprim17ROCPRIM_400000_NS6detail17trampoline_kernelINS0_14default_configENS1_25transform_config_selectorIsLb0EEEZNS1_14transform_implILb0ES3_S5_NS0_18transform_iteratorINS0_17counting_iteratorImlEEZNS1_24adjacent_difference_implIS3_Lb1ELb0EPKsPsN6thrust23THRUST_200600_302600_NS4plusIsEEEE10hipError_tPvRmT2_T3_mT4_P12ihipStream_tbEUlmE_sEESD_NS0_8identityIvEEEESI_SL_SM_mSN_SP_bEUlT_E_NS1_11comp_targetILNS1_3genE5ELNS1_11target_archE942ELNS1_3gpuE9ELNS1_3repE0EEENS1_30default_config_static_selectorELNS0_4arch9wavefront6targetE0EEEvT1_, .Lfunc_end757-_ZN7rocprim17ROCPRIM_400000_NS6detail17trampoline_kernelINS0_14default_configENS1_25transform_config_selectorIsLb0EEEZNS1_14transform_implILb0ES3_S5_NS0_18transform_iteratorINS0_17counting_iteratorImlEEZNS1_24adjacent_difference_implIS3_Lb1ELb0EPKsPsN6thrust23THRUST_200600_302600_NS4plusIsEEEE10hipError_tPvRmT2_T3_mT4_P12ihipStream_tbEUlmE_sEESD_NS0_8identityIvEEEESI_SL_SM_mSN_SP_bEUlT_E_NS1_11comp_targetILNS1_3genE5ELNS1_11target_archE942ELNS1_3gpuE9ELNS1_3repE0EEENS1_30default_config_static_selectorELNS0_4arch9wavefront6targetE0EEEvT1_
                                        ; -- End function
	.section	.AMDGPU.csdata,"",@progbits
; Kernel info:
; codeLenInByte = 0
; NumSgprs: 0
; NumVgprs: 0
; ScratchSize: 0
; MemoryBound: 0
; FloatMode: 240
; IeeeMode: 1
; LDSByteSize: 0 bytes/workgroup (compile time only)
; SGPRBlocks: 0
; VGPRBlocks: 0
; NumSGPRsForWavesPerEU: 1
; NumVGPRsForWavesPerEU: 1
; Occupancy: 16
; WaveLimiterHint : 0
; COMPUTE_PGM_RSRC2:SCRATCH_EN: 0
; COMPUTE_PGM_RSRC2:USER_SGPR: 15
; COMPUTE_PGM_RSRC2:TRAP_HANDLER: 0
; COMPUTE_PGM_RSRC2:TGID_X_EN: 1
; COMPUTE_PGM_RSRC2:TGID_Y_EN: 0
; COMPUTE_PGM_RSRC2:TGID_Z_EN: 0
; COMPUTE_PGM_RSRC2:TIDIG_COMP_CNT: 0
	.section	.text._ZN7rocprim17ROCPRIM_400000_NS6detail17trampoline_kernelINS0_14default_configENS1_25transform_config_selectorIsLb0EEEZNS1_14transform_implILb0ES3_S5_NS0_18transform_iteratorINS0_17counting_iteratorImlEEZNS1_24adjacent_difference_implIS3_Lb1ELb0EPKsPsN6thrust23THRUST_200600_302600_NS4plusIsEEEE10hipError_tPvRmT2_T3_mT4_P12ihipStream_tbEUlmE_sEESD_NS0_8identityIvEEEESI_SL_SM_mSN_SP_bEUlT_E_NS1_11comp_targetILNS1_3genE4ELNS1_11target_archE910ELNS1_3gpuE8ELNS1_3repE0EEENS1_30default_config_static_selectorELNS0_4arch9wavefront6targetE0EEEvT1_,"axG",@progbits,_ZN7rocprim17ROCPRIM_400000_NS6detail17trampoline_kernelINS0_14default_configENS1_25transform_config_selectorIsLb0EEEZNS1_14transform_implILb0ES3_S5_NS0_18transform_iteratorINS0_17counting_iteratorImlEEZNS1_24adjacent_difference_implIS3_Lb1ELb0EPKsPsN6thrust23THRUST_200600_302600_NS4plusIsEEEE10hipError_tPvRmT2_T3_mT4_P12ihipStream_tbEUlmE_sEESD_NS0_8identityIvEEEESI_SL_SM_mSN_SP_bEUlT_E_NS1_11comp_targetILNS1_3genE4ELNS1_11target_archE910ELNS1_3gpuE8ELNS1_3repE0EEENS1_30default_config_static_selectorELNS0_4arch9wavefront6targetE0EEEvT1_,comdat
	.protected	_ZN7rocprim17ROCPRIM_400000_NS6detail17trampoline_kernelINS0_14default_configENS1_25transform_config_selectorIsLb0EEEZNS1_14transform_implILb0ES3_S5_NS0_18transform_iteratorINS0_17counting_iteratorImlEEZNS1_24adjacent_difference_implIS3_Lb1ELb0EPKsPsN6thrust23THRUST_200600_302600_NS4plusIsEEEE10hipError_tPvRmT2_T3_mT4_P12ihipStream_tbEUlmE_sEESD_NS0_8identityIvEEEESI_SL_SM_mSN_SP_bEUlT_E_NS1_11comp_targetILNS1_3genE4ELNS1_11target_archE910ELNS1_3gpuE8ELNS1_3repE0EEENS1_30default_config_static_selectorELNS0_4arch9wavefront6targetE0EEEvT1_ ; -- Begin function _ZN7rocprim17ROCPRIM_400000_NS6detail17trampoline_kernelINS0_14default_configENS1_25transform_config_selectorIsLb0EEEZNS1_14transform_implILb0ES3_S5_NS0_18transform_iteratorINS0_17counting_iteratorImlEEZNS1_24adjacent_difference_implIS3_Lb1ELb0EPKsPsN6thrust23THRUST_200600_302600_NS4plusIsEEEE10hipError_tPvRmT2_T3_mT4_P12ihipStream_tbEUlmE_sEESD_NS0_8identityIvEEEESI_SL_SM_mSN_SP_bEUlT_E_NS1_11comp_targetILNS1_3genE4ELNS1_11target_archE910ELNS1_3gpuE8ELNS1_3repE0EEENS1_30default_config_static_selectorELNS0_4arch9wavefront6targetE0EEEvT1_
	.globl	_ZN7rocprim17ROCPRIM_400000_NS6detail17trampoline_kernelINS0_14default_configENS1_25transform_config_selectorIsLb0EEEZNS1_14transform_implILb0ES3_S5_NS0_18transform_iteratorINS0_17counting_iteratorImlEEZNS1_24adjacent_difference_implIS3_Lb1ELb0EPKsPsN6thrust23THRUST_200600_302600_NS4plusIsEEEE10hipError_tPvRmT2_T3_mT4_P12ihipStream_tbEUlmE_sEESD_NS0_8identityIvEEEESI_SL_SM_mSN_SP_bEUlT_E_NS1_11comp_targetILNS1_3genE4ELNS1_11target_archE910ELNS1_3gpuE8ELNS1_3repE0EEENS1_30default_config_static_selectorELNS0_4arch9wavefront6targetE0EEEvT1_
	.p2align	8
	.type	_ZN7rocprim17ROCPRIM_400000_NS6detail17trampoline_kernelINS0_14default_configENS1_25transform_config_selectorIsLb0EEEZNS1_14transform_implILb0ES3_S5_NS0_18transform_iteratorINS0_17counting_iteratorImlEEZNS1_24adjacent_difference_implIS3_Lb1ELb0EPKsPsN6thrust23THRUST_200600_302600_NS4plusIsEEEE10hipError_tPvRmT2_T3_mT4_P12ihipStream_tbEUlmE_sEESD_NS0_8identityIvEEEESI_SL_SM_mSN_SP_bEUlT_E_NS1_11comp_targetILNS1_3genE4ELNS1_11target_archE910ELNS1_3gpuE8ELNS1_3repE0EEENS1_30default_config_static_selectorELNS0_4arch9wavefront6targetE0EEEvT1_,@function
_ZN7rocprim17ROCPRIM_400000_NS6detail17trampoline_kernelINS0_14default_configENS1_25transform_config_selectorIsLb0EEEZNS1_14transform_implILb0ES3_S5_NS0_18transform_iteratorINS0_17counting_iteratorImlEEZNS1_24adjacent_difference_implIS3_Lb1ELb0EPKsPsN6thrust23THRUST_200600_302600_NS4plusIsEEEE10hipError_tPvRmT2_T3_mT4_P12ihipStream_tbEUlmE_sEESD_NS0_8identityIvEEEESI_SL_SM_mSN_SP_bEUlT_E_NS1_11comp_targetILNS1_3genE4ELNS1_11target_archE910ELNS1_3gpuE8ELNS1_3repE0EEENS1_30default_config_static_selectorELNS0_4arch9wavefront6targetE0EEEvT1_: ; @_ZN7rocprim17ROCPRIM_400000_NS6detail17trampoline_kernelINS0_14default_configENS1_25transform_config_selectorIsLb0EEEZNS1_14transform_implILb0ES3_S5_NS0_18transform_iteratorINS0_17counting_iteratorImlEEZNS1_24adjacent_difference_implIS3_Lb1ELb0EPKsPsN6thrust23THRUST_200600_302600_NS4plusIsEEEE10hipError_tPvRmT2_T3_mT4_P12ihipStream_tbEUlmE_sEESD_NS0_8identityIvEEEESI_SL_SM_mSN_SP_bEUlT_E_NS1_11comp_targetILNS1_3genE4ELNS1_11target_archE910ELNS1_3gpuE8ELNS1_3repE0EEENS1_30default_config_static_selectorELNS0_4arch9wavefront6targetE0EEEvT1_
; %bb.0:
	.section	.rodata,"a",@progbits
	.p2align	6, 0x0
	.amdhsa_kernel _ZN7rocprim17ROCPRIM_400000_NS6detail17trampoline_kernelINS0_14default_configENS1_25transform_config_selectorIsLb0EEEZNS1_14transform_implILb0ES3_S5_NS0_18transform_iteratorINS0_17counting_iteratorImlEEZNS1_24adjacent_difference_implIS3_Lb1ELb0EPKsPsN6thrust23THRUST_200600_302600_NS4plusIsEEEE10hipError_tPvRmT2_T3_mT4_P12ihipStream_tbEUlmE_sEESD_NS0_8identityIvEEEESI_SL_SM_mSN_SP_bEUlT_E_NS1_11comp_targetILNS1_3genE4ELNS1_11target_archE910ELNS1_3gpuE8ELNS1_3repE0EEENS1_30default_config_static_selectorELNS0_4arch9wavefront6targetE0EEEvT1_
		.amdhsa_group_segment_fixed_size 0
		.amdhsa_private_segment_fixed_size 0
		.amdhsa_kernarg_size 56
		.amdhsa_user_sgpr_count 15
		.amdhsa_user_sgpr_dispatch_ptr 0
		.amdhsa_user_sgpr_queue_ptr 0
		.amdhsa_user_sgpr_kernarg_segment_ptr 1
		.amdhsa_user_sgpr_dispatch_id 0
		.amdhsa_user_sgpr_private_segment_size 0
		.amdhsa_wavefront_size32 1
		.amdhsa_uses_dynamic_stack 0
		.amdhsa_enable_private_segment 0
		.amdhsa_system_sgpr_workgroup_id_x 1
		.amdhsa_system_sgpr_workgroup_id_y 0
		.amdhsa_system_sgpr_workgroup_id_z 0
		.amdhsa_system_sgpr_workgroup_info 0
		.amdhsa_system_vgpr_workitem_id 0
		.amdhsa_next_free_vgpr 1
		.amdhsa_next_free_sgpr 1
		.amdhsa_reserve_vcc 0
		.amdhsa_float_round_mode_32 0
		.amdhsa_float_round_mode_16_64 0
		.amdhsa_float_denorm_mode_32 3
		.amdhsa_float_denorm_mode_16_64 3
		.amdhsa_dx10_clamp 1
		.amdhsa_ieee_mode 1
		.amdhsa_fp16_overflow 0
		.amdhsa_workgroup_processor_mode 1
		.amdhsa_memory_ordered 1
		.amdhsa_forward_progress 0
		.amdhsa_shared_vgpr_count 0
		.amdhsa_exception_fp_ieee_invalid_op 0
		.amdhsa_exception_fp_denorm_src 0
		.amdhsa_exception_fp_ieee_div_zero 0
		.amdhsa_exception_fp_ieee_overflow 0
		.amdhsa_exception_fp_ieee_underflow 0
		.amdhsa_exception_fp_ieee_inexact 0
		.amdhsa_exception_int_div_zero 0
	.end_amdhsa_kernel
	.section	.text._ZN7rocprim17ROCPRIM_400000_NS6detail17trampoline_kernelINS0_14default_configENS1_25transform_config_selectorIsLb0EEEZNS1_14transform_implILb0ES3_S5_NS0_18transform_iteratorINS0_17counting_iteratorImlEEZNS1_24adjacent_difference_implIS3_Lb1ELb0EPKsPsN6thrust23THRUST_200600_302600_NS4plusIsEEEE10hipError_tPvRmT2_T3_mT4_P12ihipStream_tbEUlmE_sEESD_NS0_8identityIvEEEESI_SL_SM_mSN_SP_bEUlT_E_NS1_11comp_targetILNS1_3genE4ELNS1_11target_archE910ELNS1_3gpuE8ELNS1_3repE0EEENS1_30default_config_static_selectorELNS0_4arch9wavefront6targetE0EEEvT1_,"axG",@progbits,_ZN7rocprim17ROCPRIM_400000_NS6detail17trampoline_kernelINS0_14default_configENS1_25transform_config_selectorIsLb0EEEZNS1_14transform_implILb0ES3_S5_NS0_18transform_iteratorINS0_17counting_iteratorImlEEZNS1_24adjacent_difference_implIS3_Lb1ELb0EPKsPsN6thrust23THRUST_200600_302600_NS4plusIsEEEE10hipError_tPvRmT2_T3_mT4_P12ihipStream_tbEUlmE_sEESD_NS0_8identityIvEEEESI_SL_SM_mSN_SP_bEUlT_E_NS1_11comp_targetILNS1_3genE4ELNS1_11target_archE910ELNS1_3gpuE8ELNS1_3repE0EEENS1_30default_config_static_selectorELNS0_4arch9wavefront6targetE0EEEvT1_,comdat
.Lfunc_end758:
	.size	_ZN7rocprim17ROCPRIM_400000_NS6detail17trampoline_kernelINS0_14default_configENS1_25transform_config_selectorIsLb0EEEZNS1_14transform_implILb0ES3_S5_NS0_18transform_iteratorINS0_17counting_iteratorImlEEZNS1_24adjacent_difference_implIS3_Lb1ELb0EPKsPsN6thrust23THRUST_200600_302600_NS4plusIsEEEE10hipError_tPvRmT2_T3_mT4_P12ihipStream_tbEUlmE_sEESD_NS0_8identityIvEEEESI_SL_SM_mSN_SP_bEUlT_E_NS1_11comp_targetILNS1_3genE4ELNS1_11target_archE910ELNS1_3gpuE8ELNS1_3repE0EEENS1_30default_config_static_selectorELNS0_4arch9wavefront6targetE0EEEvT1_, .Lfunc_end758-_ZN7rocprim17ROCPRIM_400000_NS6detail17trampoline_kernelINS0_14default_configENS1_25transform_config_selectorIsLb0EEEZNS1_14transform_implILb0ES3_S5_NS0_18transform_iteratorINS0_17counting_iteratorImlEEZNS1_24adjacent_difference_implIS3_Lb1ELb0EPKsPsN6thrust23THRUST_200600_302600_NS4plusIsEEEE10hipError_tPvRmT2_T3_mT4_P12ihipStream_tbEUlmE_sEESD_NS0_8identityIvEEEESI_SL_SM_mSN_SP_bEUlT_E_NS1_11comp_targetILNS1_3genE4ELNS1_11target_archE910ELNS1_3gpuE8ELNS1_3repE0EEENS1_30default_config_static_selectorELNS0_4arch9wavefront6targetE0EEEvT1_
                                        ; -- End function
	.section	.AMDGPU.csdata,"",@progbits
; Kernel info:
; codeLenInByte = 0
; NumSgprs: 0
; NumVgprs: 0
; ScratchSize: 0
; MemoryBound: 0
; FloatMode: 240
; IeeeMode: 1
; LDSByteSize: 0 bytes/workgroup (compile time only)
; SGPRBlocks: 0
; VGPRBlocks: 0
; NumSGPRsForWavesPerEU: 1
; NumVGPRsForWavesPerEU: 1
; Occupancy: 16
; WaveLimiterHint : 0
; COMPUTE_PGM_RSRC2:SCRATCH_EN: 0
; COMPUTE_PGM_RSRC2:USER_SGPR: 15
; COMPUTE_PGM_RSRC2:TRAP_HANDLER: 0
; COMPUTE_PGM_RSRC2:TGID_X_EN: 1
; COMPUTE_PGM_RSRC2:TGID_Y_EN: 0
; COMPUTE_PGM_RSRC2:TGID_Z_EN: 0
; COMPUTE_PGM_RSRC2:TIDIG_COMP_CNT: 0
	.section	.text._ZN7rocprim17ROCPRIM_400000_NS6detail17trampoline_kernelINS0_14default_configENS1_25transform_config_selectorIsLb0EEEZNS1_14transform_implILb0ES3_S5_NS0_18transform_iteratorINS0_17counting_iteratorImlEEZNS1_24adjacent_difference_implIS3_Lb1ELb0EPKsPsN6thrust23THRUST_200600_302600_NS4plusIsEEEE10hipError_tPvRmT2_T3_mT4_P12ihipStream_tbEUlmE_sEESD_NS0_8identityIvEEEESI_SL_SM_mSN_SP_bEUlT_E_NS1_11comp_targetILNS1_3genE3ELNS1_11target_archE908ELNS1_3gpuE7ELNS1_3repE0EEENS1_30default_config_static_selectorELNS0_4arch9wavefront6targetE0EEEvT1_,"axG",@progbits,_ZN7rocprim17ROCPRIM_400000_NS6detail17trampoline_kernelINS0_14default_configENS1_25transform_config_selectorIsLb0EEEZNS1_14transform_implILb0ES3_S5_NS0_18transform_iteratorINS0_17counting_iteratorImlEEZNS1_24adjacent_difference_implIS3_Lb1ELb0EPKsPsN6thrust23THRUST_200600_302600_NS4plusIsEEEE10hipError_tPvRmT2_T3_mT4_P12ihipStream_tbEUlmE_sEESD_NS0_8identityIvEEEESI_SL_SM_mSN_SP_bEUlT_E_NS1_11comp_targetILNS1_3genE3ELNS1_11target_archE908ELNS1_3gpuE7ELNS1_3repE0EEENS1_30default_config_static_selectorELNS0_4arch9wavefront6targetE0EEEvT1_,comdat
	.protected	_ZN7rocprim17ROCPRIM_400000_NS6detail17trampoline_kernelINS0_14default_configENS1_25transform_config_selectorIsLb0EEEZNS1_14transform_implILb0ES3_S5_NS0_18transform_iteratorINS0_17counting_iteratorImlEEZNS1_24adjacent_difference_implIS3_Lb1ELb0EPKsPsN6thrust23THRUST_200600_302600_NS4plusIsEEEE10hipError_tPvRmT2_T3_mT4_P12ihipStream_tbEUlmE_sEESD_NS0_8identityIvEEEESI_SL_SM_mSN_SP_bEUlT_E_NS1_11comp_targetILNS1_3genE3ELNS1_11target_archE908ELNS1_3gpuE7ELNS1_3repE0EEENS1_30default_config_static_selectorELNS0_4arch9wavefront6targetE0EEEvT1_ ; -- Begin function _ZN7rocprim17ROCPRIM_400000_NS6detail17trampoline_kernelINS0_14default_configENS1_25transform_config_selectorIsLb0EEEZNS1_14transform_implILb0ES3_S5_NS0_18transform_iteratorINS0_17counting_iteratorImlEEZNS1_24adjacent_difference_implIS3_Lb1ELb0EPKsPsN6thrust23THRUST_200600_302600_NS4plusIsEEEE10hipError_tPvRmT2_T3_mT4_P12ihipStream_tbEUlmE_sEESD_NS0_8identityIvEEEESI_SL_SM_mSN_SP_bEUlT_E_NS1_11comp_targetILNS1_3genE3ELNS1_11target_archE908ELNS1_3gpuE7ELNS1_3repE0EEENS1_30default_config_static_selectorELNS0_4arch9wavefront6targetE0EEEvT1_
	.globl	_ZN7rocprim17ROCPRIM_400000_NS6detail17trampoline_kernelINS0_14default_configENS1_25transform_config_selectorIsLb0EEEZNS1_14transform_implILb0ES3_S5_NS0_18transform_iteratorINS0_17counting_iteratorImlEEZNS1_24adjacent_difference_implIS3_Lb1ELb0EPKsPsN6thrust23THRUST_200600_302600_NS4plusIsEEEE10hipError_tPvRmT2_T3_mT4_P12ihipStream_tbEUlmE_sEESD_NS0_8identityIvEEEESI_SL_SM_mSN_SP_bEUlT_E_NS1_11comp_targetILNS1_3genE3ELNS1_11target_archE908ELNS1_3gpuE7ELNS1_3repE0EEENS1_30default_config_static_selectorELNS0_4arch9wavefront6targetE0EEEvT1_
	.p2align	8
	.type	_ZN7rocprim17ROCPRIM_400000_NS6detail17trampoline_kernelINS0_14default_configENS1_25transform_config_selectorIsLb0EEEZNS1_14transform_implILb0ES3_S5_NS0_18transform_iteratorINS0_17counting_iteratorImlEEZNS1_24adjacent_difference_implIS3_Lb1ELb0EPKsPsN6thrust23THRUST_200600_302600_NS4plusIsEEEE10hipError_tPvRmT2_T3_mT4_P12ihipStream_tbEUlmE_sEESD_NS0_8identityIvEEEESI_SL_SM_mSN_SP_bEUlT_E_NS1_11comp_targetILNS1_3genE3ELNS1_11target_archE908ELNS1_3gpuE7ELNS1_3repE0EEENS1_30default_config_static_selectorELNS0_4arch9wavefront6targetE0EEEvT1_,@function
_ZN7rocprim17ROCPRIM_400000_NS6detail17trampoline_kernelINS0_14default_configENS1_25transform_config_selectorIsLb0EEEZNS1_14transform_implILb0ES3_S5_NS0_18transform_iteratorINS0_17counting_iteratorImlEEZNS1_24adjacent_difference_implIS3_Lb1ELb0EPKsPsN6thrust23THRUST_200600_302600_NS4plusIsEEEE10hipError_tPvRmT2_T3_mT4_P12ihipStream_tbEUlmE_sEESD_NS0_8identityIvEEEESI_SL_SM_mSN_SP_bEUlT_E_NS1_11comp_targetILNS1_3genE3ELNS1_11target_archE908ELNS1_3gpuE7ELNS1_3repE0EEENS1_30default_config_static_selectorELNS0_4arch9wavefront6targetE0EEEvT1_: ; @_ZN7rocprim17ROCPRIM_400000_NS6detail17trampoline_kernelINS0_14default_configENS1_25transform_config_selectorIsLb0EEEZNS1_14transform_implILb0ES3_S5_NS0_18transform_iteratorINS0_17counting_iteratorImlEEZNS1_24adjacent_difference_implIS3_Lb1ELb0EPKsPsN6thrust23THRUST_200600_302600_NS4plusIsEEEE10hipError_tPvRmT2_T3_mT4_P12ihipStream_tbEUlmE_sEESD_NS0_8identityIvEEEESI_SL_SM_mSN_SP_bEUlT_E_NS1_11comp_targetILNS1_3genE3ELNS1_11target_archE908ELNS1_3gpuE7ELNS1_3repE0EEENS1_30default_config_static_selectorELNS0_4arch9wavefront6targetE0EEEvT1_
; %bb.0:
	.section	.rodata,"a",@progbits
	.p2align	6, 0x0
	.amdhsa_kernel _ZN7rocprim17ROCPRIM_400000_NS6detail17trampoline_kernelINS0_14default_configENS1_25transform_config_selectorIsLb0EEEZNS1_14transform_implILb0ES3_S5_NS0_18transform_iteratorINS0_17counting_iteratorImlEEZNS1_24adjacent_difference_implIS3_Lb1ELb0EPKsPsN6thrust23THRUST_200600_302600_NS4plusIsEEEE10hipError_tPvRmT2_T3_mT4_P12ihipStream_tbEUlmE_sEESD_NS0_8identityIvEEEESI_SL_SM_mSN_SP_bEUlT_E_NS1_11comp_targetILNS1_3genE3ELNS1_11target_archE908ELNS1_3gpuE7ELNS1_3repE0EEENS1_30default_config_static_selectorELNS0_4arch9wavefront6targetE0EEEvT1_
		.amdhsa_group_segment_fixed_size 0
		.amdhsa_private_segment_fixed_size 0
		.amdhsa_kernarg_size 56
		.amdhsa_user_sgpr_count 15
		.amdhsa_user_sgpr_dispatch_ptr 0
		.amdhsa_user_sgpr_queue_ptr 0
		.amdhsa_user_sgpr_kernarg_segment_ptr 1
		.amdhsa_user_sgpr_dispatch_id 0
		.amdhsa_user_sgpr_private_segment_size 0
		.amdhsa_wavefront_size32 1
		.amdhsa_uses_dynamic_stack 0
		.amdhsa_enable_private_segment 0
		.amdhsa_system_sgpr_workgroup_id_x 1
		.amdhsa_system_sgpr_workgroup_id_y 0
		.amdhsa_system_sgpr_workgroup_id_z 0
		.amdhsa_system_sgpr_workgroup_info 0
		.amdhsa_system_vgpr_workitem_id 0
		.amdhsa_next_free_vgpr 1
		.amdhsa_next_free_sgpr 1
		.amdhsa_reserve_vcc 0
		.amdhsa_float_round_mode_32 0
		.amdhsa_float_round_mode_16_64 0
		.amdhsa_float_denorm_mode_32 3
		.amdhsa_float_denorm_mode_16_64 3
		.amdhsa_dx10_clamp 1
		.amdhsa_ieee_mode 1
		.amdhsa_fp16_overflow 0
		.amdhsa_workgroup_processor_mode 1
		.amdhsa_memory_ordered 1
		.amdhsa_forward_progress 0
		.amdhsa_shared_vgpr_count 0
		.amdhsa_exception_fp_ieee_invalid_op 0
		.amdhsa_exception_fp_denorm_src 0
		.amdhsa_exception_fp_ieee_div_zero 0
		.amdhsa_exception_fp_ieee_overflow 0
		.amdhsa_exception_fp_ieee_underflow 0
		.amdhsa_exception_fp_ieee_inexact 0
		.amdhsa_exception_int_div_zero 0
	.end_amdhsa_kernel
	.section	.text._ZN7rocprim17ROCPRIM_400000_NS6detail17trampoline_kernelINS0_14default_configENS1_25transform_config_selectorIsLb0EEEZNS1_14transform_implILb0ES3_S5_NS0_18transform_iteratorINS0_17counting_iteratorImlEEZNS1_24adjacent_difference_implIS3_Lb1ELb0EPKsPsN6thrust23THRUST_200600_302600_NS4plusIsEEEE10hipError_tPvRmT2_T3_mT4_P12ihipStream_tbEUlmE_sEESD_NS0_8identityIvEEEESI_SL_SM_mSN_SP_bEUlT_E_NS1_11comp_targetILNS1_3genE3ELNS1_11target_archE908ELNS1_3gpuE7ELNS1_3repE0EEENS1_30default_config_static_selectorELNS0_4arch9wavefront6targetE0EEEvT1_,"axG",@progbits,_ZN7rocprim17ROCPRIM_400000_NS6detail17trampoline_kernelINS0_14default_configENS1_25transform_config_selectorIsLb0EEEZNS1_14transform_implILb0ES3_S5_NS0_18transform_iteratorINS0_17counting_iteratorImlEEZNS1_24adjacent_difference_implIS3_Lb1ELb0EPKsPsN6thrust23THRUST_200600_302600_NS4plusIsEEEE10hipError_tPvRmT2_T3_mT4_P12ihipStream_tbEUlmE_sEESD_NS0_8identityIvEEEESI_SL_SM_mSN_SP_bEUlT_E_NS1_11comp_targetILNS1_3genE3ELNS1_11target_archE908ELNS1_3gpuE7ELNS1_3repE0EEENS1_30default_config_static_selectorELNS0_4arch9wavefront6targetE0EEEvT1_,comdat
.Lfunc_end759:
	.size	_ZN7rocprim17ROCPRIM_400000_NS6detail17trampoline_kernelINS0_14default_configENS1_25transform_config_selectorIsLb0EEEZNS1_14transform_implILb0ES3_S5_NS0_18transform_iteratorINS0_17counting_iteratorImlEEZNS1_24adjacent_difference_implIS3_Lb1ELb0EPKsPsN6thrust23THRUST_200600_302600_NS4plusIsEEEE10hipError_tPvRmT2_T3_mT4_P12ihipStream_tbEUlmE_sEESD_NS0_8identityIvEEEESI_SL_SM_mSN_SP_bEUlT_E_NS1_11comp_targetILNS1_3genE3ELNS1_11target_archE908ELNS1_3gpuE7ELNS1_3repE0EEENS1_30default_config_static_selectorELNS0_4arch9wavefront6targetE0EEEvT1_, .Lfunc_end759-_ZN7rocprim17ROCPRIM_400000_NS6detail17trampoline_kernelINS0_14default_configENS1_25transform_config_selectorIsLb0EEEZNS1_14transform_implILb0ES3_S5_NS0_18transform_iteratorINS0_17counting_iteratorImlEEZNS1_24adjacent_difference_implIS3_Lb1ELb0EPKsPsN6thrust23THRUST_200600_302600_NS4plusIsEEEE10hipError_tPvRmT2_T3_mT4_P12ihipStream_tbEUlmE_sEESD_NS0_8identityIvEEEESI_SL_SM_mSN_SP_bEUlT_E_NS1_11comp_targetILNS1_3genE3ELNS1_11target_archE908ELNS1_3gpuE7ELNS1_3repE0EEENS1_30default_config_static_selectorELNS0_4arch9wavefront6targetE0EEEvT1_
                                        ; -- End function
	.section	.AMDGPU.csdata,"",@progbits
; Kernel info:
; codeLenInByte = 0
; NumSgprs: 0
; NumVgprs: 0
; ScratchSize: 0
; MemoryBound: 0
; FloatMode: 240
; IeeeMode: 1
; LDSByteSize: 0 bytes/workgroup (compile time only)
; SGPRBlocks: 0
; VGPRBlocks: 0
; NumSGPRsForWavesPerEU: 1
; NumVGPRsForWavesPerEU: 1
; Occupancy: 16
; WaveLimiterHint : 0
; COMPUTE_PGM_RSRC2:SCRATCH_EN: 0
; COMPUTE_PGM_RSRC2:USER_SGPR: 15
; COMPUTE_PGM_RSRC2:TRAP_HANDLER: 0
; COMPUTE_PGM_RSRC2:TGID_X_EN: 1
; COMPUTE_PGM_RSRC2:TGID_Y_EN: 0
; COMPUTE_PGM_RSRC2:TGID_Z_EN: 0
; COMPUTE_PGM_RSRC2:TIDIG_COMP_CNT: 0
	.section	.text._ZN7rocprim17ROCPRIM_400000_NS6detail17trampoline_kernelINS0_14default_configENS1_25transform_config_selectorIsLb0EEEZNS1_14transform_implILb0ES3_S5_NS0_18transform_iteratorINS0_17counting_iteratorImlEEZNS1_24adjacent_difference_implIS3_Lb1ELb0EPKsPsN6thrust23THRUST_200600_302600_NS4plusIsEEEE10hipError_tPvRmT2_T3_mT4_P12ihipStream_tbEUlmE_sEESD_NS0_8identityIvEEEESI_SL_SM_mSN_SP_bEUlT_E_NS1_11comp_targetILNS1_3genE2ELNS1_11target_archE906ELNS1_3gpuE6ELNS1_3repE0EEENS1_30default_config_static_selectorELNS0_4arch9wavefront6targetE0EEEvT1_,"axG",@progbits,_ZN7rocprim17ROCPRIM_400000_NS6detail17trampoline_kernelINS0_14default_configENS1_25transform_config_selectorIsLb0EEEZNS1_14transform_implILb0ES3_S5_NS0_18transform_iteratorINS0_17counting_iteratorImlEEZNS1_24adjacent_difference_implIS3_Lb1ELb0EPKsPsN6thrust23THRUST_200600_302600_NS4plusIsEEEE10hipError_tPvRmT2_T3_mT4_P12ihipStream_tbEUlmE_sEESD_NS0_8identityIvEEEESI_SL_SM_mSN_SP_bEUlT_E_NS1_11comp_targetILNS1_3genE2ELNS1_11target_archE906ELNS1_3gpuE6ELNS1_3repE0EEENS1_30default_config_static_selectorELNS0_4arch9wavefront6targetE0EEEvT1_,comdat
	.protected	_ZN7rocprim17ROCPRIM_400000_NS6detail17trampoline_kernelINS0_14default_configENS1_25transform_config_selectorIsLb0EEEZNS1_14transform_implILb0ES3_S5_NS0_18transform_iteratorINS0_17counting_iteratorImlEEZNS1_24adjacent_difference_implIS3_Lb1ELb0EPKsPsN6thrust23THRUST_200600_302600_NS4plusIsEEEE10hipError_tPvRmT2_T3_mT4_P12ihipStream_tbEUlmE_sEESD_NS0_8identityIvEEEESI_SL_SM_mSN_SP_bEUlT_E_NS1_11comp_targetILNS1_3genE2ELNS1_11target_archE906ELNS1_3gpuE6ELNS1_3repE0EEENS1_30default_config_static_selectorELNS0_4arch9wavefront6targetE0EEEvT1_ ; -- Begin function _ZN7rocprim17ROCPRIM_400000_NS6detail17trampoline_kernelINS0_14default_configENS1_25transform_config_selectorIsLb0EEEZNS1_14transform_implILb0ES3_S5_NS0_18transform_iteratorINS0_17counting_iteratorImlEEZNS1_24adjacent_difference_implIS3_Lb1ELb0EPKsPsN6thrust23THRUST_200600_302600_NS4plusIsEEEE10hipError_tPvRmT2_T3_mT4_P12ihipStream_tbEUlmE_sEESD_NS0_8identityIvEEEESI_SL_SM_mSN_SP_bEUlT_E_NS1_11comp_targetILNS1_3genE2ELNS1_11target_archE906ELNS1_3gpuE6ELNS1_3repE0EEENS1_30default_config_static_selectorELNS0_4arch9wavefront6targetE0EEEvT1_
	.globl	_ZN7rocprim17ROCPRIM_400000_NS6detail17trampoline_kernelINS0_14default_configENS1_25transform_config_selectorIsLb0EEEZNS1_14transform_implILb0ES3_S5_NS0_18transform_iteratorINS0_17counting_iteratorImlEEZNS1_24adjacent_difference_implIS3_Lb1ELb0EPKsPsN6thrust23THRUST_200600_302600_NS4plusIsEEEE10hipError_tPvRmT2_T3_mT4_P12ihipStream_tbEUlmE_sEESD_NS0_8identityIvEEEESI_SL_SM_mSN_SP_bEUlT_E_NS1_11comp_targetILNS1_3genE2ELNS1_11target_archE906ELNS1_3gpuE6ELNS1_3repE0EEENS1_30default_config_static_selectorELNS0_4arch9wavefront6targetE0EEEvT1_
	.p2align	8
	.type	_ZN7rocprim17ROCPRIM_400000_NS6detail17trampoline_kernelINS0_14default_configENS1_25transform_config_selectorIsLb0EEEZNS1_14transform_implILb0ES3_S5_NS0_18transform_iteratorINS0_17counting_iteratorImlEEZNS1_24adjacent_difference_implIS3_Lb1ELb0EPKsPsN6thrust23THRUST_200600_302600_NS4plusIsEEEE10hipError_tPvRmT2_T3_mT4_P12ihipStream_tbEUlmE_sEESD_NS0_8identityIvEEEESI_SL_SM_mSN_SP_bEUlT_E_NS1_11comp_targetILNS1_3genE2ELNS1_11target_archE906ELNS1_3gpuE6ELNS1_3repE0EEENS1_30default_config_static_selectorELNS0_4arch9wavefront6targetE0EEEvT1_,@function
_ZN7rocprim17ROCPRIM_400000_NS6detail17trampoline_kernelINS0_14default_configENS1_25transform_config_selectorIsLb0EEEZNS1_14transform_implILb0ES3_S5_NS0_18transform_iteratorINS0_17counting_iteratorImlEEZNS1_24adjacent_difference_implIS3_Lb1ELb0EPKsPsN6thrust23THRUST_200600_302600_NS4plusIsEEEE10hipError_tPvRmT2_T3_mT4_P12ihipStream_tbEUlmE_sEESD_NS0_8identityIvEEEESI_SL_SM_mSN_SP_bEUlT_E_NS1_11comp_targetILNS1_3genE2ELNS1_11target_archE906ELNS1_3gpuE6ELNS1_3repE0EEENS1_30default_config_static_selectorELNS0_4arch9wavefront6targetE0EEEvT1_: ; @_ZN7rocprim17ROCPRIM_400000_NS6detail17trampoline_kernelINS0_14default_configENS1_25transform_config_selectorIsLb0EEEZNS1_14transform_implILb0ES3_S5_NS0_18transform_iteratorINS0_17counting_iteratorImlEEZNS1_24adjacent_difference_implIS3_Lb1ELb0EPKsPsN6thrust23THRUST_200600_302600_NS4plusIsEEEE10hipError_tPvRmT2_T3_mT4_P12ihipStream_tbEUlmE_sEESD_NS0_8identityIvEEEESI_SL_SM_mSN_SP_bEUlT_E_NS1_11comp_targetILNS1_3genE2ELNS1_11target_archE906ELNS1_3gpuE6ELNS1_3repE0EEENS1_30default_config_static_selectorELNS0_4arch9wavefront6targetE0EEEvT1_
; %bb.0:
	.section	.rodata,"a",@progbits
	.p2align	6, 0x0
	.amdhsa_kernel _ZN7rocprim17ROCPRIM_400000_NS6detail17trampoline_kernelINS0_14default_configENS1_25transform_config_selectorIsLb0EEEZNS1_14transform_implILb0ES3_S5_NS0_18transform_iteratorINS0_17counting_iteratorImlEEZNS1_24adjacent_difference_implIS3_Lb1ELb0EPKsPsN6thrust23THRUST_200600_302600_NS4plusIsEEEE10hipError_tPvRmT2_T3_mT4_P12ihipStream_tbEUlmE_sEESD_NS0_8identityIvEEEESI_SL_SM_mSN_SP_bEUlT_E_NS1_11comp_targetILNS1_3genE2ELNS1_11target_archE906ELNS1_3gpuE6ELNS1_3repE0EEENS1_30default_config_static_selectorELNS0_4arch9wavefront6targetE0EEEvT1_
		.amdhsa_group_segment_fixed_size 0
		.amdhsa_private_segment_fixed_size 0
		.amdhsa_kernarg_size 56
		.amdhsa_user_sgpr_count 15
		.amdhsa_user_sgpr_dispatch_ptr 0
		.amdhsa_user_sgpr_queue_ptr 0
		.amdhsa_user_sgpr_kernarg_segment_ptr 1
		.amdhsa_user_sgpr_dispatch_id 0
		.amdhsa_user_sgpr_private_segment_size 0
		.amdhsa_wavefront_size32 1
		.amdhsa_uses_dynamic_stack 0
		.amdhsa_enable_private_segment 0
		.amdhsa_system_sgpr_workgroup_id_x 1
		.amdhsa_system_sgpr_workgroup_id_y 0
		.amdhsa_system_sgpr_workgroup_id_z 0
		.amdhsa_system_sgpr_workgroup_info 0
		.amdhsa_system_vgpr_workitem_id 0
		.amdhsa_next_free_vgpr 1
		.amdhsa_next_free_sgpr 1
		.amdhsa_reserve_vcc 0
		.amdhsa_float_round_mode_32 0
		.amdhsa_float_round_mode_16_64 0
		.amdhsa_float_denorm_mode_32 3
		.amdhsa_float_denorm_mode_16_64 3
		.amdhsa_dx10_clamp 1
		.amdhsa_ieee_mode 1
		.amdhsa_fp16_overflow 0
		.amdhsa_workgroup_processor_mode 1
		.amdhsa_memory_ordered 1
		.amdhsa_forward_progress 0
		.amdhsa_shared_vgpr_count 0
		.amdhsa_exception_fp_ieee_invalid_op 0
		.amdhsa_exception_fp_denorm_src 0
		.amdhsa_exception_fp_ieee_div_zero 0
		.amdhsa_exception_fp_ieee_overflow 0
		.amdhsa_exception_fp_ieee_underflow 0
		.amdhsa_exception_fp_ieee_inexact 0
		.amdhsa_exception_int_div_zero 0
	.end_amdhsa_kernel
	.section	.text._ZN7rocprim17ROCPRIM_400000_NS6detail17trampoline_kernelINS0_14default_configENS1_25transform_config_selectorIsLb0EEEZNS1_14transform_implILb0ES3_S5_NS0_18transform_iteratorINS0_17counting_iteratorImlEEZNS1_24adjacent_difference_implIS3_Lb1ELb0EPKsPsN6thrust23THRUST_200600_302600_NS4plusIsEEEE10hipError_tPvRmT2_T3_mT4_P12ihipStream_tbEUlmE_sEESD_NS0_8identityIvEEEESI_SL_SM_mSN_SP_bEUlT_E_NS1_11comp_targetILNS1_3genE2ELNS1_11target_archE906ELNS1_3gpuE6ELNS1_3repE0EEENS1_30default_config_static_selectorELNS0_4arch9wavefront6targetE0EEEvT1_,"axG",@progbits,_ZN7rocprim17ROCPRIM_400000_NS6detail17trampoline_kernelINS0_14default_configENS1_25transform_config_selectorIsLb0EEEZNS1_14transform_implILb0ES3_S5_NS0_18transform_iteratorINS0_17counting_iteratorImlEEZNS1_24adjacent_difference_implIS3_Lb1ELb0EPKsPsN6thrust23THRUST_200600_302600_NS4plusIsEEEE10hipError_tPvRmT2_T3_mT4_P12ihipStream_tbEUlmE_sEESD_NS0_8identityIvEEEESI_SL_SM_mSN_SP_bEUlT_E_NS1_11comp_targetILNS1_3genE2ELNS1_11target_archE906ELNS1_3gpuE6ELNS1_3repE0EEENS1_30default_config_static_selectorELNS0_4arch9wavefront6targetE0EEEvT1_,comdat
.Lfunc_end760:
	.size	_ZN7rocprim17ROCPRIM_400000_NS6detail17trampoline_kernelINS0_14default_configENS1_25transform_config_selectorIsLb0EEEZNS1_14transform_implILb0ES3_S5_NS0_18transform_iteratorINS0_17counting_iteratorImlEEZNS1_24adjacent_difference_implIS3_Lb1ELb0EPKsPsN6thrust23THRUST_200600_302600_NS4plusIsEEEE10hipError_tPvRmT2_T3_mT4_P12ihipStream_tbEUlmE_sEESD_NS0_8identityIvEEEESI_SL_SM_mSN_SP_bEUlT_E_NS1_11comp_targetILNS1_3genE2ELNS1_11target_archE906ELNS1_3gpuE6ELNS1_3repE0EEENS1_30default_config_static_selectorELNS0_4arch9wavefront6targetE0EEEvT1_, .Lfunc_end760-_ZN7rocprim17ROCPRIM_400000_NS6detail17trampoline_kernelINS0_14default_configENS1_25transform_config_selectorIsLb0EEEZNS1_14transform_implILb0ES3_S5_NS0_18transform_iteratorINS0_17counting_iteratorImlEEZNS1_24adjacent_difference_implIS3_Lb1ELb0EPKsPsN6thrust23THRUST_200600_302600_NS4plusIsEEEE10hipError_tPvRmT2_T3_mT4_P12ihipStream_tbEUlmE_sEESD_NS0_8identityIvEEEESI_SL_SM_mSN_SP_bEUlT_E_NS1_11comp_targetILNS1_3genE2ELNS1_11target_archE906ELNS1_3gpuE6ELNS1_3repE0EEENS1_30default_config_static_selectorELNS0_4arch9wavefront6targetE0EEEvT1_
                                        ; -- End function
	.section	.AMDGPU.csdata,"",@progbits
; Kernel info:
; codeLenInByte = 0
; NumSgprs: 0
; NumVgprs: 0
; ScratchSize: 0
; MemoryBound: 0
; FloatMode: 240
; IeeeMode: 1
; LDSByteSize: 0 bytes/workgroup (compile time only)
; SGPRBlocks: 0
; VGPRBlocks: 0
; NumSGPRsForWavesPerEU: 1
; NumVGPRsForWavesPerEU: 1
; Occupancy: 16
; WaveLimiterHint : 0
; COMPUTE_PGM_RSRC2:SCRATCH_EN: 0
; COMPUTE_PGM_RSRC2:USER_SGPR: 15
; COMPUTE_PGM_RSRC2:TRAP_HANDLER: 0
; COMPUTE_PGM_RSRC2:TGID_X_EN: 1
; COMPUTE_PGM_RSRC2:TGID_Y_EN: 0
; COMPUTE_PGM_RSRC2:TGID_Z_EN: 0
; COMPUTE_PGM_RSRC2:TIDIG_COMP_CNT: 0
	.section	.text._ZN7rocprim17ROCPRIM_400000_NS6detail17trampoline_kernelINS0_14default_configENS1_25transform_config_selectorIsLb0EEEZNS1_14transform_implILb0ES3_S5_NS0_18transform_iteratorINS0_17counting_iteratorImlEEZNS1_24adjacent_difference_implIS3_Lb1ELb0EPKsPsN6thrust23THRUST_200600_302600_NS4plusIsEEEE10hipError_tPvRmT2_T3_mT4_P12ihipStream_tbEUlmE_sEESD_NS0_8identityIvEEEESI_SL_SM_mSN_SP_bEUlT_E_NS1_11comp_targetILNS1_3genE10ELNS1_11target_archE1201ELNS1_3gpuE5ELNS1_3repE0EEENS1_30default_config_static_selectorELNS0_4arch9wavefront6targetE0EEEvT1_,"axG",@progbits,_ZN7rocprim17ROCPRIM_400000_NS6detail17trampoline_kernelINS0_14default_configENS1_25transform_config_selectorIsLb0EEEZNS1_14transform_implILb0ES3_S5_NS0_18transform_iteratorINS0_17counting_iteratorImlEEZNS1_24adjacent_difference_implIS3_Lb1ELb0EPKsPsN6thrust23THRUST_200600_302600_NS4plusIsEEEE10hipError_tPvRmT2_T3_mT4_P12ihipStream_tbEUlmE_sEESD_NS0_8identityIvEEEESI_SL_SM_mSN_SP_bEUlT_E_NS1_11comp_targetILNS1_3genE10ELNS1_11target_archE1201ELNS1_3gpuE5ELNS1_3repE0EEENS1_30default_config_static_selectorELNS0_4arch9wavefront6targetE0EEEvT1_,comdat
	.protected	_ZN7rocprim17ROCPRIM_400000_NS6detail17trampoline_kernelINS0_14default_configENS1_25transform_config_selectorIsLb0EEEZNS1_14transform_implILb0ES3_S5_NS0_18transform_iteratorINS0_17counting_iteratorImlEEZNS1_24adjacent_difference_implIS3_Lb1ELb0EPKsPsN6thrust23THRUST_200600_302600_NS4plusIsEEEE10hipError_tPvRmT2_T3_mT4_P12ihipStream_tbEUlmE_sEESD_NS0_8identityIvEEEESI_SL_SM_mSN_SP_bEUlT_E_NS1_11comp_targetILNS1_3genE10ELNS1_11target_archE1201ELNS1_3gpuE5ELNS1_3repE0EEENS1_30default_config_static_selectorELNS0_4arch9wavefront6targetE0EEEvT1_ ; -- Begin function _ZN7rocprim17ROCPRIM_400000_NS6detail17trampoline_kernelINS0_14default_configENS1_25transform_config_selectorIsLb0EEEZNS1_14transform_implILb0ES3_S5_NS0_18transform_iteratorINS0_17counting_iteratorImlEEZNS1_24adjacent_difference_implIS3_Lb1ELb0EPKsPsN6thrust23THRUST_200600_302600_NS4plusIsEEEE10hipError_tPvRmT2_T3_mT4_P12ihipStream_tbEUlmE_sEESD_NS0_8identityIvEEEESI_SL_SM_mSN_SP_bEUlT_E_NS1_11comp_targetILNS1_3genE10ELNS1_11target_archE1201ELNS1_3gpuE5ELNS1_3repE0EEENS1_30default_config_static_selectorELNS0_4arch9wavefront6targetE0EEEvT1_
	.globl	_ZN7rocprim17ROCPRIM_400000_NS6detail17trampoline_kernelINS0_14default_configENS1_25transform_config_selectorIsLb0EEEZNS1_14transform_implILb0ES3_S5_NS0_18transform_iteratorINS0_17counting_iteratorImlEEZNS1_24adjacent_difference_implIS3_Lb1ELb0EPKsPsN6thrust23THRUST_200600_302600_NS4plusIsEEEE10hipError_tPvRmT2_T3_mT4_P12ihipStream_tbEUlmE_sEESD_NS0_8identityIvEEEESI_SL_SM_mSN_SP_bEUlT_E_NS1_11comp_targetILNS1_3genE10ELNS1_11target_archE1201ELNS1_3gpuE5ELNS1_3repE0EEENS1_30default_config_static_selectorELNS0_4arch9wavefront6targetE0EEEvT1_
	.p2align	8
	.type	_ZN7rocprim17ROCPRIM_400000_NS6detail17trampoline_kernelINS0_14default_configENS1_25transform_config_selectorIsLb0EEEZNS1_14transform_implILb0ES3_S5_NS0_18transform_iteratorINS0_17counting_iteratorImlEEZNS1_24adjacent_difference_implIS3_Lb1ELb0EPKsPsN6thrust23THRUST_200600_302600_NS4plusIsEEEE10hipError_tPvRmT2_T3_mT4_P12ihipStream_tbEUlmE_sEESD_NS0_8identityIvEEEESI_SL_SM_mSN_SP_bEUlT_E_NS1_11comp_targetILNS1_3genE10ELNS1_11target_archE1201ELNS1_3gpuE5ELNS1_3repE0EEENS1_30default_config_static_selectorELNS0_4arch9wavefront6targetE0EEEvT1_,@function
_ZN7rocprim17ROCPRIM_400000_NS6detail17trampoline_kernelINS0_14default_configENS1_25transform_config_selectorIsLb0EEEZNS1_14transform_implILb0ES3_S5_NS0_18transform_iteratorINS0_17counting_iteratorImlEEZNS1_24adjacent_difference_implIS3_Lb1ELb0EPKsPsN6thrust23THRUST_200600_302600_NS4plusIsEEEE10hipError_tPvRmT2_T3_mT4_P12ihipStream_tbEUlmE_sEESD_NS0_8identityIvEEEESI_SL_SM_mSN_SP_bEUlT_E_NS1_11comp_targetILNS1_3genE10ELNS1_11target_archE1201ELNS1_3gpuE5ELNS1_3repE0EEENS1_30default_config_static_selectorELNS0_4arch9wavefront6targetE0EEEvT1_: ; @_ZN7rocprim17ROCPRIM_400000_NS6detail17trampoline_kernelINS0_14default_configENS1_25transform_config_selectorIsLb0EEEZNS1_14transform_implILb0ES3_S5_NS0_18transform_iteratorINS0_17counting_iteratorImlEEZNS1_24adjacent_difference_implIS3_Lb1ELb0EPKsPsN6thrust23THRUST_200600_302600_NS4plusIsEEEE10hipError_tPvRmT2_T3_mT4_P12ihipStream_tbEUlmE_sEESD_NS0_8identityIvEEEESI_SL_SM_mSN_SP_bEUlT_E_NS1_11comp_targetILNS1_3genE10ELNS1_11target_archE1201ELNS1_3gpuE5ELNS1_3repE0EEENS1_30default_config_static_selectorELNS0_4arch9wavefront6targetE0EEEvT1_
; %bb.0:
	.section	.rodata,"a",@progbits
	.p2align	6, 0x0
	.amdhsa_kernel _ZN7rocprim17ROCPRIM_400000_NS6detail17trampoline_kernelINS0_14default_configENS1_25transform_config_selectorIsLb0EEEZNS1_14transform_implILb0ES3_S5_NS0_18transform_iteratorINS0_17counting_iteratorImlEEZNS1_24adjacent_difference_implIS3_Lb1ELb0EPKsPsN6thrust23THRUST_200600_302600_NS4plusIsEEEE10hipError_tPvRmT2_T3_mT4_P12ihipStream_tbEUlmE_sEESD_NS0_8identityIvEEEESI_SL_SM_mSN_SP_bEUlT_E_NS1_11comp_targetILNS1_3genE10ELNS1_11target_archE1201ELNS1_3gpuE5ELNS1_3repE0EEENS1_30default_config_static_selectorELNS0_4arch9wavefront6targetE0EEEvT1_
		.amdhsa_group_segment_fixed_size 0
		.amdhsa_private_segment_fixed_size 0
		.amdhsa_kernarg_size 56
		.amdhsa_user_sgpr_count 15
		.amdhsa_user_sgpr_dispatch_ptr 0
		.amdhsa_user_sgpr_queue_ptr 0
		.amdhsa_user_sgpr_kernarg_segment_ptr 1
		.amdhsa_user_sgpr_dispatch_id 0
		.amdhsa_user_sgpr_private_segment_size 0
		.amdhsa_wavefront_size32 1
		.amdhsa_uses_dynamic_stack 0
		.amdhsa_enable_private_segment 0
		.amdhsa_system_sgpr_workgroup_id_x 1
		.amdhsa_system_sgpr_workgroup_id_y 0
		.amdhsa_system_sgpr_workgroup_id_z 0
		.amdhsa_system_sgpr_workgroup_info 0
		.amdhsa_system_vgpr_workitem_id 0
		.amdhsa_next_free_vgpr 1
		.amdhsa_next_free_sgpr 1
		.amdhsa_reserve_vcc 0
		.amdhsa_float_round_mode_32 0
		.amdhsa_float_round_mode_16_64 0
		.amdhsa_float_denorm_mode_32 3
		.amdhsa_float_denorm_mode_16_64 3
		.amdhsa_dx10_clamp 1
		.amdhsa_ieee_mode 1
		.amdhsa_fp16_overflow 0
		.amdhsa_workgroup_processor_mode 1
		.amdhsa_memory_ordered 1
		.amdhsa_forward_progress 0
		.amdhsa_shared_vgpr_count 0
		.amdhsa_exception_fp_ieee_invalid_op 0
		.amdhsa_exception_fp_denorm_src 0
		.amdhsa_exception_fp_ieee_div_zero 0
		.amdhsa_exception_fp_ieee_overflow 0
		.amdhsa_exception_fp_ieee_underflow 0
		.amdhsa_exception_fp_ieee_inexact 0
		.amdhsa_exception_int_div_zero 0
	.end_amdhsa_kernel
	.section	.text._ZN7rocprim17ROCPRIM_400000_NS6detail17trampoline_kernelINS0_14default_configENS1_25transform_config_selectorIsLb0EEEZNS1_14transform_implILb0ES3_S5_NS0_18transform_iteratorINS0_17counting_iteratorImlEEZNS1_24adjacent_difference_implIS3_Lb1ELb0EPKsPsN6thrust23THRUST_200600_302600_NS4plusIsEEEE10hipError_tPvRmT2_T3_mT4_P12ihipStream_tbEUlmE_sEESD_NS0_8identityIvEEEESI_SL_SM_mSN_SP_bEUlT_E_NS1_11comp_targetILNS1_3genE10ELNS1_11target_archE1201ELNS1_3gpuE5ELNS1_3repE0EEENS1_30default_config_static_selectorELNS0_4arch9wavefront6targetE0EEEvT1_,"axG",@progbits,_ZN7rocprim17ROCPRIM_400000_NS6detail17trampoline_kernelINS0_14default_configENS1_25transform_config_selectorIsLb0EEEZNS1_14transform_implILb0ES3_S5_NS0_18transform_iteratorINS0_17counting_iteratorImlEEZNS1_24adjacent_difference_implIS3_Lb1ELb0EPKsPsN6thrust23THRUST_200600_302600_NS4plusIsEEEE10hipError_tPvRmT2_T3_mT4_P12ihipStream_tbEUlmE_sEESD_NS0_8identityIvEEEESI_SL_SM_mSN_SP_bEUlT_E_NS1_11comp_targetILNS1_3genE10ELNS1_11target_archE1201ELNS1_3gpuE5ELNS1_3repE0EEENS1_30default_config_static_selectorELNS0_4arch9wavefront6targetE0EEEvT1_,comdat
.Lfunc_end761:
	.size	_ZN7rocprim17ROCPRIM_400000_NS6detail17trampoline_kernelINS0_14default_configENS1_25transform_config_selectorIsLb0EEEZNS1_14transform_implILb0ES3_S5_NS0_18transform_iteratorINS0_17counting_iteratorImlEEZNS1_24adjacent_difference_implIS3_Lb1ELb0EPKsPsN6thrust23THRUST_200600_302600_NS4plusIsEEEE10hipError_tPvRmT2_T3_mT4_P12ihipStream_tbEUlmE_sEESD_NS0_8identityIvEEEESI_SL_SM_mSN_SP_bEUlT_E_NS1_11comp_targetILNS1_3genE10ELNS1_11target_archE1201ELNS1_3gpuE5ELNS1_3repE0EEENS1_30default_config_static_selectorELNS0_4arch9wavefront6targetE0EEEvT1_, .Lfunc_end761-_ZN7rocprim17ROCPRIM_400000_NS6detail17trampoline_kernelINS0_14default_configENS1_25transform_config_selectorIsLb0EEEZNS1_14transform_implILb0ES3_S5_NS0_18transform_iteratorINS0_17counting_iteratorImlEEZNS1_24adjacent_difference_implIS3_Lb1ELb0EPKsPsN6thrust23THRUST_200600_302600_NS4plusIsEEEE10hipError_tPvRmT2_T3_mT4_P12ihipStream_tbEUlmE_sEESD_NS0_8identityIvEEEESI_SL_SM_mSN_SP_bEUlT_E_NS1_11comp_targetILNS1_3genE10ELNS1_11target_archE1201ELNS1_3gpuE5ELNS1_3repE0EEENS1_30default_config_static_selectorELNS0_4arch9wavefront6targetE0EEEvT1_
                                        ; -- End function
	.section	.AMDGPU.csdata,"",@progbits
; Kernel info:
; codeLenInByte = 0
; NumSgprs: 0
; NumVgprs: 0
; ScratchSize: 0
; MemoryBound: 0
; FloatMode: 240
; IeeeMode: 1
; LDSByteSize: 0 bytes/workgroup (compile time only)
; SGPRBlocks: 0
; VGPRBlocks: 0
; NumSGPRsForWavesPerEU: 1
; NumVGPRsForWavesPerEU: 1
; Occupancy: 16
; WaveLimiterHint : 0
; COMPUTE_PGM_RSRC2:SCRATCH_EN: 0
; COMPUTE_PGM_RSRC2:USER_SGPR: 15
; COMPUTE_PGM_RSRC2:TRAP_HANDLER: 0
; COMPUTE_PGM_RSRC2:TGID_X_EN: 1
; COMPUTE_PGM_RSRC2:TGID_Y_EN: 0
; COMPUTE_PGM_RSRC2:TGID_Z_EN: 0
; COMPUTE_PGM_RSRC2:TIDIG_COMP_CNT: 0
	.section	.text._ZN7rocprim17ROCPRIM_400000_NS6detail17trampoline_kernelINS0_14default_configENS1_25transform_config_selectorIsLb0EEEZNS1_14transform_implILb0ES3_S5_NS0_18transform_iteratorINS0_17counting_iteratorImlEEZNS1_24adjacent_difference_implIS3_Lb1ELb0EPKsPsN6thrust23THRUST_200600_302600_NS4plusIsEEEE10hipError_tPvRmT2_T3_mT4_P12ihipStream_tbEUlmE_sEESD_NS0_8identityIvEEEESI_SL_SM_mSN_SP_bEUlT_E_NS1_11comp_targetILNS1_3genE10ELNS1_11target_archE1200ELNS1_3gpuE4ELNS1_3repE0EEENS1_30default_config_static_selectorELNS0_4arch9wavefront6targetE0EEEvT1_,"axG",@progbits,_ZN7rocprim17ROCPRIM_400000_NS6detail17trampoline_kernelINS0_14default_configENS1_25transform_config_selectorIsLb0EEEZNS1_14transform_implILb0ES3_S5_NS0_18transform_iteratorINS0_17counting_iteratorImlEEZNS1_24adjacent_difference_implIS3_Lb1ELb0EPKsPsN6thrust23THRUST_200600_302600_NS4plusIsEEEE10hipError_tPvRmT2_T3_mT4_P12ihipStream_tbEUlmE_sEESD_NS0_8identityIvEEEESI_SL_SM_mSN_SP_bEUlT_E_NS1_11comp_targetILNS1_3genE10ELNS1_11target_archE1200ELNS1_3gpuE4ELNS1_3repE0EEENS1_30default_config_static_selectorELNS0_4arch9wavefront6targetE0EEEvT1_,comdat
	.protected	_ZN7rocprim17ROCPRIM_400000_NS6detail17trampoline_kernelINS0_14default_configENS1_25transform_config_selectorIsLb0EEEZNS1_14transform_implILb0ES3_S5_NS0_18transform_iteratorINS0_17counting_iteratorImlEEZNS1_24adjacent_difference_implIS3_Lb1ELb0EPKsPsN6thrust23THRUST_200600_302600_NS4plusIsEEEE10hipError_tPvRmT2_T3_mT4_P12ihipStream_tbEUlmE_sEESD_NS0_8identityIvEEEESI_SL_SM_mSN_SP_bEUlT_E_NS1_11comp_targetILNS1_3genE10ELNS1_11target_archE1200ELNS1_3gpuE4ELNS1_3repE0EEENS1_30default_config_static_selectorELNS0_4arch9wavefront6targetE0EEEvT1_ ; -- Begin function _ZN7rocprim17ROCPRIM_400000_NS6detail17trampoline_kernelINS0_14default_configENS1_25transform_config_selectorIsLb0EEEZNS1_14transform_implILb0ES3_S5_NS0_18transform_iteratorINS0_17counting_iteratorImlEEZNS1_24adjacent_difference_implIS3_Lb1ELb0EPKsPsN6thrust23THRUST_200600_302600_NS4plusIsEEEE10hipError_tPvRmT2_T3_mT4_P12ihipStream_tbEUlmE_sEESD_NS0_8identityIvEEEESI_SL_SM_mSN_SP_bEUlT_E_NS1_11comp_targetILNS1_3genE10ELNS1_11target_archE1200ELNS1_3gpuE4ELNS1_3repE0EEENS1_30default_config_static_selectorELNS0_4arch9wavefront6targetE0EEEvT1_
	.globl	_ZN7rocprim17ROCPRIM_400000_NS6detail17trampoline_kernelINS0_14default_configENS1_25transform_config_selectorIsLb0EEEZNS1_14transform_implILb0ES3_S5_NS0_18transform_iteratorINS0_17counting_iteratorImlEEZNS1_24adjacent_difference_implIS3_Lb1ELb0EPKsPsN6thrust23THRUST_200600_302600_NS4plusIsEEEE10hipError_tPvRmT2_T3_mT4_P12ihipStream_tbEUlmE_sEESD_NS0_8identityIvEEEESI_SL_SM_mSN_SP_bEUlT_E_NS1_11comp_targetILNS1_3genE10ELNS1_11target_archE1200ELNS1_3gpuE4ELNS1_3repE0EEENS1_30default_config_static_selectorELNS0_4arch9wavefront6targetE0EEEvT1_
	.p2align	8
	.type	_ZN7rocprim17ROCPRIM_400000_NS6detail17trampoline_kernelINS0_14default_configENS1_25transform_config_selectorIsLb0EEEZNS1_14transform_implILb0ES3_S5_NS0_18transform_iteratorINS0_17counting_iteratorImlEEZNS1_24adjacent_difference_implIS3_Lb1ELb0EPKsPsN6thrust23THRUST_200600_302600_NS4plusIsEEEE10hipError_tPvRmT2_T3_mT4_P12ihipStream_tbEUlmE_sEESD_NS0_8identityIvEEEESI_SL_SM_mSN_SP_bEUlT_E_NS1_11comp_targetILNS1_3genE10ELNS1_11target_archE1200ELNS1_3gpuE4ELNS1_3repE0EEENS1_30default_config_static_selectorELNS0_4arch9wavefront6targetE0EEEvT1_,@function
_ZN7rocprim17ROCPRIM_400000_NS6detail17trampoline_kernelINS0_14default_configENS1_25transform_config_selectorIsLb0EEEZNS1_14transform_implILb0ES3_S5_NS0_18transform_iteratorINS0_17counting_iteratorImlEEZNS1_24adjacent_difference_implIS3_Lb1ELb0EPKsPsN6thrust23THRUST_200600_302600_NS4plusIsEEEE10hipError_tPvRmT2_T3_mT4_P12ihipStream_tbEUlmE_sEESD_NS0_8identityIvEEEESI_SL_SM_mSN_SP_bEUlT_E_NS1_11comp_targetILNS1_3genE10ELNS1_11target_archE1200ELNS1_3gpuE4ELNS1_3repE0EEENS1_30default_config_static_selectorELNS0_4arch9wavefront6targetE0EEEvT1_: ; @_ZN7rocprim17ROCPRIM_400000_NS6detail17trampoline_kernelINS0_14default_configENS1_25transform_config_selectorIsLb0EEEZNS1_14transform_implILb0ES3_S5_NS0_18transform_iteratorINS0_17counting_iteratorImlEEZNS1_24adjacent_difference_implIS3_Lb1ELb0EPKsPsN6thrust23THRUST_200600_302600_NS4plusIsEEEE10hipError_tPvRmT2_T3_mT4_P12ihipStream_tbEUlmE_sEESD_NS0_8identityIvEEEESI_SL_SM_mSN_SP_bEUlT_E_NS1_11comp_targetILNS1_3genE10ELNS1_11target_archE1200ELNS1_3gpuE4ELNS1_3repE0EEENS1_30default_config_static_selectorELNS0_4arch9wavefront6targetE0EEEvT1_
; %bb.0:
	.section	.rodata,"a",@progbits
	.p2align	6, 0x0
	.amdhsa_kernel _ZN7rocprim17ROCPRIM_400000_NS6detail17trampoline_kernelINS0_14default_configENS1_25transform_config_selectorIsLb0EEEZNS1_14transform_implILb0ES3_S5_NS0_18transform_iteratorINS0_17counting_iteratorImlEEZNS1_24adjacent_difference_implIS3_Lb1ELb0EPKsPsN6thrust23THRUST_200600_302600_NS4plusIsEEEE10hipError_tPvRmT2_T3_mT4_P12ihipStream_tbEUlmE_sEESD_NS0_8identityIvEEEESI_SL_SM_mSN_SP_bEUlT_E_NS1_11comp_targetILNS1_3genE10ELNS1_11target_archE1200ELNS1_3gpuE4ELNS1_3repE0EEENS1_30default_config_static_selectorELNS0_4arch9wavefront6targetE0EEEvT1_
		.amdhsa_group_segment_fixed_size 0
		.amdhsa_private_segment_fixed_size 0
		.amdhsa_kernarg_size 56
		.amdhsa_user_sgpr_count 15
		.amdhsa_user_sgpr_dispatch_ptr 0
		.amdhsa_user_sgpr_queue_ptr 0
		.amdhsa_user_sgpr_kernarg_segment_ptr 1
		.amdhsa_user_sgpr_dispatch_id 0
		.amdhsa_user_sgpr_private_segment_size 0
		.amdhsa_wavefront_size32 1
		.amdhsa_uses_dynamic_stack 0
		.amdhsa_enable_private_segment 0
		.amdhsa_system_sgpr_workgroup_id_x 1
		.amdhsa_system_sgpr_workgroup_id_y 0
		.amdhsa_system_sgpr_workgroup_id_z 0
		.amdhsa_system_sgpr_workgroup_info 0
		.amdhsa_system_vgpr_workitem_id 0
		.amdhsa_next_free_vgpr 1
		.amdhsa_next_free_sgpr 1
		.amdhsa_reserve_vcc 0
		.amdhsa_float_round_mode_32 0
		.amdhsa_float_round_mode_16_64 0
		.amdhsa_float_denorm_mode_32 3
		.amdhsa_float_denorm_mode_16_64 3
		.amdhsa_dx10_clamp 1
		.amdhsa_ieee_mode 1
		.amdhsa_fp16_overflow 0
		.amdhsa_workgroup_processor_mode 1
		.amdhsa_memory_ordered 1
		.amdhsa_forward_progress 0
		.amdhsa_shared_vgpr_count 0
		.amdhsa_exception_fp_ieee_invalid_op 0
		.amdhsa_exception_fp_denorm_src 0
		.amdhsa_exception_fp_ieee_div_zero 0
		.amdhsa_exception_fp_ieee_overflow 0
		.amdhsa_exception_fp_ieee_underflow 0
		.amdhsa_exception_fp_ieee_inexact 0
		.amdhsa_exception_int_div_zero 0
	.end_amdhsa_kernel
	.section	.text._ZN7rocprim17ROCPRIM_400000_NS6detail17trampoline_kernelINS0_14default_configENS1_25transform_config_selectorIsLb0EEEZNS1_14transform_implILb0ES3_S5_NS0_18transform_iteratorINS0_17counting_iteratorImlEEZNS1_24adjacent_difference_implIS3_Lb1ELb0EPKsPsN6thrust23THRUST_200600_302600_NS4plusIsEEEE10hipError_tPvRmT2_T3_mT4_P12ihipStream_tbEUlmE_sEESD_NS0_8identityIvEEEESI_SL_SM_mSN_SP_bEUlT_E_NS1_11comp_targetILNS1_3genE10ELNS1_11target_archE1200ELNS1_3gpuE4ELNS1_3repE0EEENS1_30default_config_static_selectorELNS0_4arch9wavefront6targetE0EEEvT1_,"axG",@progbits,_ZN7rocprim17ROCPRIM_400000_NS6detail17trampoline_kernelINS0_14default_configENS1_25transform_config_selectorIsLb0EEEZNS1_14transform_implILb0ES3_S5_NS0_18transform_iteratorINS0_17counting_iteratorImlEEZNS1_24adjacent_difference_implIS3_Lb1ELb0EPKsPsN6thrust23THRUST_200600_302600_NS4plusIsEEEE10hipError_tPvRmT2_T3_mT4_P12ihipStream_tbEUlmE_sEESD_NS0_8identityIvEEEESI_SL_SM_mSN_SP_bEUlT_E_NS1_11comp_targetILNS1_3genE10ELNS1_11target_archE1200ELNS1_3gpuE4ELNS1_3repE0EEENS1_30default_config_static_selectorELNS0_4arch9wavefront6targetE0EEEvT1_,comdat
.Lfunc_end762:
	.size	_ZN7rocprim17ROCPRIM_400000_NS6detail17trampoline_kernelINS0_14default_configENS1_25transform_config_selectorIsLb0EEEZNS1_14transform_implILb0ES3_S5_NS0_18transform_iteratorINS0_17counting_iteratorImlEEZNS1_24adjacent_difference_implIS3_Lb1ELb0EPKsPsN6thrust23THRUST_200600_302600_NS4plusIsEEEE10hipError_tPvRmT2_T3_mT4_P12ihipStream_tbEUlmE_sEESD_NS0_8identityIvEEEESI_SL_SM_mSN_SP_bEUlT_E_NS1_11comp_targetILNS1_3genE10ELNS1_11target_archE1200ELNS1_3gpuE4ELNS1_3repE0EEENS1_30default_config_static_selectorELNS0_4arch9wavefront6targetE0EEEvT1_, .Lfunc_end762-_ZN7rocprim17ROCPRIM_400000_NS6detail17trampoline_kernelINS0_14default_configENS1_25transform_config_selectorIsLb0EEEZNS1_14transform_implILb0ES3_S5_NS0_18transform_iteratorINS0_17counting_iteratorImlEEZNS1_24adjacent_difference_implIS3_Lb1ELb0EPKsPsN6thrust23THRUST_200600_302600_NS4plusIsEEEE10hipError_tPvRmT2_T3_mT4_P12ihipStream_tbEUlmE_sEESD_NS0_8identityIvEEEESI_SL_SM_mSN_SP_bEUlT_E_NS1_11comp_targetILNS1_3genE10ELNS1_11target_archE1200ELNS1_3gpuE4ELNS1_3repE0EEENS1_30default_config_static_selectorELNS0_4arch9wavefront6targetE0EEEvT1_
                                        ; -- End function
	.section	.AMDGPU.csdata,"",@progbits
; Kernel info:
; codeLenInByte = 0
; NumSgprs: 0
; NumVgprs: 0
; ScratchSize: 0
; MemoryBound: 0
; FloatMode: 240
; IeeeMode: 1
; LDSByteSize: 0 bytes/workgroup (compile time only)
; SGPRBlocks: 0
; VGPRBlocks: 0
; NumSGPRsForWavesPerEU: 1
; NumVGPRsForWavesPerEU: 1
; Occupancy: 16
; WaveLimiterHint : 0
; COMPUTE_PGM_RSRC2:SCRATCH_EN: 0
; COMPUTE_PGM_RSRC2:USER_SGPR: 15
; COMPUTE_PGM_RSRC2:TRAP_HANDLER: 0
; COMPUTE_PGM_RSRC2:TGID_X_EN: 1
; COMPUTE_PGM_RSRC2:TGID_Y_EN: 0
; COMPUTE_PGM_RSRC2:TGID_Z_EN: 0
; COMPUTE_PGM_RSRC2:TIDIG_COMP_CNT: 0
	.section	.text._ZN7rocprim17ROCPRIM_400000_NS6detail17trampoline_kernelINS0_14default_configENS1_25transform_config_selectorIsLb0EEEZNS1_14transform_implILb0ES3_S5_NS0_18transform_iteratorINS0_17counting_iteratorImlEEZNS1_24adjacent_difference_implIS3_Lb1ELb0EPKsPsN6thrust23THRUST_200600_302600_NS4plusIsEEEE10hipError_tPvRmT2_T3_mT4_P12ihipStream_tbEUlmE_sEESD_NS0_8identityIvEEEESI_SL_SM_mSN_SP_bEUlT_E_NS1_11comp_targetILNS1_3genE9ELNS1_11target_archE1100ELNS1_3gpuE3ELNS1_3repE0EEENS1_30default_config_static_selectorELNS0_4arch9wavefront6targetE0EEEvT1_,"axG",@progbits,_ZN7rocprim17ROCPRIM_400000_NS6detail17trampoline_kernelINS0_14default_configENS1_25transform_config_selectorIsLb0EEEZNS1_14transform_implILb0ES3_S5_NS0_18transform_iteratorINS0_17counting_iteratorImlEEZNS1_24adjacent_difference_implIS3_Lb1ELb0EPKsPsN6thrust23THRUST_200600_302600_NS4plusIsEEEE10hipError_tPvRmT2_T3_mT4_P12ihipStream_tbEUlmE_sEESD_NS0_8identityIvEEEESI_SL_SM_mSN_SP_bEUlT_E_NS1_11comp_targetILNS1_3genE9ELNS1_11target_archE1100ELNS1_3gpuE3ELNS1_3repE0EEENS1_30default_config_static_selectorELNS0_4arch9wavefront6targetE0EEEvT1_,comdat
	.protected	_ZN7rocprim17ROCPRIM_400000_NS6detail17trampoline_kernelINS0_14default_configENS1_25transform_config_selectorIsLb0EEEZNS1_14transform_implILb0ES3_S5_NS0_18transform_iteratorINS0_17counting_iteratorImlEEZNS1_24adjacent_difference_implIS3_Lb1ELb0EPKsPsN6thrust23THRUST_200600_302600_NS4plusIsEEEE10hipError_tPvRmT2_T3_mT4_P12ihipStream_tbEUlmE_sEESD_NS0_8identityIvEEEESI_SL_SM_mSN_SP_bEUlT_E_NS1_11comp_targetILNS1_3genE9ELNS1_11target_archE1100ELNS1_3gpuE3ELNS1_3repE0EEENS1_30default_config_static_selectorELNS0_4arch9wavefront6targetE0EEEvT1_ ; -- Begin function _ZN7rocprim17ROCPRIM_400000_NS6detail17trampoline_kernelINS0_14default_configENS1_25transform_config_selectorIsLb0EEEZNS1_14transform_implILb0ES3_S5_NS0_18transform_iteratorINS0_17counting_iteratorImlEEZNS1_24adjacent_difference_implIS3_Lb1ELb0EPKsPsN6thrust23THRUST_200600_302600_NS4plusIsEEEE10hipError_tPvRmT2_T3_mT4_P12ihipStream_tbEUlmE_sEESD_NS0_8identityIvEEEESI_SL_SM_mSN_SP_bEUlT_E_NS1_11comp_targetILNS1_3genE9ELNS1_11target_archE1100ELNS1_3gpuE3ELNS1_3repE0EEENS1_30default_config_static_selectorELNS0_4arch9wavefront6targetE0EEEvT1_
	.globl	_ZN7rocprim17ROCPRIM_400000_NS6detail17trampoline_kernelINS0_14default_configENS1_25transform_config_selectorIsLb0EEEZNS1_14transform_implILb0ES3_S5_NS0_18transform_iteratorINS0_17counting_iteratorImlEEZNS1_24adjacent_difference_implIS3_Lb1ELb0EPKsPsN6thrust23THRUST_200600_302600_NS4plusIsEEEE10hipError_tPvRmT2_T3_mT4_P12ihipStream_tbEUlmE_sEESD_NS0_8identityIvEEEESI_SL_SM_mSN_SP_bEUlT_E_NS1_11comp_targetILNS1_3genE9ELNS1_11target_archE1100ELNS1_3gpuE3ELNS1_3repE0EEENS1_30default_config_static_selectorELNS0_4arch9wavefront6targetE0EEEvT1_
	.p2align	8
	.type	_ZN7rocprim17ROCPRIM_400000_NS6detail17trampoline_kernelINS0_14default_configENS1_25transform_config_selectorIsLb0EEEZNS1_14transform_implILb0ES3_S5_NS0_18transform_iteratorINS0_17counting_iteratorImlEEZNS1_24adjacent_difference_implIS3_Lb1ELb0EPKsPsN6thrust23THRUST_200600_302600_NS4plusIsEEEE10hipError_tPvRmT2_T3_mT4_P12ihipStream_tbEUlmE_sEESD_NS0_8identityIvEEEESI_SL_SM_mSN_SP_bEUlT_E_NS1_11comp_targetILNS1_3genE9ELNS1_11target_archE1100ELNS1_3gpuE3ELNS1_3repE0EEENS1_30default_config_static_selectorELNS0_4arch9wavefront6targetE0EEEvT1_,@function
_ZN7rocprim17ROCPRIM_400000_NS6detail17trampoline_kernelINS0_14default_configENS1_25transform_config_selectorIsLb0EEEZNS1_14transform_implILb0ES3_S5_NS0_18transform_iteratorINS0_17counting_iteratorImlEEZNS1_24adjacent_difference_implIS3_Lb1ELb0EPKsPsN6thrust23THRUST_200600_302600_NS4plusIsEEEE10hipError_tPvRmT2_T3_mT4_P12ihipStream_tbEUlmE_sEESD_NS0_8identityIvEEEESI_SL_SM_mSN_SP_bEUlT_E_NS1_11comp_targetILNS1_3genE9ELNS1_11target_archE1100ELNS1_3gpuE3ELNS1_3repE0EEENS1_30default_config_static_selectorELNS0_4arch9wavefront6targetE0EEEvT1_: ; @_ZN7rocprim17ROCPRIM_400000_NS6detail17trampoline_kernelINS0_14default_configENS1_25transform_config_selectorIsLb0EEEZNS1_14transform_implILb0ES3_S5_NS0_18transform_iteratorINS0_17counting_iteratorImlEEZNS1_24adjacent_difference_implIS3_Lb1ELb0EPKsPsN6thrust23THRUST_200600_302600_NS4plusIsEEEE10hipError_tPvRmT2_T3_mT4_P12ihipStream_tbEUlmE_sEESD_NS0_8identityIvEEEESI_SL_SM_mSN_SP_bEUlT_E_NS1_11comp_targetILNS1_3genE9ELNS1_11target_archE1100ELNS1_3gpuE3ELNS1_3repE0EEENS1_30default_config_static_selectorELNS0_4arch9wavefront6targetE0EEEvT1_
; %bb.0:
	s_clause 0x4
	s_load_b128 s[8:11], s[0:1], 0x18
	s_load_b64 s[16:17], s[0:1], 0x28
	s_load_b32 s13, s[0:1], 0x38
	s_load_b128 s[4:7], s[0:1], 0x0
	s_load_b32 s12, s[0:1], 0x10
	v_lshlrev_b32_e32 v3, 1, v0
	s_mov_b32 s3, 0
	s_waitcnt lgkmcnt(0)
	s_lshl_b64 s[0:1], s[8:9], 1
	s_delay_alu instid0(SALU_CYCLE_1)
	s_add_u32 s11, s16, s0
	s_addc_u32 s14, s17, s1
	s_lshl_b32 s2, s15, 11
	s_add_i32 s13, s13, -1
	s_add_u32 s0, s4, s2
	s_addc_u32 s4, s5, 0
	s_add_u32 s1, s0, s8
	s_addc_u32 s5, s4, s9
	s_cmp_lg_u32 s15, s13
	s_mov_b32 s13, -1
	s_cbranch_scc0 .LBB763_2
; %bb.1:
	v_add_co_u32 v4, s0, s1, v0
	s_delay_alu instid0(VALU_DEP_1) | instskip(SKIP_1) | instid1(VALU_DEP_2)
	v_add_co_ci_u32_e64 v6, null, s5, 0, s0
	s_mov_b32 s13, 0
	v_mad_u64_u32 v[1:2], null, v4, s12, 0
	s_lshl_b64 s[8:9], s[12:13], 11
	s_mov_b32 s4, -1
	s_delay_alu instid0(VALU_DEP_1) | instskip(NEXT) | instid1(VALU_DEP_1)
	v_mad_u64_u32 v[4:5], null, v6, s12, v[2:3]
	v_mov_b32_e32 v2, v4
	s_delay_alu instid0(VALU_DEP_1) | instskip(NEXT) | instid1(VALU_DEP_1)
	v_lshlrev_b64 v[1:2], 1, v[1:2]
	v_add_co_u32 v1, vcc_lo, s6, v1
	s_delay_alu instid0(VALU_DEP_2) | instskip(NEXT) | instid1(VALU_DEP_2)
	v_add_co_ci_u32_e32 v2, vcc_lo, s7, v2, vcc_lo
	v_add_co_u32 v4, vcc_lo, v1, s8
	s_delay_alu instid0(VALU_DEP_2)
	v_add_co_ci_u32_e32 v5, vcc_lo, s9, v2, vcc_lo
	s_lshl_b64 s[8:9], s[2:3], 1
	s_clause 0x1
	global_load_u16 v6, v[1:2], off
	global_load_u16 v4, v[4:5], off
	s_add_u32 s8, s11, s8
	s_addc_u32 s9, s14, s9
	v_add_co_u32 v1, s0, s8, v3
	s_delay_alu instid0(VALU_DEP_1)
	v_add_co_ci_u32_e64 v2, null, s9, 0, s0
	s_waitcnt vmcnt(1)
	global_store_b16 v3, v6, s[8:9]
	s_cbranch_execz .LBB763_3
	s_branch .LBB763_12
.LBB763_2:
	s_mov_b32 s4, s3
                                        ; implicit-def: $vgpr4
                                        ; implicit-def: $vgpr1_vgpr2
	s_and_not1_b32 vcc_lo, exec_lo, s13
	s_cbranch_vccnz .LBB763_12
.LBB763_3:
	s_sub_i32 s8, s10, s2
                                        ; implicit-def: $vgpr5
	s_delay_alu instid0(SALU_CYCLE_1)
	v_cmp_gt_u32_e32 vcc_lo, s8, v0
	s_and_saveexec_b32 s9, vcc_lo
	s_cbranch_execz .LBB763_5
; %bb.4:
	s_waitcnt vmcnt(0)
	v_add_co_u32 v4, s0, s1, v0
	s_delay_alu instid0(VALU_DEP_1) | instskip(NEXT) | instid1(VALU_DEP_2)
	v_add_co_ci_u32_e64 v6, null, s5, 0, s0
	v_mad_u64_u32 v[1:2], null, v4, s12, 0
	s_delay_alu instid0(VALU_DEP_1) | instskip(NEXT) | instid1(VALU_DEP_1)
	v_mad_u64_u32 v[4:5], null, v6, s12, v[2:3]
	v_mov_b32_e32 v2, v4
	s_delay_alu instid0(VALU_DEP_1) | instskip(NEXT) | instid1(VALU_DEP_1)
	v_lshlrev_b64 v[1:2], 1, v[1:2]
	v_add_co_u32 v1, s0, s6, v1
	s_delay_alu instid0(VALU_DEP_1)
	v_add_co_ci_u32_e64 v2, s0, s7, v2, s0
	global_load_d16_b16 v5, v[1:2], off
.LBB763_5:
	s_or_b32 exec_lo, exec_lo, s9
	v_or_b32_e32 v0, 0x400, v0
	s_delay_alu instid0(VALU_DEP_1) | instskip(NEXT) | instid1(VALU_DEP_1)
	v_cmp_gt_u32_e64 s0, s8, v0
	s_and_saveexec_b32 s8, s0
	s_cbranch_execz .LBB763_7
; %bb.6:
	v_add_co_u32 v2, s1, s1, v0
	s_waitcnt vmcnt(0)
	v_add_co_ci_u32_e64 v4, null, s5, 0, s1
	s_delay_alu instid0(VALU_DEP_2) | instskip(NEXT) | instid1(VALU_DEP_1)
	v_mad_u64_u32 v[0:1], null, v2, s12, 0
	v_mad_u64_u32 v[6:7], null, v4, s12, v[1:2]
	s_delay_alu instid0(VALU_DEP_1) | instskip(NEXT) | instid1(VALU_DEP_1)
	v_mov_b32_e32 v1, v6
	v_lshlrev_b64 v[0:1], 1, v[0:1]
	s_delay_alu instid0(VALU_DEP_1) | instskip(NEXT) | instid1(VALU_DEP_1)
	v_add_co_u32 v0, s1, s6, v0
	v_add_co_ci_u32_e64 v1, s1, s7, v1, s1
	global_load_d16_hi_b16 v5, v[0:1], off
.LBB763_7:
	s_or_b32 exec_lo, exec_lo, s8
	s_lshl_b64 s[2:3], s[2:3], 1
	s_delay_alu instid0(SALU_CYCLE_1) | instskip(SKIP_2) | instid1(VALU_DEP_1)
	s_add_u32 s1, s11, s2
	s_addc_u32 s2, s14, s3
	v_add_co_u32 v1, s1, s1, v3
	v_add_co_ci_u32_e64 v2, null, s2, 0, s1
	s_and_saveexec_b32 s1, vcc_lo
	s_cbranch_execz .LBB763_9
; %bb.8:
	s_waitcnt vmcnt(0)
	global_store_b16 v[1:2], v5, off
.LBB763_9:
	s_or_b32 exec_lo, exec_lo, s1
                                        ; implicit-def: $vgpr4
	s_and_saveexec_b32 s1, s0
	s_cbranch_execz .LBB763_11
; %bb.10:
	s_waitcnt vmcnt(0)
	v_lshrrev_b32_e32 v4, 16, v5
	s_or_b32 s4, s4, exec_lo
.LBB763_11:
	s_or_b32 exec_lo, exec_lo, s1
.LBB763_12:
	s_and_saveexec_b32 s0, s4
	s_cbranch_execnz .LBB763_14
; %bb.13:
	s_nop 0
	s_sendmsg sendmsg(MSG_DEALLOC_VGPRS)
	s_endpgm
.LBB763_14:
	s_waitcnt vmcnt(0)
	global_store_b16 v[1:2], v4, off offset:2048
	s_nop 0
	s_sendmsg sendmsg(MSG_DEALLOC_VGPRS)
	s_endpgm
	.section	.rodata,"a",@progbits
	.p2align	6, 0x0
	.amdhsa_kernel _ZN7rocprim17ROCPRIM_400000_NS6detail17trampoline_kernelINS0_14default_configENS1_25transform_config_selectorIsLb0EEEZNS1_14transform_implILb0ES3_S5_NS0_18transform_iteratorINS0_17counting_iteratorImlEEZNS1_24adjacent_difference_implIS3_Lb1ELb0EPKsPsN6thrust23THRUST_200600_302600_NS4plusIsEEEE10hipError_tPvRmT2_T3_mT4_P12ihipStream_tbEUlmE_sEESD_NS0_8identityIvEEEESI_SL_SM_mSN_SP_bEUlT_E_NS1_11comp_targetILNS1_3genE9ELNS1_11target_archE1100ELNS1_3gpuE3ELNS1_3repE0EEENS1_30default_config_static_selectorELNS0_4arch9wavefront6targetE0EEEvT1_
		.amdhsa_group_segment_fixed_size 0
		.amdhsa_private_segment_fixed_size 0
		.amdhsa_kernarg_size 312
		.amdhsa_user_sgpr_count 15
		.amdhsa_user_sgpr_dispatch_ptr 0
		.amdhsa_user_sgpr_queue_ptr 0
		.amdhsa_user_sgpr_kernarg_segment_ptr 1
		.amdhsa_user_sgpr_dispatch_id 0
		.amdhsa_user_sgpr_private_segment_size 0
		.amdhsa_wavefront_size32 1
		.amdhsa_uses_dynamic_stack 0
		.amdhsa_enable_private_segment 0
		.amdhsa_system_sgpr_workgroup_id_x 1
		.amdhsa_system_sgpr_workgroup_id_y 0
		.amdhsa_system_sgpr_workgroup_id_z 0
		.amdhsa_system_sgpr_workgroup_info 0
		.amdhsa_system_vgpr_workitem_id 0
		.amdhsa_next_free_vgpr 8
		.amdhsa_next_free_sgpr 18
		.amdhsa_reserve_vcc 1
		.amdhsa_float_round_mode_32 0
		.amdhsa_float_round_mode_16_64 0
		.amdhsa_float_denorm_mode_32 3
		.amdhsa_float_denorm_mode_16_64 3
		.amdhsa_dx10_clamp 1
		.amdhsa_ieee_mode 1
		.amdhsa_fp16_overflow 0
		.amdhsa_workgroup_processor_mode 1
		.amdhsa_memory_ordered 1
		.amdhsa_forward_progress 0
		.amdhsa_shared_vgpr_count 0
		.amdhsa_exception_fp_ieee_invalid_op 0
		.amdhsa_exception_fp_denorm_src 0
		.amdhsa_exception_fp_ieee_div_zero 0
		.amdhsa_exception_fp_ieee_overflow 0
		.amdhsa_exception_fp_ieee_underflow 0
		.amdhsa_exception_fp_ieee_inexact 0
		.amdhsa_exception_int_div_zero 0
	.end_amdhsa_kernel
	.section	.text._ZN7rocprim17ROCPRIM_400000_NS6detail17trampoline_kernelINS0_14default_configENS1_25transform_config_selectorIsLb0EEEZNS1_14transform_implILb0ES3_S5_NS0_18transform_iteratorINS0_17counting_iteratorImlEEZNS1_24adjacent_difference_implIS3_Lb1ELb0EPKsPsN6thrust23THRUST_200600_302600_NS4plusIsEEEE10hipError_tPvRmT2_T3_mT4_P12ihipStream_tbEUlmE_sEESD_NS0_8identityIvEEEESI_SL_SM_mSN_SP_bEUlT_E_NS1_11comp_targetILNS1_3genE9ELNS1_11target_archE1100ELNS1_3gpuE3ELNS1_3repE0EEENS1_30default_config_static_selectorELNS0_4arch9wavefront6targetE0EEEvT1_,"axG",@progbits,_ZN7rocprim17ROCPRIM_400000_NS6detail17trampoline_kernelINS0_14default_configENS1_25transform_config_selectorIsLb0EEEZNS1_14transform_implILb0ES3_S5_NS0_18transform_iteratorINS0_17counting_iteratorImlEEZNS1_24adjacent_difference_implIS3_Lb1ELb0EPKsPsN6thrust23THRUST_200600_302600_NS4plusIsEEEE10hipError_tPvRmT2_T3_mT4_P12ihipStream_tbEUlmE_sEESD_NS0_8identityIvEEEESI_SL_SM_mSN_SP_bEUlT_E_NS1_11comp_targetILNS1_3genE9ELNS1_11target_archE1100ELNS1_3gpuE3ELNS1_3repE0EEENS1_30default_config_static_selectorELNS0_4arch9wavefront6targetE0EEEvT1_,comdat
.Lfunc_end763:
	.size	_ZN7rocprim17ROCPRIM_400000_NS6detail17trampoline_kernelINS0_14default_configENS1_25transform_config_selectorIsLb0EEEZNS1_14transform_implILb0ES3_S5_NS0_18transform_iteratorINS0_17counting_iteratorImlEEZNS1_24adjacent_difference_implIS3_Lb1ELb0EPKsPsN6thrust23THRUST_200600_302600_NS4plusIsEEEE10hipError_tPvRmT2_T3_mT4_P12ihipStream_tbEUlmE_sEESD_NS0_8identityIvEEEESI_SL_SM_mSN_SP_bEUlT_E_NS1_11comp_targetILNS1_3genE9ELNS1_11target_archE1100ELNS1_3gpuE3ELNS1_3repE0EEENS1_30default_config_static_selectorELNS0_4arch9wavefront6targetE0EEEvT1_, .Lfunc_end763-_ZN7rocprim17ROCPRIM_400000_NS6detail17trampoline_kernelINS0_14default_configENS1_25transform_config_selectorIsLb0EEEZNS1_14transform_implILb0ES3_S5_NS0_18transform_iteratorINS0_17counting_iteratorImlEEZNS1_24adjacent_difference_implIS3_Lb1ELb0EPKsPsN6thrust23THRUST_200600_302600_NS4plusIsEEEE10hipError_tPvRmT2_T3_mT4_P12ihipStream_tbEUlmE_sEESD_NS0_8identityIvEEEESI_SL_SM_mSN_SP_bEUlT_E_NS1_11comp_targetILNS1_3genE9ELNS1_11target_archE1100ELNS1_3gpuE3ELNS1_3repE0EEENS1_30default_config_static_selectorELNS0_4arch9wavefront6targetE0EEEvT1_
                                        ; -- End function
	.section	.AMDGPU.csdata,"",@progbits
; Kernel info:
; codeLenInByte = 644
; NumSgprs: 20
; NumVgprs: 8
; ScratchSize: 0
; MemoryBound: 0
; FloatMode: 240
; IeeeMode: 1
; LDSByteSize: 0 bytes/workgroup (compile time only)
; SGPRBlocks: 2
; VGPRBlocks: 0
; NumSGPRsForWavesPerEU: 20
; NumVGPRsForWavesPerEU: 8
; Occupancy: 16
; WaveLimiterHint : 0
; COMPUTE_PGM_RSRC2:SCRATCH_EN: 0
; COMPUTE_PGM_RSRC2:USER_SGPR: 15
; COMPUTE_PGM_RSRC2:TRAP_HANDLER: 0
; COMPUTE_PGM_RSRC2:TGID_X_EN: 1
; COMPUTE_PGM_RSRC2:TGID_Y_EN: 0
; COMPUTE_PGM_RSRC2:TGID_Z_EN: 0
; COMPUTE_PGM_RSRC2:TIDIG_COMP_CNT: 0
	.section	.text._ZN7rocprim17ROCPRIM_400000_NS6detail17trampoline_kernelINS0_14default_configENS1_25transform_config_selectorIsLb0EEEZNS1_14transform_implILb0ES3_S5_NS0_18transform_iteratorINS0_17counting_iteratorImlEEZNS1_24adjacent_difference_implIS3_Lb1ELb0EPKsPsN6thrust23THRUST_200600_302600_NS4plusIsEEEE10hipError_tPvRmT2_T3_mT4_P12ihipStream_tbEUlmE_sEESD_NS0_8identityIvEEEESI_SL_SM_mSN_SP_bEUlT_E_NS1_11comp_targetILNS1_3genE8ELNS1_11target_archE1030ELNS1_3gpuE2ELNS1_3repE0EEENS1_30default_config_static_selectorELNS0_4arch9wavefront6targetE0EEEvT1_,"axG",@progbits,_ZN7rocprim17ROCPRIM_400000_NS6detail17trampoline_kernelINS0_14default_configENS1_25transform_config_selectorIsLb0EEEZNS1_14transform_implILb0ES3_S5_NS0_18transform_iteratorINS0_17counting_iteratorImlEEZNS1_24adjacent_difference_implIS3_Lb1ELb0EPKsPsN6thrust23THRUST_200600_302600_NS4plusIsEEEE10hipError_tPvRmT2_T3_mT4_P12ihipStream_tbEUlmE_sEESD_NS0_8identityIvEEEESI_SL_SM_mSN_SP_bEUlT_E_NS1_11comp_targetILNS1_3genE8ELNS1_11target_archE1030ELNS1_3gpuE2ELNS1_3repE0EEENS1_30default_config_static_selectorELNS0_4arch9wavefront6targetE0EEEvT1_,comdat
	.protected	_ZN7rocprim17ROCPRIM_400000_NS6detail17trampoline_kernelINS0_14default_configENS1_25transform_config_selectorIsLb0EEEZNS1_14transform_implILb0ES3_S5_NS0_18transform_iteratorINS0_17counting_iteratorImlEEZNS1_24adjacent_difference_implIS3_Lb1ELb0EPKsPsN6thrust23THRUST_200600_302600_NS4plusIsEEEE10hipError_tPvRmT2_T3_mT4_P12ihipStream_tbEUlmE_sEESD_NS0_8identityIvEEEESI_SL_SM_mSN_SP_bEUlT_E_NS1_11comp_targetILNS1_3genE8ELNS1_11target_archE1030ELNS1_3gpuE2ELNS1_3repE0EEENS1_30default_config_static_selectorELNS0_4arch9wavefront6targetE0EEEvT1_ ; -- Begin function _ZN7rocprim17ROCPRIM_400000_NS6detail17trampoline_kernelINS0_14default_configENS1_25transform_config_selectorIsLb0EEEZNS1_14transform_implILb0ES3_S5_NS0_18transform_iteratorINS0_17counting_iteratorImlEEZNS1_24adjacent_difference_implIS3_Lb1ELb0EPKsPsN6thrust23THRUST_200600_302600_NS4plusIsEEEE10hipError_tPvRmT2_T3_mT4_P12ihipStream_tbEUlmE_sEESD_NS0_8identityIvEEEESI_SL_SM_mSN_SP_bEUlT_E_NS1_11comp_targetILNS1_3genE8ELNS1_11target_archE1030ELNS1_3gpuE2ELNS1_3repE0EEENS1_30default_config_static_selectorELNS0_4arch9wavefront6targetE0EEEvT1_
	.globl	_ZN7rocprim17ROCPRIM_400000_NS6detail17trampoline_kernelINS0_14default_configENS1_25transform_config_selectorIsLb0EEEZNS1_14transform_implILb0ES3_S5_NS0_18transform_iteratorINS0_17counting_iteratorImlEEZNS1_24adjacent_difference_implIS3_Lb1ELb0EPKsPsN6thrust23THRUST_200600_302600_NS4plusIsEEEE10hipError_tPvRmT2_T3_mT4_P12ihipStream_tbEUlmE_sEESD_NS0_8identityIvEEEESI_SL_SM_mSN_SP_bEUlT_E_NS1_11comp_targetILNS1_3genE8ELNS1_11target_archE1030ELNS1_3gpuE2ELNS1_3repE0EEENS1_30default_config_static_selectorELNS0_4arch9wavefront6targetE0EEEvT1_
	.p2align	8
	.type	_ZN7rocprim17ROCPRIM_400000_NS6detail17trampoline_kernelINS0_14default_configENS1_25transform_config_selectorIsLb0EEEZNS1_14transform_implILb0ES3_S5_NS0_18transform_iteratorINS0_17counting_iteratorImlEEZNS1_24adjacent_difference_implIS3_Lb1ELb0EPKsPsN6thrust23THRUST_200600_302600_NS4plusIsEEEE10hipError_tPvRmT2_T3_mT4_P12ihipStream_tbEUlmE_sEESD_NS0_8identityIvEEEESI_SL_SM_mSN_SP_bEUlT_E_NS1_11comp_targetILNS1_3genE8ELNS1_11target_archE1030ELNS1_3gpuE2ELNS1_3repE0EEENS1_30default_config_static_selectorELNS0_4arch9wavefront6targetE0EEEvT1_,@function
_ZN7rocprim17ROCPRIM_400000_NS6detail17trampoline_kernelINS0_14default_configENS1_25transform_config_selectorIsLb0EEEZNS1_14transform_implILb0ES3_S5_NS0_18transform_iteratorINS0_17counting_iteratorImlEEZNS1_24adjacent_difference_implIS3_Lb1ELb0EPKsPsN6thrust23THRUST_200600_302600_NS4plusIsEEEE10hipError_tPvRmT2_T3_mT4_P12ihipStream_tbEUlmE_sEESD_NS0_8identityIvEEEESI_SL_SM_mSN_SP_bEUlT_E_NS1_11comp_targetILNS1_3genE8ELNS1_11target_archE1030ELNS1_3gpuE2ELNS1_3repE0EEENS1_30default_config_static_selectorELNS0_4arch9wavefront6targetE0EEEvT1_: ; @_ZN7rocprim17ROCPRIM_400000_NS6detail17trampoline_kernelINS0_14default_configENS1_25transform_config_selectorIsLb0EEEZNS1_14transform_implILb0ES3_S5_NS0_18transform_iteratorINS0_17counting_iteratorImlEEZNS1_24adjacent_difference_implIS3_Lb1ELb0EPKsPsN6thrust23THRUST_200600_302600_NS4plusIsEEEE10hipError_tPvRmT2_T3_mT4_P12ihipStream_tbEUlmE_sEESD_NS0_8identityIvEEEESI_SL_SM_mSN_SP_bEUlT_E_NS1_11comp_targetILNS1_3genE8ELNS1_11target_archE1030ELNS1_3gpuE2ELNS1_3repE0EEENS1_30default_config_static_selectorELNS0_4arch9wavefront6targetE0EEEvT1_
; %bb.0:
	.section	.rodata,"a",@progbits
	.p2align	6, 0x0
	.amdhsa_kernel _ZN7rocprim17ROCPRIM_400000_NS6detail17trampoline_kernelINS0_14default_configENS1_25transform_config_selectorIsLb0EEEZNS1_14transform_implILb0ES3_S5_NS0_18transform_iteratorINS0_17counting_iteratorImlEEZNS1_24adjacent_difference_implIS3_Lb1ELb0EPKsPsN6thrust23THRUST_200600_302600_NS4plusIsEEEE10hipError_tPvRmT2_T3_mT4_P12ihipStream_tbEUlmE_sEESD_NS0_8identityIvEEEESI_SL_SM_mSN_SP_bEUlT_E_NS1_11comp_targetILNS1_3genE8ELNS1_11target_archE1030ELNS1_3gpuE2ELNS1_3repE0EEENS1_30default_config_static_selectorELNS0_4arch9wavefront6targetE0EEEvT1_
		.amdhsa_group_segment_fixed_size 0
		.amdhsa_private_segment_fixed_size 0
		.amdhsa_kernarg_size 56
		.amdhsa_user_sgpr_count 15
		.amdhsa_user_sgpr_dispatch_ptr 0
		.amdhsa_user_sgpr_queue_ptr 0
		.amdhsa_user_sgpr_kernarg_segment_ptr 1
		.amdhsa_user_sgpr_dispatch_id 0
		.amdhsa_user_sgpr_private_segment_size 0
		.amdhsa_wavefront_size32 1
		.amdhsa_uses_dynamic_stack 0
		.amdhsa_enable_private_segment 0
		.amdhsa_system_sgpr_workgroup_id_x 1
		.amdhsa_system_sgpr_workgroup_id_y 0
		.amdhsa_system_sgpr_workgroup_id_z 0
		.amdhsa_system_sgpr_workgroup_info 0
		.amdhsa_system_vgpr_workitem_id 0
		.amdhsa_next_free_vgpr 1
		.amdhsa_next_free_sgpr 1
		.amdhsa_reserve_vcc 0
		.amdhsa_float_round_mode_32 0
		.amdhsa_float_round_mode_16_64 0
		.amdhsa_float_denorm_mode_32 3
		.amdhsa_float_denorm_mode_16_64 3
		.amdhsa_dx10_clamp 1
		.amdhsa_ieee_mode 1
		.amdhsa_fp16_overflow 0
		.amdhsa_workgroup_processor_mode 1
		.amdhsa_memory_ordered 1
		.amdhsa_forward_progress 0
		.amdhsa_shared_vgpr_count 0
		.amdhsa_exception_fp_ieee_invalid_op 0
		.amdhsa_exception_fp_denorm_src 0
		.amdhsa_exception_fp_ieee_div_zero 0
		.amdhsa_exception_fp_ieee_overflow 0
		.amdhsa_exception_fp_ieee_underflow 0
		.amdhsa_exception_fp_ieee_inexact 0
		.amdhsa_exception_int_div_zero 0
	.end_amdhsa_kernel
	.section	.text._ZN7rocprim17ROCPRIM_400000_NS6detail17trampoline_kernelINS0_14default_configENS1_25transform_config_selectorIsLb0EEEZNS1_14transform_implILb0ES3_S5_NS0_18transform_iteratorINS0_17counting_iteratorImlEEZNS1_24adjacent_difference_implIS3_Lb1ELb0EPKsPsN6thrust23THRUST_200600_302600_NS4plusIsEEEE10hipError_tPvRmT2_T3_mT4_P12ihipStream_tbEUlmE_sEESD_NS0_8identityIvEEEESI_SL_SM_mSN_SP_bEUlT_E_NS1_11comp_targetILNS1_3genE8ELNS1_11target_archE1030ELNS1_3gpuE2ELNS1_3repE0EEENS1_30default_config_static_selectorELNS0_4arch9wavefront6targetE0EEEvT1_,"axG",@progbits,_ZN7rocprim17ROCPRIM_400000_NS6detail17trampoline_kernelINS0_14default_configENS1_25transform_config_selectorIsLb0EEEZNS1_14transform_implILb0ES3_S5_NS0_18transform_iteratorINS0_17counting_iteratorImlEEZNS1_24adjacent_difference_implIS3_Lb1ELb0EPKsPsN6thrust23THRUST_200600_302600_NS4plusIsEEEE10hipError_tPvRmT2_T3_mT4_P12ihipStream_tbEUlmE_sEESD_NS0_8identityIvEEEESI_SL_SM_mSN_SP_bEUlT_E_NS1_11comp_targetILNS1_3genE8ELNS1_11target_archE1030ELNS1_3gpuE2ELNS1_3repE0EEENS1_30default_config_static_selectorELNS0_4arch9wavefront6targetE0EEEvT1_,comdat
.Lfunc_end764:
	.size	_ZN7rocprim17ROCPRIM_400000_NS6detail17trampoline_kernelINS0_14default_configENS1_25transform_config_selectorIsLb0EEEZNS1_14transform_implILb0ES3_S5_NS0_18transform_iteratorINS0_17counting_iteratorImlEEZNS1_24adjacent_difference_implIS3_Lb1ELb0EPKsPsN6thrust23THRUST_200600_302600_NS4plusIsEEEE10hipError_tPvRmT2_T3_mT4_P12ihipStream_tbEUlmE_sEESD_NS0_8identityIvEEEESI_SL_SM_mSN_SP_bEUlT_E_NS1_11comp_targetILNS1_3genE8ELNS1_11target_archE1030ELNS1_3gpuE2ELNS1_3repE0EEENS1_30default_config_static_selectorELNS0_4arch9wavefront6targetE0EEEvT1_, .Lfunc_end764-_ZN7rocprim17ROCPRIM_400000_NS6detail17trampoline_kernelINS0_14default_configENS1_25transform_config_selectorIsLb0EEEZNS1_14transform_implILb0ES3_S5_NS0_18transform_iteratorINS0_17counting_iteratorImlEEZNS1_24adjacent_difference_implIS3_Lb1ELb0EPKsPsN6thrust23THRUST_200600_302600_NS4plusIsEEEE10hipError_tPvRmT2_T3_mT4_P12ihipStream_tbEUlmE_sEESD_NS0_8identityIvEEEESI_SL_SM_mSN_SP_bEUlT_E_NS1_11comp_targetILNS1_3genE8ELNS1_11target_archE1030ELNS1_3gpuE2ELNS1_3repE0EEENS1_30default_config_static_selectorELNS0_4arch9wavefront6targetE0EEEvT1_
                                        ; -- End function
	.section	.AMDGPU.csdata,"",@progbits
; Kernel info:
; codeLenInByte = 0
; NumSgprs: 0
; NumVgprs: 0
; ScratchSize: 0
; MemoryBound: 0
; FloatMode: 240
; IeeeMode: 1
; LDSByteSize: 0 bytes/workgroup (compile time only)
; SGPRBlocks: 0
; VGPRBlocks: 0
; NumSGPRsForWavesPerEU: 1
; NumVGPRsForWavesPerEU: 1
; Occupancy: 16
; WaveLimiterHint : 0
; COMPUTE_PGM_RSRC2:SCRATCH_EN: 0
; COMPUTE_PGM_RSRC2:USER_SGPR: 15
; COMPUTE_PGM_RSRC2:TRAP_HANDLER: 0
; COMPUTE_PGM_RSRC2:TGID_X_EN: 1
; COMPUTE_PGM_RSRC2:TGID_Y_EN: 0
; COMPUTE_PGM_RSRC2:TGID_Z_EN: 0
; COMPUTE_PGM_RSRC2:TIDIG_COMP_CNT: 0
	.section	.text._ZN7rocprim17ROCPRIM_400000_NS6detail17trampoline_kernelINS0_14default_configENS1_35adjacent_difference_config_selectorILb1EsEEZNS1_24adjacent_difference_implIS3_Lb1ELb0EPKsPsN6thrust23THRUST_200600_302600_NS4plusIsEEEE10hipError_tPvRmT2_T3_mT4_P12ihipStream_tbEUlT_E_NS1_11comp_targetILNS1_3genE0ELNS1_11target_archE4294967295ELNS1_3gpuE0ELNS1_3repE0EEENS1_30default_config_static_selectorELNS0_4arch9wavefront6targetE0EEEvT1_,"axG",@progbits,_ZN7rocprim17ROCPRIM_400000_NS6detail17trampoline_kernelINS0_14default_configENS1_35adjacent_difference_config_selectorILb1EsEEZNS1_24adjacent_difference_implIS3_Lb1ELb0EPKsPsN6thrust23THRUST_200600_302600_NS4plusIsEEEE10hipError_tPvRmT2_T3_mT4_P12ihipStream_tbEUlT_E_NS1_11comp_targetILNS1_3genE0ELNS1_11target_archE4294967295ELNS1_3gpuE0ELNS1_3repE0EEENS1_30default_config_static_selectorELNS0_4arch9wavefront6targetE0EEEvT1_,comdat
	.protected	_ZN7rocprim17ROCPRIM_400000_NS6detail17trampoline_kernelINS0_14default_configENS1_35adjacent_difference_config_selectorILb1EsEEZNS1_24adjacent_difference_implIS3_Lb1ELb0EPKsPsN6thrust23THRUST_200600_302600_NS4plusIsEEEE10hipError_tPvRmT2_T3_mT4_P12ihipStream_tbEUlT_E_NS1_11comp_targetILNS1_3genE0ELNS1_11target_archE4294967295ELNS1_3gpuE0ELNS1_3repE0EEENS1_30default_config_static_selectorELNS0_4arch9wavefront6targetE0EEEvT1_ ; -- Begin function _ZN7rocprim17ROCPRIM_400000_NS6detail17trampoline_kernelINS0_14default_configENS1_35adjacent_difference_config_selectorILb1EsEEZNS1_24adjacent_difference_implIS3_Lb1ELb0EPKsPsN6thrust23THRUST_200600_302600_NS4plusIsEEEE10hipError_tPvRmT2_T3_mT4_P12ihipStream_tbEUlT_E_NS1_11comp_targetILNS1_3genE0ELNS1_11target_archE4294967295ELNS1_3gpuE0ELNS1_3repE0EEENS1_30default_config_static_selectorELNS0_4arch9wavefront6targetE0EEEvT1_
	.globl	_ZN7rocprim17ROCPRIM_400000_NS6detail17trampoline_kernelINS0_14default_configENS1_35adjacent_difference_config_selectorILb1EsEEZNS1_24adjacent_difference_implIS3_Lb1ELb0EPKsPsN6thrust23THRUST_200600_302600_NS4plusIsEEEE10hipError_tPvRmT2_T3_mT4_P12ihipStream_tbEUlT_E_NS1_11comp_targetILNS1_3genE0ELNS1_11target_archE4294967295ELNS1_3gpuE0ELNS1_3repE0EEENS1_30default_config_static_selectorELNS0_4arch9wavefront6targetE0EEEvT1_
	.p2align	8
	.type	_ZN7rocprim17ROCPRIM_400000_NS6detail17trampoline_kernelINS0_14default_configENS1_35adjacent_difference_config_selectorILb1EsEEZNS1_24adjacent_difference_implIS3_Lb1ELb0EPKsPsN6thrust23THRUST_200600_302600_NS4plusIsEEEE10hipError_tPvRmT2_T3_mT4_P12ihipStream_tbEUlT_E_NS1_11comp_targetILNS1_3genE0ELNS1_11target_archE4294967295ELNS1_3gpuE0ELNS1_3repE0EEENS1_30default_config_static_selectorELNS0_4arch9wavefront6targetE0EEEvT1_,@function
_ZN7rocprim17ROCPRIM_400000_NS6detail17trampoline_kernelINS0_14default_configENS1_35adjacent_difference_config_selectorILb1EsEEZNS1_24adjacent_difference_implIS3_Lb1ELb0EPKsPsN6thrust23THRUST_200600_302600_NS4plusIsEEEE10hipError_tPvRmT2_T3_mT4_P12ihipStream_tbEUlT_E_NS1_11comp_targetILNS1_3genE0ELNS1_11target_archE4294967295ELNS1_3gpuE0ELNS1_3repE0EEENS1_30default_config_static_selectorELNS0_4arch9wavefront6targetE0EEEvT1_: ; @_ZN7rocprim17ROCPRIM_400000_NS6detail17trampoline_kernelINS0_14default_configENS1_35adjacent_difference_config_selectorILb1EsEEZNS1_24adjacent_difference_implIS3_Lb1ELb0EPKsPsN6thrust23THRUST_200600_302600_NS4plusIsEEEE10hipError_tPvRmT2_T3_mT4_P12ihipStream_tbEUlT_E_NS1_11comp_targetILNS1_3genE0ELNS1_11target_archE4294967295ELNS1_3gpuE0ELNS1_3repE0EEENS1_30default_config_static_selectorELNS0_4arch9wavefront6targetE0EEEvT1_
; %bb.0:
	.section	.rodata,"a",@progbits
	.p2align	6, 0x0
	.amdhsa_kernel _ZN7rocprim17ROCPRIM_400000_NS6detail17trampoline_kernelINS0_14default_configENS1_35adjacent_difference_config_selectorILb1EsEEZNS1_24adjacent_difference_implIS3_Lb1ELb0EPKsPsN6thrust23THRUST_200600_302600_NS4plusIsEEEE10hipError_tPvRmT2_T3_mT4_P12ihipStream_tbEUlT_E_NS1_11comp_targetILNS1_3genE0ELNS1_11target_archE4294967295ELNS1_3gpuE0ELNS1_3repE0EEENS1_30default_config_static_selectorELNS0_4arch9wavefront6targetE0EEEvT1_
		.amdhsa_group_segment_fixed_size 0
		.amdhsa_private_segment_fixed_size 0
		.amdhsa_kernarg_size 56
		.amdhsa_user_sgpr_count 15
		.amdhsa_user_sgpr_dispatch_ptr 0
		.amdhsa_user_sgpr_queue_ptr 0
		.amdhsa_user_sgpr_kernarg_segment_ptr 1
		.amdhsa_user_sgpr_dispatch_id 0
		.amdhsa_user_sgpr_private_segment_size 0
		.amdhsa_wavefront_size32 1
		.amdhsa_uses_dynamic_stack 0
		.amdhsa_enable_private_segment 0
		.amdhsa_system_sgpr_workgroup_id_x 1
		.amdhsa_system_sgpr_workgroup_id_y 0
		.amdhsa_system_sgpr_workgroup_id_z 0
		.amdhsa_system_sgpr_workgroup_info 0
		.amdhsa_system_vgpr_workitem_id 0
		.amdhsa_next_free_vgpr 1
		.amdhsa_next_free_sgpr 1
		.amdhsa_reserve_vcc 0
		.amdhsa_float_round_mode_32 0
		.amdhsa_float_round_mode_16_64 0
		.amdhsa_float_denorm_mode_32 3
		.amdhsa_float_denorm_mode_16_64 3
		.amdhsa_dx10_clamp 1
		.amdhsa_ieee_mode 1
		.amdhsa_fp16_overflow 0
		.amdhsa_workgroup_processor_mode 1
		.amdhsa_memory_ordered 1
		.amdhsa_forward_progress 0
		.amdhsa_shared_vgpr_count 0
		.amdhsa_exception_fp_ieee_invalid_op 0
		.amdhsa_exception_fp_denorm_src 0
		.amdhsa_exception_fp_ieee_div_zero 0
		.amdhsa_exception_fp_ieee_overflow 0
		.amdhsa_exception_fp_ieee_underflow 0
		.amdhsa_exception_fp_ieee_inexact 0
		.amdhsa_exception_int_div_zero 0
	.end_amdhsa_kernel
	.section	.text._ZN7rocprim17ROCPRIM_400000_NS6detail17trampoline_kernelINS0_14default_configENS1_35adjacent_difference_config_selectorILb1EsEEZNS1_24adjacent_difference_implIS3_Lb1ELb0EPKsPsN6thrust23THRUST_200600_302600_NS4plusIsEEEE10hipError_tPvRmT2_T3_mT4_P12ihipStream_tbEUlT_E_NS1_11comp_targetILNS1_3genE0ELNS1_11target_archE4294967295ELNS1_3gpuE0ELNS1_3repE0EEENS1_30default_config_static_selectorELNS0_4arch9wavefront6targetE0EEEvT1_,"axG",@progbits,_ZN7rocprim17ROCPRIM_400000_NS6detail17trampoline_kernelINS0_14default_configENS1_35adjacent_difference_config_selectorILb1EsEEZNS1_24adjacent_difference_implIS3_Lb1ELb0EPKsPsN6thrust23THRUST_200600_302600_NS4plusIsEEEE10hipError_tPvRmT2_T3_mT4_P12ihipStream_tbEUlT_E_NS1_11comp_targetILNS1_3genE0ELNS1_11target_archE4294967295ELNS1_3gpuE0ELNS1_3repE0EEENS1_30default_config_static_selectorELNS0_4arch9wavefront6targetE0EEEvT1_,comdat
.Lfunc_end765:
	.size	_ZN7rocprim17ROCPRIM_400000_NS6detail17trampoline_kernelINS0_14default_configENS1_35adjacent_difference_config_selectorILb1EsEEZNS1_24adjacent_difference_implIS3_Lb1ELb0EPKsPsN6thrust23THRUST_200600_302600_NS4plusIsEEEE10hipError_tPvRmT2_T3_mT4_P12ihipStream_tbEUlT_E_NS1_11comp_targetILNS1_3genE0ELNS1_11target_archE4294967295ELNS1_3gpuE0ELNS1_3repE0EEENS1_30default_config_static_selectorELNS0_4arch9wavefront6targetE0EEEvT1_, .Lfunc_end765-_ZN7rocprim17ROCPRIM_400000_NS6detail17trampoline_kernelINS0_14default_configENS1_35adjacent_difference_config_selectorILb1EsEEZNS1_24adjacent_difference_implIS3_Lb1ELb0EPKsPsN6thrust23THRUST_200600_302600_NS4plusIsEEEE10hipError_tPvRmT2_T3_mT4_P12ihipStream_tbEUlT_E_NS1_11comp_targetILNS1_3genE0ELNS1_11target_archE4294967295ELNS1_3gpuE0ELNS1_3repE0EEENS1_30default_config_static_selectorELNS0_4arch9wavefront6targetE0EEEvT1_
                                        ; -- End function
	.section	.AMDGPU.csdata,"",@progbits
; Kernel info:
; codeLenInByte = 0
; NumSgprs: 0
; NumVgprs: 0
; ScratchSize: 0
; MemoryBound: 0
; FloatMode: 240
; IeeeMode: 1
; LDSByteSize: 0 bytes/workgroup (compile time only)
; SGPRBlocks: 0
; VGPRBlocks: 0
; NumSGPRsForWavesPerEU: 1
; NumVGPRsForWavesPerEU: 1
; Occupancy: 16
; WaveLimiterHint : 0
; COMPUTE_PGM_RSRC2:SCRATCH_EN: 0
; COMPUTE_PGM_RSRC2:USER_SGPR: 15
; COMPUTE_PGM_RSRC2:TRAP_HANDLER: 0
; COMPUTE_PGM_RSRC2:TGID_X_EN: 1
; COMPUTE_PGM_RSRC2:TGID_Y_EN: 0
; COMPUTE_PGM_RSRC2:TGID_Z_EN: 0
; COMPUTE_PGM_RSRC2:TIDIG_COMP_CNT: 0
	.section	.text._ZN7rocprim17ROCPRIM_400000_NS6detail17trampoline_kernelINS0_14default_configENS1_35adjacent_difference_config_selectorILb1EsEEZNS1_24adjacent_difference_implIS3_Lb1ELb0EPKsPsN6thrust23THRUST_200600_302600_NS4plusIsEEEE10hipError_tPvRmT2_T3_mT4_P12ihipStream_tbEUlT_E_NS1_11comp_targetILNS1_3genE10ELNS1_11target_archE1201ELNS1_3gpuE5ELNS1_3repE0EEENS1_30default_config_static_selectorELNS0_4arch9wavefront6targetE0EEEvT1_,"axG",@progbits,_ZN7rocprim17ROCPRIM_400000_NS6detail17trampoline_kernelINS0_14default_configENS1_35adjacent_difference_config_selectorILb1EsEEZNS1_24adjacent_difference_implIS3_Lb1ELb0EPKsPsN6thrust23THRUST_200600_302600_NS4plusIsEEEE10hipError_tPvRmT2_T3_mT4_P12ihipStream_tbEUlT_E_NS1_11comp_targetILNS1_3genE10ELNS1_11target_archE1201ELNS1_3gpuE5ELNS1_3repE0EEENS1_30default_config_static_selectorELNS0_4arch9wavefront6targetE0EEEvT1_,comdat
	.protected	_ZN7rocprim17ROCPRIM_400000_NS6detail17trampoline_kernelINS0_14default_configENS1_35adjacent_difference_config_selectorILb1EsEEZNS1_24adjacent_difference_implIS3_Lb1ELb0EPKsPsN6thrust23THRUST_200600_302600_NS4plusIsEEEE10hipError_tPvRmT2_T3_mT4_P12ihipStream_tbEUlT_E_NS1_11comp_targetILNS1_3genE10ELNS1_11target_archE1201ELNS1_3gpuE5ELNS1_3repE0EEENS1_30default_config_static_selectorELNS0_4arch9wavefront6targetE0EEEvT1_ ; -- Begin function _ZN7rocprim17ROCPRIM_400000_NS6detail17trampoline_kernelINS0_14default_configENS1_35adjacent_difference_config_selectorILb1EsEEZNS1_24adjacent_difference_implIS3_Lb1ELb0EPKsPsN6thrust23THRUST_200600_302600_NS4plusIsEEEE10hipError_tPvRmT2_T3_mT4_P12ihipStream_tbEUlT_E_NS1_11comp_targetILNS1_3genE10ELNS1_11target_archE1201ELNS1_3gpuE5ELNS1_3repE0EEENS1_30default_config_static_selectorELNS0_4arch9wavefront6targetE0EEEvT1_
	.globl	_ZN7rocprim17ROCPRIM_400000_NS6detail17trampoline_kernelINS0_14default_configENS1_35adjacent_difference_config_selectorILb1EsEEZNS1_24adjacent_difference_implIS3_Lb1ELb0EPKsPsN6thrust23THRUST_200600_302600_NS4plusIsEEEE10hipError_tPvRmT2_T3_mT4_P12ihipStream_tbEUlT_E_NS1_11comp_targetILNS1_3genE10ELNS1_11target_archE1201ELNS1_3gpuE5ELNS1_3repE0EEENS1_30default_config_static_selectorELNS0_4arch9wavefront6targetE0EEEvT1_
	.p2align	8
	.type	_ZN7rocprim17ROCPRIM_400000_NS6detail17trampoline_kernelINS0_14default_configENS1_35adjacent_difference_config_selectorILb1EsEEZNS1_24adjacent_difference_implIS3_Lb1ELb0EPKsPsN6thrust23THRUST_200600_302600_NS4plusIsEEEE10hipError_tPvRmT2_T3_mT4_P12ihipStream_tbEUlT_E_NS1_11comp_targetILNS1_3genE10ELNS1_11target_archE1201ELNS1_3gpuE5ELNS1_3repE0EEENS1_30default_config_static_selectorELNS0_4arch9wavefront6targetE0EEEvT1_,@function
_ZN7rocprim17ROCPRIM_400000_NS6detail17trampoline_kernelINS0_14default_configENS1_35adjacent_difference_config_selectorILb1EsEEZNS1_24adjacent_difference_implIS3_Lb1ELb0EPKsPsN6thrust23THRUST_200600_302600_NS4plusIsEEEE10hipError_tPvRmT2_T3_mT4_P12ihipStream_tbEUlT_E_NS1_11comp_targetILNS1_3genE10ELNS1_11target_archE1201ELNS1_3gpuE5ELNS1_3repE0EEENS1_30default_config_static_selectorELNS0_4arch9wavefront6targetE0EEEvT1_: ; @_ZN7rocprim17ROCPRIM_400000_NS6detail17trampoline_kernelINS0_14default_configENS1_35adjacent_difference_config_selectorILb1EsEEZNS1_24adjacent_difference_implIS3_Lb1ELb0EPKsPsN6thrust23THRUST_200600_302600_NS4plusIsEEEE10hipError_tPvRmT2_T3_mT4_P12ihipStream_tbEUlT_E_NS1_11comp_targetILNS1_3genE10ELNS1_11target_archE1201ELNS1_3gpuE5ELNS1_3repE0EEENS1_30default_config_static_selectorELNS0_4arch9wavefront6targetE0EEEvT1_
; %bb.0:
	.section	.rodata,"a",@progbits
	.p2align	6, 0x0
	.amdhsa_kernel _ZN7rocprim17ROCPRIM_400000_NS6detail17trampoline_kernelINS0_14default_configENS1_35adjacent_difference_config_selectorILb1EsEEZNS1_24adjacent_difference_implIS3_Lb1ELb0EPKsPsN6thrust23THRUST_200600_302600_NS4plusIsEEEE10hipError_tPvRmT2_T3_mT4_P12ihipStream_tbEUlT_E_NS1_11comp_targetILNS1_3genE10ELNS1_11target_archE1201ELNS1_3gpuE5ELNS1_3repE0EEENS1_30default_config_static_selectorELNS0_4arch9wavefront6targetE0EEEvT1_
		.amdhsa_group_segment_fixed_size 0
		.amdhsa_private_segment_fixed_size 0
		.amdhsa_kernarg_size 56
		.amdhsa_user_sgpr_count 15
		.amdhsa_user_sgpr_dispatch_ptr 0
		.amdhsa_user_sgpr_queue_ptr 0
		.amdhsa_user_sgpr_kernarg_segment_ptr 1
		.amdhsa_user_sgpr_dispatch_id 0
		.amdhsa_user_sgpr_private_segment_size 0
		.amdhsa_wavefront_size32 1
		.amdhsa_uses_dynamic_stack 0
		.amdhsa_enable_private_segment 0
		.amdhsa_system_sgpr_workgroup_id_x 1
		.amdhsa_system_sgpr_workgroup_id_y 0
		.amdhsa_system_sgpr_workgroup_id_z 0
		.amdhsa_system_sgpr_workgroup_info 0
		.amdhsa_system_vgpr_workitem_id 0
		.amdhsa_next_free_vgpr 1
		.amdhsa_next_free_sgpr 1
		.amdhsa_reserve_vcc 0
		.amdhsa_float_round_mode_32 0
		.amdhsa_float_round_mode_16_64 0
		.amdhsa_float_denorm_mode_32 3
		.amdhsa_float_denorm_mode_16_64 3
		.amdhsa_dx10_clamp 1
		.amdhsa_ieee_mode 1
		.amdhsa_fp16_overflow 0
		.amdhsa_workgroup_processor_mode 1
		.amdhsa_memory_ordered 1
		.amdhsa_forward_progress 0
		.amdhsa_shared_vgpr_count 0
		.amdhsa_exception_fp_ieee_invalid_op 0
		.amdhsa_exception_fp_denorm_src 0
		.amdhsa_exception_fp_ieee_div_zero 0
		.amdhsa_exception_fp_ieee_overflow 0
		.amdhsa_exception_fp_ieee_underflow 0
		.amdhsa_exception_fp_ieee_inexact 0
		.amdhsa_exception_int_div_zero 0
	.end_amdhsa_kernel
	.section	.text._ZN7rocprim17ROCPRIM_400000_NS6detail17trampoline_kernelINS0_14default_configENS1_35adjacent_difference_config_selectorILb1EsEEZNS1_24adjacent_difference_implIS3_Lb1ELb0EPKsPsN6thrust23THRUST_200600_302600_NS4plusIsEEEE10hipError_tPvRmT2_T3_mT4_P12ihipStream_tbEUlT_E_NS1_11comp_targetILNS1_3genE10ELNS1_11target_archE1201ELNS1_3gpuE5ELNS1_3repE0EEENS1_30default_config_static_selectorELNS0_4arch9wavefront6targetE0EEEvT1_,"axG",@progbits,_ZN7rocprim17ROCPRIM_400000_NS6detail17trampoline_kernelINS0_14default_configENS1_35adjacent_difference_config_selectorILb1EsEEZNS1_24adjacent_difference_implIS3_Lb1ELb0EPKsPsN6thrust23THRUST_200600_302600_NS4plusIsEEEE10hipError_tPvRmT2_T3_mT4_P12ihipStream_tbEUlT_E_NS1_11comp_targetILNS1_3genE10ELNS1_11target_archE1201ELNS1_3gpuE5ELNS1_3repE0EEENS1_30default_config_static_selectorELNS0_4arch9wavefront6targetE0EEEvT1_,comdat
.Lfunc_end766:
	.size	_ZN7rocprim17ROCPRIM_400000_NS6detail17trampoline_kernelINS0_14default_configENS1_35adjacent_difference_config_selectorILb1EsEEZNS1_24adjacent_difference_implIS3_Lb1ELb0EPKsPsN6thrust23THRUST_200600_302600_NS4plusIsEEEE10hipError_tPvRmT2_T3_mT4_P12ihipStream_tbEUlT_E_NS1_11comp_targetILNS1_3genE10ELNS1_11target_archE1201ELNS1_3gpuE5ELNS1_3repE0EEENS1_30default_config_static_selectorELNS0_4arch9wavefront6targetE0EEEvT1_, .Lfunc_end766-_ZN7rocprim17ROCPRIM_400000_NS6detail17trampoline_kernelINS0_14default_configENS1_35adjacent_difference_config_selectorILb1EsEEZNS1_24adjacent_difference_implIS3_Lb1ELb0EPKsPsN6thrust23THRUST_200600_302600_NS4plusIsEEEE10hipError_tPvRmT2_T3_mT4_P12ihipStream_tbEUlT_E_NS1_11comp_targetILNS1_3genE10ELNS1_11target_archE1201ELNS1_3gpuE5ELNS1_3repE0EEENS1_30default_config_static_selectorELNS0_4arch9wavefront6targetE0EEEvT1_
                                        ; -- End function
	.section	.AMDGPU.csdata,"",@progbits
; Kernel info:
; codeLenInByte = 0
; NumSgprs: 0
; NumVgprs: 0
; ScratchSize: 0
; MemoryBound: 0
; FloatMode: 240
; IeeeMode: 1
; LDSByteSize: 0 bytes/workgroup (compile time only)
; SGPRBlocks: 0
; VGPRBlocks: 0
; NumSGPRsForWavesPerEU: 1
; NumVGPRsForWavesPerEU: 1
; Occupancy: 16
; WaveLimiterHint : 0
; COMPUTE_PGM_RSRC2:SCRATCH_EN: 0
; COMPUTE_PGM_RSRC2:USER_SGPR: 15
; COMPUTE_PGM_RSRC2:TRAP_HANDLER: 0
; COMPUTE_PGM_RSRC2:TGID_X_EN: 1
; COMPUTE_PGM_RSRC2:TGID_Y_EN: 0
; COMPUTE_PGM_RSRC2:TGID_Z_EN: 0
; COMPUTE_PGM_RSRC2:TIDIG_COMP_CNT: 0
	.section	.text._ZN7rocprim17ROCPRIM_400000_NS6detail17trampoline_kernelINS0_14default_configENS1_35adjacent_difference_config_selectorILb1EsEEZNS1_24adjacent_difference_implIS3_Lb1ELb0EPKsPsN6thrust23THRUST_200600_302600_NS4plusIsEEEE10hipError_tPvRmT2_T3_mT4_P12ihipStream_tbEUlT_E_NS1_11comp_targetILNS1_3genE5ELNS1_11target_archE942ELNS1_3gpuE9ELNS1_3repE0EEENS1_30default_config_static_selectorELNS0_4arch9wavefront6targetE0EEEvT1_,"axG",@progbits,_ZN7rocprim17ROCPRIM_400000_NS6detail17trampoline_kernelINS0_14default_configENS1_35adjacent_difference_config_selectorILb1EsEEZNS1_24adjacent_difference_implIS3_Lb1ELb0EPKsPsN6thrust23THRUST_200600_302600_NS4plusIsEEEE10hipError_tPvRmT2_T3_mT4_P12ihipStream_tbEUlT_E_NS1_11comp_targetILNS1_3genE5ELNS1_11target_archE942ELNS1_3gpuE9ELNS1_3repE0EEENS1_30default_config_static_selectorELNS0_4arch9wavefront6targetE0EEEvT1_,comdat
	.protected	_ZN7rocprim17ROCPRIM_400000_NS6detail17trampoline_kernelINS0_14default_configENS1_35adjacent_difference_config_selectorILb1EsEEZNS1_24adjacent_difference_implIS3_Lb1ELb0EPKsPsN6thrust23THRUST_200600_302600_NS4plusIsEEEE10hipError_tPvRmT2_T3_mT4_P12ihipStream_tbEUlT_E_NS1_11comp_targetILNS1_3genE5ELNS1_11target_archE942ELNS1_3gpuE9ELNS1_3repE0EEENS1_30default_config_static_selectorELNS0_4arch9wavefront6targetE0EEEvT1_ ; -- Begin function _ZN7rocprim17ROCPRIM_400000_NS6detail17trampoline_kernelINS0_14default_configENS1_35adjacent_difference_config_selectorILb1EsEEZNS1_24adjacent_difference_implIS3_Lb1ELb0EPKsPsN6thrust23THRUST_200600_302600_NS4plusIsEEEE10hipError_tPvRmT2_T3_mT4_P12ihipStream_tbEUlT_E_NS1_11comp_targetILNS1_3genE5ELNS1_11target_archE942ELNS1_3gpuE9ELNS1_3repE0EEENS1_30default_config_static_selectorELNS0_4arch9wavefront6targetE0EEEvT1_
	.globl	_ZN7rocprim17ROCPRIM_400000_NS6detail17trampoline_kernelINS0_14default_configENS1_35adjacent_difference_config_selectorILb1EsEEZNS1_24adjacent_difference_implIS3_Lb1ELb0EPKsPsN6thrust23THRUST_200600_302600_NS4plusIsEEEE10hipError_tPvRmT2_T3_mT4_P12ihipStream_tbEUlT_E_NS1_11comp_targetILNS1_3genE5ELNS1_11target_archE942ELNS1_3gpuE9ELNS1_3repE0EEENS1_30default_config_static_selectorELNS0_4arch9wavefront6targetE0EEEvT1_
	.p2align	8
	.type	_ZN7rocprim17ROCPRIM_400000_NS6detail17trampoline_kernelINS0_14default_configENS1_35adjacent_difference_config_selectorILb1EsEEZNS1_24adjacent_difference_implIS3_Lb1ELb0EPKsPsN6thrust23THRUST_200600_302600_NS4plusIsEEEE10hipError_tPvRmT2_T3_mT4_P12ihipStream_tbEUlT_E_NS1_11comp_targetILNS1_3genE5ELNS1_11target_archE942ELNS1_3gpuE9ELNS1_3repE0EEENS1_30default_config_static_selectorELNS0_4arch9wavefront6targetE0EEEvT1_,@function
_ZN7rocprim17ROCPRIM_400000_NS6detail17trampoline_kernelINS0_14default_configENS1_35adjacent_difference_config_selectorILb1EsEEZNS1_24adjacent_difference_implIS3_Lb1ELb0EPKsPsN6thrust23THRUST_200600_302600_NS4plusIsEEEE10hipError_tPvRmT2_T3_mT4_P12ihipStream_tbEUlT_E_NS1_11comp_targetILNS1_3genE5ELNS1_11target_archE942ELNS1_3gpuE9ELNS1_3repE0EEENS1_30default_config_static_selectorELNS0_4arch9wavefront6targetE0EEEvT1_: ; @_ZN7rocprim17ROCPRIM_400000_NS6detail17trampoline_kernelINS0_14default_configENS1_35adjacent_difference_config_selectorILb1EsEEZNS1_24adjacent_difference_implIS3_Lb1ELb0EPKsPsN6thrust23THRUST_200600_302600_NS4plusIsEEEE10hipError_tPvRmT2_T3_mT4_P12ihipStream_tbEUlT_E_NS1_11comp_targetILNS1_3genE5ELNS1_11target_archE942ELNS1_3gpuE9ELNS1_3repE0EEENS1_30default_config_static_selectorELNS0_4arch9wavefront6targetE0EEEvT1_
; %bb.0:
	.section	.rodata,"a",@progbits
	.p2align	6, 0x0
	.amdhsa_kernel _ZN7rocprim17ROCPRIM_400000_NS6detail17trampoline_kernelINS0_14default_configENS1_35adjacent_difference_config_selectorILb1EsEEZNS1_24adjacent_difference_implIS3_Lb1ELb0EPKsPsN6thrust23THRUST_200600_302600_NS4plusIsEEEE10hipError_tPvRmT2_T3_mT4_P12ihipStream_tbEUlT_E_NS1_11comp_targetILNS1_3genE5ELNS1_11target_archE942ELNS1_3gpuE9ELNS1_3repE0EEENS1_30default_config_static_selectorELNS0_4arch9wavefront6targetE0EEEvT1_
		.amdhsa_group_segment_fixed_size 0
		.amdhsa_private_segment_fixed_size 0
		.amdhsa_kernarg_size 56
		.amdhsa_user_sgpr_count 15
		.amdhsa_user_sgpr_dispatch_ptr 0
		.amdhsa_user_sgpr_queue_ptr 0
		.amdhsa_user_sgpr_kernarg_segment_ptr 1
		.amdhsa_user_sgpr_dispatch_id 0
		.amdhsa_user_sgpr_private_segment_size 0
		.amdhsa_wavefront_size32 1
		.amdhsa_uses_dynamic_stack 0
		.amdhsa_enable_private_segment 0
		.amdhsa_system_sgpr_workgroup_id_x 1
		.amdhsa_system_sgpr_workgroup_id_y 0
		.amdhsa_system_sgpr_workgroup_id_z 0
		.amdhsa_system_sgpr_workgroup_info 0
		.amdhsa_system_vgpr_workitem_id 0
		.amdhsa_next_free_vgpr 1
		.amdhsa_next_free_sgpr 1
		.amdhsa_reserve_vcc 0
		.amdhsa_float_round_mode_32 0
		.amdhsa_float_round_mode_16_64 0
		.amdhsa_float_denorm_mode_32 3
		.amdhsa_float_denorm_mode_16_64 3
		.amdhsa_dx10_clamp 1
		.amdhsa_ieee_mode 1
		.amdhsa_fp16_overflow 0
		.amdhsa_workgroup_processor_mode 1
		.amdhsa_memory_ordered 1
		.amdhsa_forward_progress 0
		.amdhsa_shared_vgpr_count 0
		.amdhsa_exception_fp_ieee_invalid_op 0
		.amdhsa_exception_fp_denorm_src 0
		.amdhsa_exception_fp_ieee_div_zero 0
		.amdhsa_exception_fp_ieee_overflow 0
		.amdhsa_exception_fp_ieee_underflow 0
		.amdhsa_exception_fp_ieee_inexact 0
		.amdhsa_exception_int_div_zero 0
	.end_amdhsa_kernel
	.section	.text._ZN7rocprim17ROCPRIM_400000_NS6detail17trampoline_kernelINS0_14default_configENS1_35adjacent_difference_config_selectorILb1EsEEZNS1_24adjacent_difference_implIS3_Lb1ELb0EPKsPsN6thrust23THRUST_200600_302600_NS4plusIsEEEE10hipError_tPvRmT2_T3_mT4_P12ihipStream_tbEUlT_E_NS1_11comp_targetILNS1_3genE5ELNS1_11target_archE942ELNS1_3gpuE9ELNS1_3repE0EEENS1_30default_config_static_selectorELNS0_4arch9wavefront6targetE0EEEvT1_,"axG",@progbits,_ZN7rocprim17ROCPRIM_400000_NS6detail17trampoline_kernelINS0_14default_configENS1_35adjacent_difference_config_selectorILb1EsEEZNS1_24adjacent_difference_implIS3_Lb1ELb0EPKsPsN6thrust23THRUST_200600_302600_NS4plusIsEEEE10hipError_tPvRmT2_T3_mT4_P12ihipStream_tbEUlT_E_NS1_11comp_targetILNS1_3genE5ELNS1_11target_archE942ELNS1_3gpuE9ELNS1_3repE0EEENS1_30default_config_static_selectorELNS0_4arch9wavefront6targetE0EEEvT1_,comdat
.Lfunc_end767:
	.size	_ZN7rocprim17ROCPRIM_400000_NS6detail17trampoline_kernelINS0_14default_configENS1_35adjacent_difference_config_selectorILb1EsEEZNS1_24adjacent_difference_implIS3_Lb1ELb0EPKsPsN6thrust23THRUST_200600_302600_NS4plusIsEEEE10hipError_tPvRmT2_T3_mT4_P12ihipStream_tbEUlT_E_NS1_11comp_targetILNS1_3genE5ELNS1_11target_archE942ELNS1_3gpuE9ELNS1_3repE0EEENS1_30default_config_static_selectorELNS0_4arch9wavefront6targetE0EEEvT1_, .Lfunc_end767-_ZN7rocprim17ROCPRIM_400000_NS6detail17trampoline_kernelINS0_14default_configENS1_35adjacent_difference_config_selectorILb1EsEEZNS1_24adjacent_difference_implIS3_Lb1ELb0EPKsPsN6thrust23THRUST_200600_302600_NS4plusIsEEEE10hipError_tPvRmT2_T3_mT4_P12ihipStream_tbEUlT_E_NS1_11comp_targetILNS1_3genE5ELNS1_11target_archE942ELNS1_3gpuE9ELNS1_3repE0EEENS1_30default_config_static_selectorELNS0_4arch9wavefront6targetE0EEEvT1_
                                        ; -- End function
	.section	.AMDGPU.csdata,"",@progbits
; Kernel info:
; codeLenInByte = 0
; NumSgprs: 0
; NumVgprs: 0
; ScratchSize: 0
; MemoryBound: 0
; FloatMode: 240
; IeeeMode: 1
; LDSByteSize: 0 bytes/workgroup (compile time only)
; SGPRBlocks: 0
; VGPRBlocks: 0
; NumSGPRsForWavesPerEU: 1
; NumVGPRsForWavesPerEU: 1
; Occupancy: 16
; WaveLimiterHint : 0
; COMPUTE_PGM_RSRC2:SCRATCH_EN: 0
; COMPUTE_PGM_RSRC2:USER_SGPR: 15
; COMPUTE_PGM_RSRC2:TRAP_HANDLER: 0
; COMPUTE_PGM_RSRC2:TGID_X_EN: 1
; COMPUTE_PGM_RSRC2:TGID_Y_EN: 0
; COMPUTE_PGM_RSRC2:TGID_Z_EN: 0
; COMPUTE_PGM_RSRC2:TIDIG_COMP_CNT: 0
	.section	.text._ZN7rocprim17ROCPRIM_400000_NS6detail17trampoline_kernelINS0_14default_configENS1_35adjacent_difference_config_selectorILb1EsEEZNS1_24adjacent_difference_implIS3_Lb1ELb0EPKsPsN6thrust23THRUST_200600_302600_NS4plusIsEEEE10hipError_tPvRmT2_T3_mT4_P12ihipStream_tbEUlT_E_NS1_11comp_targetILNS1_3genE4ELNS1_11target_archE910ELNS1_3gpuE8ELNS1_3repE0EEENS1_30default_config_static_selectorELNS0_4arch9wavefront6targetE0EEEvT1_,"axG",@progbits,_ZN7rocprim17ROCPRIM_400000_NS6detail17trampoline_kernelINS0_14default_configENS1_35adjacent_difference_config_selectorILb1EsEEZNS1_24adjacent_difference_implIS3_Lb1ELb0EPKsPsN6thrust23THRUST_200600_302600_NS4plusIsEEEE10hipError_tPvRmT2_T3_mT4_P12ihipStream_tbEUlT_E_NS1_11comp_targetILNS1_3genE4ELNS1_11target_archE910ELNS1_3gpuE8ELNS1_3repE0EEENS1_30default_config_static_selectorELNS0_4arch9wavefront6targetE0EEEvT1_,comdat
	.protected	_ZN7rocprim17ROCPRIM_400000_NS6detail17trampoline_kernelINS0_14default_configENS1_35adjacent_difference_config_selectorILb1EsEEZNS1_24adjacent_difference_implIS3_Lb1ELb0EPKsPsN6thrust23THRUST_200600_302600_NS4plusIsEEEE10hipError_tPvRmT2_T3_mT4_P12ihipStream_tbEUlT_E_NS1_11comp_targetILNS1_3genE4ELNS1_11target_archE910ELNS1_3gpuE8ELNS1_3repE0EEENS1_30default_config_static_selectorELNS0_4arch9wavefront6targetE0EEEvT1_ ; -- Begin function _ZN7rocprim17ROCPRIM_400000_NS6detail17trampoline_kernelINS0_14default_configENS1_35adjacent_difference_config_selectorILb1EsEEZNS1_24adjacent_difference_implIS3_Lb1ELb0EPKsPsN6thrust23THRUST_200600_302600_NS4plusIsEEEE10hipError_tPvRmT2_T3_mT4_P12ihipStream_tbEUlT_E_NS1_11comp_targetILNS1_3genE4ELNS1_11target_archE910ELNS1_3gpuE8ELNS1_3repE0EEENS1_30default_config_static_selectorELNS0_4arch9wavefront6targetE0EEEvT1_
	.globl	_ZN7rocprim17ROCPRIM_400000_NS6detail17trampoline_kernelINS0_14default_configENS1_35adjacent_difference_config_selectorILb1EsEEZNS1_24adjacent_difference_implIS3_Lb1ELb0EPKsPsN6thrust23THRUST_200600_302600_NS4plusIsEEEE10hipError_tPvRmT2_T3_mT4_P12ihipStream_tbEUlT_E_NS1_11comp_targetILNS1_3genE4ELNS1_11target_archE910ELNS1_3gpuE8ELNS1_3repE0EEENS1_30default_config_static_selectorELNS0_4arch9wavefront6targetE0EEEvT1_
	.p2align	8
	.type	_ZN7rocprim17ROCPRIM_400000_NS6detail17trampoline_kernelINS0_14default_configENS1_35adjacent_difference_config_selectorILb1EsEEZNS1_24adjacent_difference_implIS3_Lb1ELb0EPKsPsN6thrust23THRUST_200600_302600_NS4plusIsEEEE10hipError_tPvRmT2_T3_mT4_P12ihipStream_tbEUlT_E_NS1_11comp_targetILNS1_3genE4ELNS1_11target_archE910ELNS1_3gpuE8ELNS1_3repE0EEENS1_30default_config_static_selectorELNS0_4arch9wavefront6targetE0EEEvT1_,@function
_ZN7rocprim17ROCPRIM_400000_NS6detail17trampoline_kernelINS0_14default_configENS1_35adjacent_difference_config_selectorILb1EsEEZNS1_24adjacent_difference_implIS3_Lb1ELb0EPKsPsN6thrust23THRUST_200600_302600_NS4plusIsEEEE10hipError_tPvRmT2_T3_mT4_P12ihipStream_tbEUlT_E_NS1_11comp_targetILNS1_3genE4ELNS1_11target_archE910ELNS1_3gpuE8ELNS1_3repE0EEENS1_30default_config_static_selectorELNS0_4arch9wavefront6targetE0EEEvT1_: ; @_ZN7rocprim17ROCPRIM_400000_NS6detail17trampoline_kernelINS0_14default_configENS1_35adjacent_difference_config_selectorILb1EsEEZNS1_24adjacent_difference_implIS3_Lb1ELb0EPKsPsN6thrust23THRUST_200600_302600_NS4plusIsEEEE10hipError_tPvRmT2_T3_mT4_P12ihipStream_tbEUlT_E_NS1_11comp_targetILNS1_3genE4ELNS1_11target_archE910ELNS1_3gpuE8ELNS1_3repE0EEENS1_30default_config_static_selectorELNS0_4arch9wavefront6targetE0EEEvT1_
; %bb.0:
	.section	.rodata,"a",@progbits
	.p2align	6, 0x0
	.amdhsa_kernel _ZN7rocprim17ROCPRIM_400000_NS6detail17trampoline_kernelINS0_14default_configENS1_35adjacent_difference_config_selectorILb1EsEEZNS1_24adjacent_difference_implIS3_Lb1ELb0EPKsPsN6thrust23THRUST_200600_302600_NS4plusIsEEEE10hipError_tPvRmT2_T3_mT4_P12ihipStream_tbEUlT_E_NS1_11comp_targetILNS1_3genE4ELNS1_11target_archE910ELNS1_3gpuE8ELNS1_3repE0EEENS1_30default_config_static_selectorELNS0_4arch9wavefront6targetE0EEEvT1_
		.amdhsa_group_segment_fixed_size 0
		.amdhsa_private_segment_fixed_size 0
		.amdhsa_kernarg_size 56
		.amdhsa_user_sgpr_count 15
		.amdhsa_user_sgpr_dispatch_ptr 0
		.amdhsa_user_sgpr_queue_ptr 0
		.amdhsa_user_sgpr_kernarg_segment_ptr 1
		.amdhsa_user_sgpr_dispatch_id 0
		.amdhsa_user_sgpr_private_segment_size 0
		.amdhsa_wavefront_size32 1
		.amdhsa_uses_dynamic_stack 0
		.amdhsa_enable_private_segment 0
		.amdhsa_system_sgpr_workgroup_id_x 1
		.amdhsa_system_sgpr_workgroup_id_y 0
		.amdhsa_system_sgpr_workgroup_id_z 0
		.amdhsa_system_sgpr_workgroup_info 0
		.amdhsa_system_vgpr_workitem_id 0
		.amdhsa_next_free_vgpr 1
		.amdhsa_next_free_sgpr 1
		.amdhsa_reserve_vcc 0
		.amdhsa_float_round_mode_32 0
		.amdhsa_float_round_mode_16_64 0
		.amdhsa_float_denorm_mode_32 3
		.amdhsa_float_denorm_mode_16_64 3
		.amdhsa_dx10_clamp 1
		.amdhsa_ieee_mode 1
		.amdhsa_fp16_overflow 0
		.amdhsa_workgroup_processor_mode 1
		.amdhsa_memory_ordered 1
		.amdhsa_forward_progress 0
		.amdhsa_shared_vgpr_count 0
		.amdhsa_exception_fp_ieee_invalid_op 0
		.amdhsa_exception_fp_denorm_src 0
		.amdhsa_exception_fp_ieee_div_zero 0
		.amdhsa_exception_fp_ieee_overflow 0
		.amdhsa_exception_fp_ieee_underflow 0
		.amdhsa_exception_fp_ieee_inexact 0
		.amdhsa_exception_int_div_zero 0
	.end_amdhsa_kernel
	.section	.text._ZN7rocprim17ROCPRIM_400000_NS6detail17trampoline_kernelINS0_14default_configENS1_35adjacent_difference_config_selectorILb1EsEEZNS1_24adjacent_difference_implIS3_Lb1ELb0EPKsPsN6thrust23THRUST_200600_302600_NS4plusIsEEEE10hipError_tPvRmT2_T3_mT4_P12ihipStream_tbEUlT_E_NS1_11comp_targetILNS1_3genE4ELNS1_11target_archE910ELNS1_3gpuE8ELNS1_3repE0EEENS1_30default_config_static_selectorELNS0_4arch9wavefront6targetE0EEEvT1_,"axG",@progbits,_ZN7rocprim17ROCPRIM_400000_NS6detail17trampoline_kernelINS0_14default_configENS1_35adjacent_difference_config_selectorILb1EsEEZNS1_24adjacent_difference_implIS3_Lb1ELb0EPKsPsN6thrust23THRUST_200600_302600_NS4plusIsEEEE10hipError_tPvRmT2_T3_mT4_P12ihipStream_tbEUlT_E_NS1_11comp_targetILNS1_3genE4ELNS1_11target_archE910ELNS1_3gpuE8ELNS1_3repE0EEENS1_30default_config_static_selectorELNS0_4arch9wavefront6targetE0EEEvT1_,comdat
.Lfunc_end768:
	.size	_ZN7rocprim17ROCPRIM_400000_NS6detail17trampoline_kernelINS0_14default_configENS1_35adjacent_difference_config_selectorILb1EsEEZNS1_24adjacent_difference_implIS3_Lb1ELb0EPKsPsN6thrust23THRUST_200600_302600_NS4plusIsEEEE10hipError_tPvRmT2_T3_mT4_P12ihipStream_tbEUlT_E_NS1_11comp_targetILNS1_3genE4ELNS1_11target_archE910ELNS1_3gpuE8ELNS1_3repE0EEENS1_30default_config_static_selectorELNS0_4arch9wavefront6targetE0EEEvT1_, .Lfunc_end768-_ZN7rocprim17ROCPRIM_400000_NS6detail17trampoline_kernelINS0_14default_configENS1_35adjacent_difference_config_selectorILb1EsEEZNS1_24adjacent_difference_implIS3_Lb1ELb0EPKsPsN6thrust23THRUST_200600_302600_NS4plusIsEEEE10hipError_tPvRmT2_T3_mT4_P12ihipStream_tbEUlT_E_NS1_11comp_targetILNS1_3genE4ELNS1_11target_archE910ELNS1_3gpuE8ELNS1_3repE0EEENS1_30default_config_static_selectorELNS0_4arch9wavefront6targetE0EEEvT1_
                                        ; -- End function
	.section	.AMDGPU.csdata,"",@progbits
; Kernel info:
; codeLenInByte = 0
; NumSgprs: 0
; NumVgprs: 0
; ScratchSize: 0
; MemoryBound: 0
; FloatMode: 240
; IeeeMode: 1
; LDSByteSize: 0 bytes/workgroup (compile time only)
; SGPRBlocks: 0
; VGPRBlocks: 0
; NumSGPRsForWavesPerEU: 1
; NumVGPRsForWavesPerEU: 1
; Occupancy: 16
; WaveLimiterHint : 0
; COMPUTE_PGM_RSRC2:SCRATCH_EN: 0
; COMPUTE_PGM_RSRC2:USER_SGPR: 15
; COMPUTE_PGM_RSRC2:TRAP_HANDLER: 0
; COMPUTE_PGM_RSRC2:TGID_X_EN: 1
; COMPUTE_PGM_RSRC2:TGID_Y_EN: 0
; COMPUTE_PGM_RSRC2:TGID_Z_EN: 0
; COMPUTE_PGM_RSRC2:TIDIG_COMP_CNT: 0
	.section	.text._ZN7rocprim17ROCPRIM_400000_NS6detail17trampoline_kernelINS0_14default_configENS1_35adjacent_difference_config_selectorILb1EsEEZNS1_24adjacent_difference_implIS3_Lb1ELb0EPKsPsN6thrust23THRUST_200600_302600_NS4plusIsEEEE10hipError_tPvRmT2_T3_mT4_P12ihipStream_tbEUlT_E_NS1_11comp_targetILNS1_3genE3ELNS1_11target_archE908ELNS1_3gpuE7ELNS1_3repE0EEENS1_30default_config_static_selectorELNS0_4arch9wavefront6targetE0EEEvT1_,"axG",@progbits,_ZN7rocprim17ROCPRIM_400000_NS6detail17trampoline_kernelINS0_14default_configENS1_35adjacent_difference_config_selectorILb1EsEEZNS1_24adjacent_difference_implIS3_Lb1ELb0EPKsPsN6thrust23THRUST_200600_302600_NS4plusIsEEEE10hipError_tPvRmT2_T3_mT4_P12ihipStream_tbEUlT_E_NS1_11comp_targetILNS1_3genE3ELNS1_11target_archE908ELNS1_3gpuE7ELNS1_3repE0EEENS1_30default_config_static_selectorELNS0_4arch9wavefront6targetE0EEEvT1_,comdat
	.protected	_ZN7rocprim17ROCPRIM_400000_NS6detail17trampoline_kernelINS0_14default_configENS1_35adjacent_difference_config_selectorILb1EsEEZNS1_24adjacent_difference_implIS3_Lb1ELb0EPKsPsN6thrust23THRUST_200600_302600_NS4plusIsEEEE10hipError_tPvRmT2_T3_mT4_P12ihipStream_tbEUlT_E_NS1_11comp_targetILNS1_3genE3ELNS1_11target_archE908ELNS1_3gpuE7ELNS1_3repE0EEENS1_30default_config_static_selectorELNS0_4arch9wavefront6targetE0EEEvT1_ ; -- Begin function _ZN7rocprim17ROCPRIM_400000_NS6detail17trampoline_kernelINS0_14default_configENS1_35adjacent_difference_config_selectorILb1EsEEZNS1_24adjacent_difference_implIS3_Lb1ELb0EPKsPsN6thrust23THRUST_200600_302600_NS4plusIsEEEE10hipError_tPvRmT2_T3_mT4_P12ihipStream_tbEUlT_E_NS1_11comp_targetILNS1_3genE3ELNS1_11target_archE908ELNS1_3gpuE7ELNS1_3repE0EEENS1_30default_config_static_selectorELNS0_4arch9wavefront6targetE0EEEvT1_
	.globl	_ZN7rocprim17ROCPRIM_400000_NS6detail17trampoline_kernelINS0_14default_configENS1_35adjacent_difference_config_selectorILb1EsEEZNS1_24adjacent_difference_implIS3_Lb1ELb0EPKsPsN6thrust23THRUST_200600_302600_NS4plusIsEEEE10hipError_tPvRmT2_T3_mT4_P12ihipStream_tbEUlT_E_NS1_11comp_targetILNS1_3genE3ELNS1_11target_archE908ELNS1_3gpuE7ELNS1_3repE0EEENS1_30default_config_static_selectorELNS0_4arch9wavefront6targetE0EEEvT1_
	.p2align	8
	.type	_ZN7rocprim17ROCPRIM_400000_NS6detail17trampoline_kernelINS0_14default_configENS1_35adjacent_difference_config_selectorILb1EsEEZNS1_24adjacent_difference_implIS3_Lb1ELb0EPKsPsN6thrust23THRUST_200600_302600_NS4plusIsEEEE10hipError_tPvRmT2_T3_mT4_P12ihipStream_tbEUlT_E_NS1_11comp_targetILNS1_3genE3ELNS1_11target_archE908ELNS1_3gpuE7ELNS1_3repE0EEENS1_30default_config_static_selectorELNS0_4arch9wavefront6targetE0EEEvT1_,@function
_ZN7rocprim17ROCPRIM_400000_NS6detail17trampoline_kernelINS0_14default_configENS1_35adjacent_difference_config_selectorILb1EsEEZNS1_24adjacent_difference_implIS3_Lb1ELb0EPKsPsN6thrust23THRUST_200600_302600_NS4plusIsEEEE10hipError_tPvRmT2_T3_mT4_P12ihipStream_tbEUlT_E_NS1_11comp_targetILNS1_3genE3ELNS1_11target_archE908ELNS1_3gpuE7ELNS1_3repE0EEENS1_30default_config_static_selectorELNS0_4arch9wavefront6targetE0EEEvT1_: ; @_ZN7rocprim17ROCPRIM_400000_NS6detail17trampoline_kernelINS0_14default_configENS1_35adjacent_difference_config_selectorILb1EsEEZNS1_24adjacent_difference_implIS3_Lb1ELb0EPKsPsN6thrust23THRUST_200600_302600_NS4plusIsEEEE10hipError_tPvRmT2_T3_mT4_P12ihipStream_tbEUlT_E_NS1_11comp_targetILNS1_3genE3ELNS1_11target_archE908ELNS1_3gpuE7ELNS1_3repE0EEENS1_30default_config_static_selectorELNS0_4arch9wavefront6targetE0EEEvT1_
; %bb.0:
	.section	.rodata,"a",@progbits
	.p2align	6, 0x0
	.amdhsa_kernel _ZN7rocprim17ROCPRIM_400000_NS6detail17trampoline_kernelINS0_14default_configENS1_35adjacent_difference_config_selectorILb1EsEEZNS1_24adjacent_difference_implIS3_Lb1ELb0EPKsPsN6thrust23THRUST_200600_302600_NS4plusIsEEEE10hipError_tPvRmT2_T3_mT4_P12ihipStream_tbEUlT_E_NS1_11comp_targetILNS1_3genE3ELNS1_11target_archE908ELNS1_3gpuE7ELNS1_3repE0EEENS1_30default_config_static_selectorELNS0_4arch9wavefront6targetE0EEEvT1_
		.amdhsa_group_segment_fixed_size 0
		.amdhsa_private_segment_fixed_size 0
		.amdhsa_kernarg_size 56
		.amdhsa_user_sgpr_count 15
		.amdhsa_user_sgpr_dispatch_ptr 0
		.amdhsa_user_sgpr_queue_ptr 0
		.amdhsa_user_sgpr_kernarg_segment_ptr 1
		.amdhsa_user_sgpr_dispatch_id 0
		.amdhsa_user_sgpr_private_segment_size 0
		.amdhsa_wavefront_size32 1
		.amdhsa_uses_dynamic_stack 0
		.amdhsa_enable_private_segment 0
		.amdhsa_system_sgpr_workgroup_id_x 1
		.amdhsa_system_sgpr_workgroup_id_y 0
		.amdhsa_system_sgpr_workgroup_id_z 0
		.amdhsa_system_sgpr_workgroup_info 0
		.amdhsa_system_vgpr_workitem_id 0
		.amdhsa_next_free_vgpr 1
		.amdhsa_next_free_sgpr 1
		.amdhsa_reserve_vcc 0
		.amdhsa_float_round_mode_32 0
		.amdhsa_float_round_mode_16_64 0
		.amdhsa_float_denorm_mode_32 3
		.amdhsa_float_denorm_mode_16_64 3
		.amdhsa_dx10_clamp 1
		.amdhsa_ieee_mode 1
		.amdhsa_fp16_overflow 0
		.amdhsa_workgroup_processor_mode 1
		.amdhsa_memory_ordered 1
		.amdhsa_forward_progress 0
		.amdhsa_shared_vgpr_count 0
		.amdhsa_exception_fp_ieee_invalid_op 0
		.amdhsa_exception_fp_denorm_src 0
		.amdhsa_exception_fp_ieee_div_zero 0
		.amdhsa_exception_fp_ieee_overflow 0
		.amdhsa_exception_fp_ieee_underflow 0
		.amdhsa_exception_fp_ieee_inexact 0
		.amdhsa_exception_int_div_zero 0
	.end_amdhsa_kernel
	.section	.text._ZN7rocprim17ROCPRIM_400000_NS6detail17trampoline_kernelINS0_14default_configENS1_35adjacent_difference_config_selectorILb1EsEEZNS1_24adjacent_difference_implIS3_Lb1ELb0EPKsPsN6thrust23THRUST_200600_302600_NS4plusIsEEEE10hipError_tPvRmT2_T3_mT4_P12ihipStream_tbEUlT_E_NS1_11comp_targetILNS1_3genE3ELNS1_11target_archE908ELNS1_3gpuE7ELNS1_3repE0EEENS1_30default_config_static_selectorELNS0_4arch9wavefront6targetE0EEEvT1_,"axG",@progbits,_ZN7rocprim17ROCPRIM_400000_NS6detail17trampoline_kernelINS0_14default_configENS1_35adjacent_difference_config_selectorILb1EsEEZNS1_24adjacent_difference_implIS3_Lb1ELb0EPKsPsN6thrust23THRUST_200600_302600_NS4plusIsEEEE10hipError_tPvRmT2_T3_mT4_P12ihipStream_tbEUlT_E_NS1_11comp_targetILNS1_3genE3ELNS1_11target_archE908ELNS1_3gpuE7ELNS1_3repE0EEENS1_30default_config_static_selectorELNS0_4arch9wavefront6targetE0EEEvT1_,comdat
.Lfunc_end769:
	.size	_ZN7rocprim17ROCPRIM_400000_NS6detail17trampoline_kernelINS0_14default_configENS1_35adjacent_difference_config_selectorILb1EsEEZNS1_24adjacent_difference_implIS3_Lb1ELb0EPKsPsN6thrust23THRUST_200600_302600_NS4plusIsEEEE10hipError_tPvRmT2_T3_mT4_P12ihipStream_tbEUlT_E_NS1_11comp_targetILNS1_3genE3ELNS1_11target_archE908ELNS1_3gpuE7ELNS1_3repE0EEENS1_30default_config_static_selectorELNS0_4arch9wavefront6targetE0EEEvT1_, .Lfunc_end769-_ZN7rocprim17ROCPRIM_400000_NS6detail17trampoline_kernelINS0_14default_configENS1_35adjacent_difference_config_selectorILb1EsEEZNS1_24adjacent_difference_implIS3_Lb1ELb0EPKsPsN6thrust23THRUST_200600_302600_NS4plusIsEEEE10hipError_tPvRmT2_T3_mT4_P12ihipStream_tbEUlT_E_NS1_11comp_targetILNS1_3genE3ELNS1_11target_archE908ELNS1_3gpuE7ELNS1_3repE0EEENS1_30default_config_static_selectorELNS0_4arch9wavefront6targetE0EEEvT1_
                                        ; -- End function
	.section	.AMDGPU.csdata,"",@progbits
; Kernel info:
; codeLenInByte = 0
; NumSgprs: 0
; NumVgprs: 0
; ScratchSize: 0
; MemoryBound: 0
; FloatMode: 240
; IeeeMode: 1
; LDSByteSize: 0 bytes/workgroup (compile time only)
; SGPRBlocks: 0
; VGPRBlocks: 0
; NumSGPRsForWavesPerEU: 1
; NumVGPRsForWavesPerEU: 1
; Occupancy: 16
; WaveLimiterHint : 0
; COMPUTE_PGM_RSRC2:SCRATCH_EN: 0
; COMPUTE_PGM_RSRC2:USER_SGPR: 15
; COMPUTE_PGM_RSRC2:TRAP_HANDLER: 0
; COMPUTE_PGM_RSRC2:TGID_X_EN: 1
; COMPUTE_PGM_RSRC2:TGID_Y_EN: 0
; COMPUTE_PGM_RSRC2:TGID_Z_EN: 0
; COMPUTE_PGM_RSRC2:TIDIG_COMP_CNT: 0
	.section	.text._ZN7rocprim17ROCPRIM_400000_NS6detail17trampoline_kernelINS0_14default_configENS1_35adjacent_difference_config_selectorILb1EsEEZNS1_24adjacent_difference_implIS3_Lb1ELb0EPKsPsN6thrust23THRUST_200600_302600_NS4plusIsEEEE10hipError_tPvRmT2_T3_mT4_P12ihipStream_tbEUlT_E_NS1_11comp_targetILNS1_3genE2ELNS1_11target_archE906ELNS1_3gpuE6ELNS1_3repE0EEENS1_30default_config_static_selectorELNS0_4arch9wavefront6targetE0EEEvT1_,"axG",@progbits,_ZN7rocprim17ROCPRIM_400000_NS6detail17trampoline_kernelINS0_14default_configENS1_35adjacent_difference_config_selectorILb1EsEEZNS1_24adjacent_difference_implIS3_Lb1ELb0EPKsPsN6thrust23THRUST_200600_302600_NS4plusIsEEEE10hipError_tPvRmT2_T3_mT4_P12ihipStream_tbEUlT_E_NS1_11comp_targetILNS1_3genE2ELNS1_11target_archE906ELNS1_3gpuE6ELNS1_3repE0EEENS1_30default_config_static_selectorELNS0_4arch9wavefront6targetE0EEEvT1_,comdat
	.protected	_ZN7rocprim17ROCPRIM_400000_NS6detail17trampoline_kernelINS0_14default_configENS1_35adjacent_difference_config_selectorILb1EsEEZNS1_24adjacent_difference_implIS3_Lb1ELb0EPKsPsN6thrust23THRUST_200600_302600_NS4plusIsEEEE10hipError_tPvRmT2_T3_mT4_P12ihipStream_tbEUlT_E_NS1_11comp_targetILNS1_3genE2ELNS1_11target_archE906ELNS1_3gpuE6ELNS1_3repE0EEENS1_30default_config_static_selectorELNS0_4arch9wavefront6targetE0EEEvT1_ ; -- Begin function _ZN7rocprim17ROCPRIM_400000_NS6detail17trampoline_kernelINS0_14default_configENS1_35adjacent_difference_config_selectorILb1EsEEZNS1_24adjacent_difference_implIS3_Lb1ELb0EPKsPsN6thrust23THRUST_200600_302600_NS4plusIsEEEE10hipError_tPvRmT2_T3_mT4_P12ihipStream_tbEUlT_E_NS1_11comp_targetILNS1_3genE2ELNS1_11target_archE906ELNS1_3gpuE6ELNS1_3repE0EEENS1_30default_config_static_selectorELNS0_4arch9wavefront6targetE0EEEvT1_
	.globl	_ZN7rocprim17ROCPRIM_400000_NS6detail17trampoline_kernelINS0_14default_configENS1_35adjacent_difference_config_selectorILb1EsEEZNS1_24adjacent_difference_implIS3_Lb1ELb0EPKsPsN6thrust23THRUST_200600_302600_NS4plusIsEEEE10hipError_tPvRmT2_T3_mT4_P12ihipStream_tbEUlT_E_NS1_11comp_targetILNS1_3genE2ELNS1_11target_archE906ELNS1_3gpuE6ELNS1_3repE0EEENS1_30default_config_static_selectorELNS0_4arch9wavefront6targetE0EEEvT1_
	.p2align	8
	.type	_ZN7rocprim17ROCPRIM_400000_NS6detail17trampoline_kernelINS0_14default_configENS1_35adjacent_difference_config_selectorILb1EsEEZNS1_24adjacent_difference_implIS3_Lb1ELb0EPKsPsN6thrust23THRUST_200600_302600_NS4plusIsEEEE10hipError_tPvRmT2_T3_mT4_P12ihipStream_tbEUlT_E_NS1_11comp_targetILNS1_3genE2ELNS1_11target_archE906ELNS1_3gpuE6ELNS1_3repE0EEENS1_30default_config_static_selectorELNS0_4arch9wavefront6targetE0EEEvT1_,@function
_ZN7rocprim17ROCPRIM_400000_NS6detail17trampoline_kernelINS0_14default_configENS1_35adjacent_difference_config_selectorILb1EsEEZNS1_24adjacent_difference_implIS3_Lb1ELb0EPKsPsN6thrust23THRUST_200600_302600_NS4plusIsEEEE10hipError_tPvRmT2_T3_mT4_P12ihipStream_tbEUlT_E_NS1_11comp_targetILNS1_3genE2ELNS1_11target_archE906ELNS1_3gpuE6ELNS1_3repE0EEENS1_30default_config_static_selectorELNS0_4arch9wavefront6targetE0EEEvT1_: ; @_ZN7rocprim17ROCPRIM_400000_NS6detail17trampoline_kernelINS0_14default_configENS1_35adjacent_difference_config_selectorILb1EsEEZNS1_24adjacent_difference_implIS3_Lb1ELb0EPKsPsN6thrust23THRUST_200600_302600_NS4plusIsEEEE10hipError_tPvRmT2_T3_mT4_P12ihipStream_tbEUlT_E_NS1_11comp_targetILNS1_3genE2ELNS1_11target_archE906ELNS1_3gpuE6ELNS1_3repE0EEENS1_30default_config_static_selectorELNS0_4arch9wavefront6targetE0EEEvT1_
; %bb.0:
	.section	.rodata,"a",@progbits
	.p2align	6, 0x0
	.amdhsa_kernel _ZN7rocprim17ROCPRIM_400000_NS6detail17trampoline_kernelINS0_14default_configENS1_35adjacent_difference_config_selectorILb1EsEEZNS1_24adjacent_difference_implIS3_Lb1ELb0EPKsPsN6thrust23THRUST_200600_302600_NS4plusIsEEEE10hipError_tPvRmT2_T3_mT4_P12ihipStream_tbEUlT_E_NS1_11comp_targetILNS1_3genE2ELNS1_11target_archE906ELNS1_3gpuE6ELNS1_3repE0EEENS1_30default_config_static_selectorELNS0_4arch9wavefront6targetE0EEEvT1_
		.amdhsa_group_segment_fixed_size 0
		.amdhsa_private_segment_fixed_size 0
		.amdhsa_kernarg_size 56
		.amdhsa_user_sgpr_count 15
		.amdhsa_user_sgpr_dispatch_ptr 0
		.amdhsa_user_sgpr_queue_ptr 0
		.amdhsa_user_sgpr_kernarg_segment_ptr 1
		.amdhsa_user_sgpr_dispatch_id 0
		.amdhsa_user_sgpr_private_segment_size 0
		.amdhsa_wavefront_size32 1
		.amdhsa_uses_dynamic_stack 0
		.amdhsa_enable_private_segment 0
		.amdhsa_system_sgpr_workgroup_id_x 1
		.amdhsa_system_sgpr_workgroup_id_y 0
		.amdhsa_system_sgpr_workgroup_id_z 0
		.amdhsa_system_sgpr_workgroup_info 0
		.amdhsa_system_vgpr_workitem_id 0
		.amdhsa_next_free_vgpr 1
		.amdhsa_next_free_sgpr 1
		.amdhsa_reserve_vcc 0
		.amdhsa_float_round_mode_32 0
		.amdhsa_float_round_mode_16_64 0
		.amdhsa_float_denorm_mode_32 3
		.amdhsa_float_denorm_mode_16_64 3
		.amdhsa_dx10_clamp 1
		.amdhsa_ieee_mode 1
		.amdhsa_fp16_overflow 0
		.amdhsa_workgroup_processor_mode 1
		.amdhsa_memory_ordered 1
		.amdhsa_forward_progress 0
		.amdhsa_shared_vgpr_count 0
		.amdhsa_exception_fp_ieee_invalid_op 0
		.amdhsa_exception_fp_denorm_src 0
		.amdhsa_exception_fp_ieee_div_zero 0
		.amdhsa_exception_fp_ieee_overflow 0
		.amdhsa_exception_fp_ieee_underflow 0
		.amdhsa_exception_fp_ieee_inexact 0
		.amdhsa_exception_int_div_zero 0
	.end_amdhsa_kernel
	.section	.text._ZN7rocprim17ROCPRIM_400000_NS6detail17trampoline_kernelINS0_14default_configENS1_35adjacent_difference_config_selectorILb1EsEEZNS1_24adjacent_difference_implIS3_Lb1ELb0EPKsPsN6thrust23THRUST_200600_302600_NS4plusIsEEEE10hipError_tPvRmT2_T3_mT4_P12ihipStream_tbEUlT_E_NS1_11comp_targetILNS1_3genE2ELNS1_11target_archE906ELNS1_3gpuE6ELNS1_3repE0EEENS1_30default_config_static_selectorELNS0_4arch9wavefront6targetE0EEEvT1_,"axG",@progbits,_ZN7rocprim17ROCPRIM_400000_NS6detail17trampoline_kernelINS0_14default_configENS1_35adjacent_difference_config_selectorILb1EsEEZNS1_24adjacent_difference_implIS3_Lb1ELb0EPKsPsN6thrust23THRUST_200600_302600_NS4plusIsEEEE10hipError_tPvRmT2_T3_mT4_P12ihipStream_tbEUlT_E_NS1_11comp_targetILNS1_3genE2ELNS1_11target_archE906ELNS1_3gpuE6ELNS1_3repE0EEENS1_30default_config_static_selectorELNS0_4arch9wavefront6targetE0EEEvT1_,comdat
.Lfunc_end770:
	.size	_ZN7rocprim17ROCPRIM_400000_NS6detail17trampoline_kernelINS0_14default_configENS1_35adjacent_difference_config_selectorILb1EsEEZNS1_24adjacent_difference_implIS3_Lb1ELb0EPKsPsN6thrust23THRUST_200600_302600_NS4plusIsEEEE10hipError_tPvRmT2_T3_mT4_P12ihipStream_tbEUlT_E_NS1_11comp_targetILNS1_3genE2ELNS1_11target_archE906ELNS1_3gpuE6ELNS1_3repE0EEENS1_30default_config_static_selectorELNS0_4arch9wavefront6targetE0EEEvT1_, .Lfunc_end770-_ZN7rocprim17ROCPRIM_400000_NS6detail17trampoline_kernelINS0_14default_configENS1_35adjacent_difference_config_selectorILb1EsEEZNS1_24adjacent_difference_implIS3_Lb1ELb0EPKsPsN6thrust23THRUST_200600_302600_NS4plusIsEEEE10hipError_tPvRmT2_T3_mT4_P12ihipStream_tbEUlT_E_NS1_11comp_targetILNS1_3genE2ELNS1_11target_archE906ELNS1_3gpuE6ELNS1_3repE0EEENS1_30default_config_static_selectorELNS0_4arch9wavefront6targetE0EEEvT1_
                                        ; -- End function
	.section	.AMDGPU.csdata,"",@progbits
; Kernel info:
; codeLenInByte = 0
; NumSgprs: 0
; NumVgprs: 0
; ScratchSize: 0
; MemoryBound: 0
; FloatMode: 240
; IeeeMode: 1
; LDSByteSize: 0 bytes/workgroup (compile time only)
; SGPRBlocks: 0
; VGPRBlocks: 0
; NumSGPRsForWavesPerEU: 1
; NumVGPRsForWavesPerEU: 1
; Occupancy: 16
; WaveLimiterHint : 0
; COMPUTE_PGM_RSRC2:SCRATCH_EN: 0
; COMPUTE_PGM_RSRC2:USER_SGPR: 15
; COMPUTE_PGM_RSRC2:TRAP_HANDLER: 0
; COMPUTE_PGM_RSRC2:TGID_X_EN: 1
; COMPUTE_PGM_RSRC2:TGID_Y_EN: 0
; COMPUTE_PGM_RSRC2:TGID_Z_EN: 0
; COMPUTE_PGM_RSRC2:TIDIG_COMP_CNT: 0
	.section	.text._ZN7rocprim17ROCPRIM_400000_NS6detail17trampoline_kernelINS0_14default_configENS1_35adjacent_difference_config_selectorILb1EsEEZNS1_24adjacent_difference_implIS3_Lb1ELb0EPKsPsN6thrust23THRUST_200600_302600_NS4plusIsEEEE10hipError_tPvRmT2_T3_mT4_P12ihipStream_tbEUlT_E_NS1_11comp_targetILNS1_3genE9ELNS1_11target_archE1100ELNS1_3gpuE3ELNS1_3repE0EEENS1_30default_config_static_selectorELNS0_4arch9wavefront6targetE0EEEvT1_,"axG",@progbits,_ZN7rocprim17ROCPRIM_400000_NS6detail17trampoline_kernelINS0_14default_configENS1_35adjacent_difference_config_selectorILb1EsEEZNS1_24adjacent_difference_implIS3_Lb1ELb0EPKsPsN6thrust23THRUST_200600_302600_NS4plusIsEEEE10hipError_tPvRmT2_T3_mT4_P12ihipStream_tbEUlT_E_NS1_11comp_targetILNS1_3genE9ELNS1_11target_archE1100ELNS1_3gpuE3ELNS1_3repE0EEENS1_30default_config_static_selectorELNS0_4arch9wavefront6targetE0EEEvT1_,comdat
	.protected	_ZN7rocprim17ROCPRIM_400000_NS6detail17trampoline_kernelINS0_14default_configENS1_35adjacent_difference_config_selectorILb1EsEEZNS1_24adjacent_difference_implIS3_Lb1ELb0EPKsPsN6thrust23THRUST_200600_302600_NS4plusIsEEEE10hipError_tPvRmT2_T3_mT4_P12ihipStream_tbEUlT_E_NS1_11comp_targetILNS1_3genE9ELNS1_11target_archE1100ELNS1_3gpuE3ELNS1_3repE0EEENS1_30default_config_static_selectorELNS0_4arch9wavefront6targetE0EEEvT1_ ; -- Begin function _ZN7rocprim17ROCPRIM_400000_NS6detail17trampoline_kernelINS0_14default_configENS1_35adjacent_difference_config_selectorILb1EsEEZNS1_24adjacent_difference_implIS3_Lb1ELb0EPKsPsN6thrust23THRUST_200600_302600_NS4plusIsEEEE10hipError_tPvRmT2_T3_mT4_P12ihipStream_tbEUlT_E_NS1_11comp_targetILNS1_3genE9ELNS1_11target_archE1100ELNS1_3gpuE3ELNS1_3repE0EEENS1_30default_config_static_selectorELNS0_4arch9wavefront6targetE0EEEvT1_
	.globl	_ZN7rocprim17ROCPRIM_400000_NS6detail17trampoline_kernelINS0_14default_configENS1_35adjacent_difference_config_selectorILb1EsEEZNS1_24adjacent_difference_implIS3_Lb1ELb0EPKsPsN6thrust23THRUST_200600_302600_NS4plusIsEEEE10hipError_tPvRmT2_T3_mT4_P12ihipStream_tbEUlT_E_NS1_11comp_targetILNS1_3genE9ELNS1_11target_archE1100ELNS1_3gpuE3ELNS1_3repE0EEENS1_30default_config_static_selectorELNS0_4arch9wavefront6targetE0EEEvT1_
	.p2align	8
	.type	_ZN7rocprim17ROCPRIM_400000_NS6detail17trampoline_kernelINS0_14default_configENS1_35adjacent_difference_config_selectorILb1EsEEZNS1_24adjacent_difference_implIS3_Lb1ELb0EPKsPsN6thrust23THRUST_200600_302600_NS4plusIsEEEE10hipError_tPvRmT2_T3_mT4_P12ihipStream_tbEUlT_E_NS1_11comp_targetILNS1_3genE9ELNS1_11target_archE1100ELNS1_3gpuE3ELNS1_3repE0EEENS1_30default_config_static_selectorELNS0_4arch9wavefront6targetE0EEEvT1_,@function
_ZN7rocprim17ROCPRIM_400000_NS6detail17trampoline_kernelINS0_14default_configENS1_35adjacent_difference_config_selectorILb1EsEEZNS1_24adjacent_difference_implIS3_Lb1ELb0EPKsPsN6thrust23THRUST_200600_302600_NS4plusIsEEEE10hipError_tPvRmT2_T3_mT4_P12ihipStream_tbEUlT_E_NS1_11comp_targetILNS1_3genE9ELNS1_11target_archE1100ELNS1_3gpuE3ELNS1_3repE0EEENS1_30default_config_static_selectorELNS0_4arch9wavefront6targetE0EEEvT1_: ; @_ZN7rocprim17ROCPRIM_400000_NS6detail17trampoline_kernelINS0_14default_configENS1_35adjacent_difference_config_selectorILb1EsEEZNS1_24adjacent_difference_implIS3_Lb1ELb0EPKsPsN6thrust23THRUST_200600_302600_NS4plusIsEEEE10hipError_tPvRmT2_T3_mT4_P12ihipStream_tbEUlT_E_NS1_11comp_targetILNS1_3genE9ELNS1_11target_archE1100ELNS1_3gpuE3ELNS1_3repE0EEENS1_30default_config_static_selectorELNS0_4arch9wavefront6targetE0EEEvT1_
; %bb.0:
	s_load_b256 s[4:11], s[0:1], 0x0
	s_mov_b32 s14, s15
	s_waitcnt lgkmcnt(0)
	s_lshl_b64 s[6:7], s[6:7], 1
	s_delay_alu instid0(SALU_CYCLE_1)
	s_add_u32 s23, s4, s6
	s_addc_u32 s24, s5, s7
	s_add_u32 s2, 0, 0x590b2000
	s_addc_u32 s3, 0, 0
	s_mul_hi_u32 s5, s2, 0xfffff480
	s_add_i32 s3, s3, 0x1642c8
	s_sub_i32 s5, s5, s2
	s_mul_i32 s13, s3, 0xfffff480
	s_mul_i32 s4, s2, 0xfffff480
	s_add_i32 s5, s5, s13
	s_mul_hi_u32 s12, s2, s4
	s_mul_i32 s16, s2, s5
	s_mul_hi_u32 s13, s2, s5
	s_mul_hi_u32 s15, s3, s4
	s_mul_i32 s4, s3, s4
	s_add_u32 s12, s12, s16
	s_addc_u32 s13, 0, s13
	s_mul_hi_u32 s17, s3, s5
	s_add_u32 s4, s12, s4
	s_mul_i32 s5, s3, s5
	s_addc_u32 s4, s13, s15
	s_addc_u32 s12, s17, 0
	s_add_u32 s4, s4, s5
	s_delay_alu instid0(SALU_CYCLE_1) | instskip(SKIP_3) | instid1(VALU_DEP_1)
	v_add_co_u32 v1, s2, s2, s4
	s_addc_u32 s4, 0, s12
	s_cmp_lg_u32 s2, 0
	s_addc_u32 s2, s3, s4
	v_readfirstlane_b32 s3, v1
	s_mul_i32 s5, s10, s2
	s_mul_hi_u32 s4, s10, s2
	s_mul_hi_u32 s12, s11, s2
	s_mul_i32 s2, s11, s2
	s_mul_hi_u32 s13, s10, s3
	s_mul_hi_u32 s15, s11, s3
	s_mul_i32 s3, s11, s3
	s_add_u32 s5, s13, s5
	s_addc_u32 s4, 0, s4
	s_add_u32 s3, s5, s3
	s_addc_u32 s3, s4, s15
	s_addc_u32 s4, s12, 0
	s_add_u32 s5, s3, s2
	s_addc_u32 s4, 0, s4
	s_mul_i32 s3, s5, 0xb80
	s_add_u32 s2, s5, 1
	v_sub_co_u32 v1, s3, s10, s3
	s_mul_hi_u32 s12, s5, 0xb80
	s_addc_u32 s13, s4, 0
	s_mul_i32 s15, s4, 0xb80
	s_delay_alu instid0(VALU_DEP_1)
	v_subrev_co_u32 v2, s16, 0xb80, v1
	s_add_u32 s17, s5, 2
	s_addc_u32 s18, s4, 0
	s_add_i32 s12, s12, s15
	s_cmp_lg_u32 s3, 0
	v_readfirstlane_b32 s3, v2
	s_subb_u32 s12, s11, s12
	s_cmp_lg_u32 s16, 0
	s_subb_u32 s15, s12, 0
	s_delay_alu instid0(VALU_DEP_1) | instskip(SKIP_4) | instid1(SALU_CYCLE_1)
	s_cmpk_gt_u32 s3, 0xb7f
	s_cselect_b32 s3, -1, 0
	s_cmp_eq_u32 s15, 0
	v_readfirstlane_b32 s15, v1
	s_cselect_b32 s3, s3, -1
	s_cmp_lg_u32 s3, 0
	s_cselect_b32 s16, s17, s2
	s_cselect_b32 s13, s18, s13
	s_cmpk_gt_u32 s15, 0xb7f
	s_cselect_b32 s2, -1, 0
	s_cmp_eq_u32 s12, 0
	s_cselect_b32 s2, s2, -1
	s_delay_alu instid0(SALU_CYCLE_1)
	s_cmp_lg_u32 s2, 0
	s_load_b128 s[0:3], s[0:1], 0x28
	s_cselect_b32 s13, s13, s4
	s_cselect_b32 s12, s16, s5
	s_mul_i32 s4, s13, 0xb80
	s_mul_hi_u32 s5, s12, 0xb80
	s_mul_i32 s15, s12, 0xb80
	s_add_i32 s5, s5, s4
	s_sub_u32 s4, s10, s15
	s_subb_u32 s5, s11, s5
	s_mov_b32 s15, 0
	s_cmp_lg_u64 s[4:5], 0
	s_mov_b32 s5, -1
	s_cselect_b32 s4, -1, 0
	s_delay_alu instid0(SALU_CYCLE_1) | instskip(NEXT) | instid1(VALU_DEP_1)
	v_cndmask_b32_e64 v1, 0, 1, s4
	v_readfirstlane_b32 s4, v1
	s_delay_alu instid0(VALU_DEP_1)
	s_add_u32 s12, s12, s4
	s_addc_u32 s13, s13, 0
	s_waitcnt lgkmcnt(0)
	s_add_u32 s16, s2, s14
	s_addc_u32 s17, s3, 0
	s_add_u32 s18, s12, -1
	s_addc_u32 s19, s13, -1
	s_mul_i32 s4, s14, 0xb80
	v_cmp_ge_u64_e64 s22, s[16:17], s[18:19]
	s_mul_i32 s11, s18, 0xfffff480
	s_delay_alu instid0(VALU_DEP_1)
	s_and_b32 vcc_lo, exec_lo, s22
	s_cbranch_vccz .LBB771_48
; %bb.1:
	s_mov_b32 s5, s15
	s_add_i32 s25, s11, s10
	s_lshl_b64 s[20:21], s[4:5], 1
	s_mov_b32 s5, exec_lo
	s_add_u32 s20, s23, s20
	s_addc_u32 s21, s24, s21
                                        ; implicit-def: $vgpr1
	v_cmpx_gt_u32_e64 s25, v0
	s_cbranch_execz .LBB771_3
; %bb.2:
	v_lshlrev_b32_e32 v1, 1, v0
	global_load_u16 v1, v1, s[20:21]
.LBB771_3:
	s_or_b32 exec_lo, exec_lo, s5
	v_or_b32_e32 v2, 0x80, v0
	s_delay_alu instid0(VALU_DEP_1)
	v_cmp_gt_u32_e32 vcc_lo, s25, v2
                                        ; implicit-def: $vgpr2
	s_and_saveexec_b32 s5, vcc_lo
	s_cbranch_execz .LBB771_5
; %bb.4:
	v_lshlrev_b32_e32 v2, 1, v0
	global_load_u16 v2, v2, s[20:21] offset:256
.LBB771_5:
	s_or_b32 exec_lo, exec_lo, s5
	v_or_b32_e32 v3, 0x100, v0
	s_delay_alu instid0(VALU_DEP_1)
	v_cmp_gt_u32_e32 vcc_lo, s25, v3
                                        ; implicit-def: $vgpr3
	s_and_saveexec_b32 s5, vcc_lo
	s_cbranch_execz .LBB771_7
; %bb.6:
	v_lshlrev_b32_e32 v3, 1, v0
	global_load_u16 v3, v3, s[20:21] offset:512
.LBB771_7:
	s_or_b32 exec_lo, exec_lo, s5
	v_or_b32_e32 v4, 0x180, v0
	s_delay_alu instid0(VALU_DEP_1)
	v_cmp_gt_u32_e32 vcc_lo, s25, v4
                                        ; implicit-def: $vgpr4
	s_and_saveexec_b32 s5, vcc_lo
	s_cbranch_execz .LBB771_9
; %bb.8:
	v_lshlrev_b32_e32 v4, 1, v0
	global_load_u16 v4, v4, s[20:21] offset:768
.LBB771_9:
	s_or_b32 exec_lo, exec_lo, s5
	v_or_b32_e32 v5, 0x200, v0
	s_delay_alu instid0(VALU_DEP_1)
	v_cmp_gt_u32_e32 vcc_lo, s25, v5
                                        ; implicit-def: $vgpr5
	s_and_saveexec_b32 s5, vcc_lo
	s_cbranch_execz .LBB771_11
; %bb.10:
	v_lshlrev_b32_e32 v5, 1, v0
	global_load_u16 v5, v5, s[20:21] offset:1024
.LBB771_11:
	s_or_b32 exec_lo, exec_lo, s5
	v_or_b32_e32 v6, 0x280, v0
	s_delay_alu instid0(VALU_DEP_1)
	v_cmp_gt_u32_e32 vcc_lo, s25, v6
                                        ; implicit-def: $vgpr6
	s_and_saveexec_b32 s5, vcc_lo
	s_cbranch_execz .LBB771_13
; %bb.12:
	v_lshlrev_b32_e32 v6, 1, v0
	global_load_u16 v6, v6, s[20:21] offset:1280
.LBB771_13:
	s_or_b32 exec_lo, exec_lo, s5
	v_or_b32_e32 v7, 0x300, v0
	s_delay_alu instid0(VALU_DEP_1)
	v_cmp_gt_u32_e32 vcc_lo, s25, v7
                                        ; implicit-def: $vgpr7
	s_and_saveexec_b32 s5, vcc_lo
	s_cbranch_execz .LBB771_15
; %bb.14:
	v_lshlrev_b32_e32 v7, 1, v0
	global_load_u16 v7, v7, s[20:21] offset:1536
.LBB771_15:
	s_or_b32 exec_lo, exec_lo, s5
	v_or_b32_e32 v8, 0x380, v0
	s_delay_alu instid0(VALU_DEP_1)
	v_cmp_gt_u32_e32 vcc_lo, s25, v8
                                        ; implicit-def: $vgpr8
	s_and_saveexec_b32 s5, vcc_lo
	s_cbranch_execz .LBB771_17
; %bb.16:
	v_lshlrev_b32_e32 v8, 1, v0
	global_load_u16 v8, v8, s[20:21] offset:1792
.LBB771_17:
	s_or_b32 exec_lo, exec_lo, s5
	v_or_b32_e32 v9, 0x400, v0
	s_delay_alu instid0(VALU_DEP_1)
	v_cmp_gt_u32_e32 vcc_lo, s25, v9
                                        ; implicit-def: $vgpr9
	s_and_saveexec_b32 s5, vcc_lo
	s_cbranch_execz .LBB771_19
; %bb.18:
	v_lshlrev_b32_e32 v9, 1, v0
	global_load_u16 v9, v9, s[20:21] offset:2048
.LBB771_19:
	s_or_b32 exec_lo, exec_lo, s5
	v_or_b32_e32 v10, 0x480, v0
	s_delay_alu instid0(VALU_DEP_1)
	v_cmp_gt_u32_e32 vcc_lo, s25, v10
                                        ; implicit-def: $vgpr10
	s_and_saveexec_b32 s5, vcc_lo
	s_cbranch_execz .LBB771_21
; %bb.20:
	v_lshlrev_b32_e32 v10, 1, v0
	global_load_u16 v10, v10, s[20:21] offset:2304
.LBB771_21:
	s_or_b32 exec_lo, exec_lo, s5
	v_or_b32_e32 v11, 0x500, v0
	s_delay_alu instid0(VALU_DEP_1)
	v_cmp_gt_u32_e32 vcc_lo, s25, v11
                                        ; implicit-def: $vgpr11
	s_and_saveexec_b32 s5, vcc_lo
	s_cbranch_execz .LBB771_23
; %bb.22:
	v_lshlrev_b32_e32 v11, 1, v0
	global_load_u16 v11, v11, s[20:21] offset:2560
.LBB771_23:
	s_or_b32 exec_lo, exec_lo, s5
	v_or_b32_e32 v12, 0x580, v0
	s_delay_alu instid0(VALU_DEP_1)
	v_cmp_gt_u32_e32 vcc_lo, s25, v12
                                        ; implicit-def: $vgpr12
	s_and_saveexec_b32 s5, vcc_lo
	s_cbranch_execz .LBB771_25
; %bb.24:
	v_lshlrev_b32_e32 v12, 1, v0
	global_load_u16 v12, v12, s[20:21] offset:2816
.LBB771_25:
	s_or_b32 exec_lo, exec_lo, s5
	v_or_b32_e32 v13, 0x600, v0
	s_delay_alu instid0(VALU_DEP_1)
	v_cmp_gt_u32_e32 vcc_lo, s25, v13
                                        ; implicit-def: $vgpr13
	s_and_saveexec_b32 s5, vcc_lo
	s_cbranch_execz .LBB771_27
; %bb.26:
	v_lshlrev_b32_e32 v13, 1, v0
	global_load_u16 v13, v13, s[20:21] offset:3072
.LBB771_27:
	s_or_b32 exec_lo, exec_lo, s5
	v_or_b32_e32 v14, 0x680, v0
	s_delay_alu instid0(VALU_DEP_1)
	v_cmp_gt_u32_e32 vcc_lo, s25, v14
                                        ; implicit-def: $vgpr14
	s_and_saveexec_b32 s5, vcc_lo
	s_cbranch_execz .LBB771_29
; %bb.28:
	v_lshlrev_b32_e32 v14, 1, v0
	global_load_u16 v14, v14, s[20:21] offset:3328
.LBB771_29:
	s_or_b32 exec_lo, exec_lo, s5
	v_or_b32_e32 v15, 0x700, v0
	s_delay_alu instid0(VALU_DEP_1)
	v_cmp_gt_u32_e32 vcc_lo, s25, v15
                                        ; implicit-def: $vgpr15
	s_and_saveexec_b32 s5, vcc_lo
	s_cbranch_execz .LBB771_31
; %bb.30:
	v_lshlrev_b32_e32 v15, 1, v0
	global_load_u16 v15, v15, s[20:21] offset:3584
.LBB771_31:
	s_or_b32 exec_lo, exec_lo, s5
	v_or_b32_e32 v16, 0x780, v0
	s_delay_alu instid0(VALU_DEP_1)
	v_cmp_gt_u32_e32 vcc_lo, s25, v16
                                        ; implicit-def: $vgpr16
	s_and_saveexec_b32 s5, vcc_lo
	s_cbranch_execz .LBB771_33
; %bb.32:
	v_lshlrev_b32_e32 v16, 1, v0
	global_load_u16 v16, v16, s[20:21] offset:3840
.LBB771_33:
	s_or_b32 exec_lo, exec_lo, s5
	v_or_b32_e32 v18, 0x800, v0
	s_mov_b32 s5, exec_lo
                                        ; implicit-def: $vgpr17
	s_delay_alu instid0(VALU_DEP_1)
	v_cmpx_gt_u32_e64 s25, v18
	s_cbranch_execz .LBB771_35
; %bb.34:
	v_lshlrev_b32_e32 v17, 1, v18
	global_load_u16 v17, v17, s[20:21]
.LBB771_35:
	s_or_b32 exec_lo, exec_lo, s5
	v_or_b32_e32 v19, 0x880, v0
	s_mov_b32 s5, exec_lo
                                        ; implicit-def: $vgpr18
	s_delay_alu instid0(VALU_DEP_1)
	v_cmpx_gt_u32_e64 s25, v19
	s_cbranch_execz .LBB771_37
; %bb.36:
	v_lshlrev_b32_e32 v18, 1, v19
	global_load_u16 v18, v18, s[20:21]
.LBB771_37:
	s_or_b32 exec_lo, exec_lo, s5
	v_or_b32_e32 v20, 0x900, v0
	s_mov_b32 s5, exec_lo
                                        ; implicit-def: $vgpr19
	s_delay_alu instid0(VALU_DEP_1)
	v_cmpx_gt_u32_e64 s25, v20
	s_cbranch_execz .LBB771_39
; %bb.38:
	v_lshlrev_b32_e32 v19, 1, v20
	global_load_u16 v19, v19, s[20:21]
.LBB771_39:
	s_or_b32 exec_lo, exec_lo, s5
	v_or_b32_e32 v21, 0x980, v0
	s_mov_b32 s5, exec_lo
                                        ; implicit-def: $vgpr20
	s_delay_alu instid0(VALU_DEP_1)
	v_cmpx_gt_u32_e64 s25, v21
	s_cbranch_execz .LBB771_41
; %bb.40:
	v_lshlrev_b32_e32 v20, 1, v21
	global_load_u16 v20, v20, s[20:21]
.LBB771_41:
	s_or_b32 exec_lo, exec_lo, s5
	v_or_b32_e32 v22, 0xa00, v0
	s_mov_b32 s5, exec_lo
                                        ; implicit-def: $vgpr21
	s_delay_alu instid0(VALU_DEP_1)
	v_cmpx_gt_u32_e64 s25, v22
	s_cbranch_execz .LBB771_43
; %bb.42:
	v_lshlrev_b32_e32 v21, 1, v22
	global_load_u16 v21, v21, s[20:21]
.LBB771_43:
	s_or_b32 exec_lo, exec_lo, s5
	v_or_b32_e32 v23, 0xa80, v0
	s_mov_b32 s5, exec_lo
                                        ; implicit-def: $vgpr22
	s_delay_alu instid0(VALU_DEP_1)
	v_cmpx_gt_u32_e64 s25, v23
	s_cbranch_execz .LBB771_45
; %bb.44:
	v_lshlrev_b32_e32 v22, 1, v23
	global_load_u16 v22, v22, s[20:21]
.LBB771_45:
	s_or_b32 exec_lo, exec_lo, s5
	v_or_b32_e32 v24, 0xb00, v0
	s_mov_b32 s5, exec_lo
                                        ; implicit-def: $vgpr23
	s_delay_alu instid0(VALU_DEP_1)
	v_cmpx_gt_u32_e64 s25, v24
	s_cbranch_execz .LBB771_47
; %bb.46:
	v_lshlrev_b32_e32 v23, 1, v24
	global_load_u16 v23, v23, s[20:21]
.LBB771_47:
	s_or_b32 exec_lo, exec_lo, s5
	v_lshlrev_b32_e32 v24, 1, v0
	s_mov_b32 s5, 0
	s_waitcnt vmcnt(0)
	ds_store_b16 v24, v1
	ds_store_b16 v24, v2 offset:256
	ds_store_b16 v24, v3 offset:512
	;; [unrolled: 1-line block ×22, first 2 shown]
	s_waitcnt lgkmcnt(0)
	s_barrier
.LBB771_48:
	v_lshlrev_b32_e32 v22, 1, v0
	s_and_b32 vcc_lo, exec_lo, s5
	s_cbranch_vccz .LBB771_50
; %bb.49:
	s_mov_b32 s5, 0
	s_delay_alu instid0(SALU_CYCLE_1) | instskip(NEXT) | instid1(SALU_CYCLE_1)
	s_lshl_b64 s[20:21], s[4:5], 1
	s_add_u32 s20, s23, s20
	s_addc_u32 s21, s24, s21
	v_add_co_u32 v1, s5, s20, v22
	s_delay_alu instid0(VALU_DEP_1)
	v_add_co_ci_u32_e64 v2, null, s21, 0, s5
	s_clause 0x8
	global_load_u16 v3, v22, s[20:21]
	global_load_u16 v4, v22, s[20:21] offset:256
	global_load_u16 v5, v22, s[20:21] offset:512
	;; [unrolled: 1-line block ×8, first 2 shown]
	v_add_co_u32 v1, vcc_lo, 0x1000, v1
	v_add_co_ci_u32_e32 v2, vcc_lo, 0, v2, vcc_lo
	s_clause 0xd
	global_load_u16 v12, v22, s[20:21] offset:2304
	global_load_u16 v13, v22, s[20:21] offset:2560
	;; [unrolled: 1-line block ×7, first 2 shown]
	global_load_u16 v19, v[1:2], off
	global_load_u16 v20, v[1:2], off offset:256
	global_load_u16 v21, v[1:2], off offset:512
	;; [unrolled: 1-line block ×6, first 2 shown]
	s_waitcnt vmcnt(22)
	ds_store_b16 v22, v3
	s_waitcnt vmcnt(21)
	ds_store_b16 v22, v4 offset:256
	s_waitcnt vmcnt(20)
	ds_store_b16 v22, v5 offset:512
	;; [unrolled: 2-line block ×22, first 2 shown]
	s_waitcnt lgkmcnt(0)
	s_barrier
.LBB771_50:
	v_mul_u32_u24_e32 v1, 23, v0
	buffer_gl0_inv
	s_cmp_eq_u64 s[16:17], 0
	v_lshlrev_b32_e32 v12, 1, v1
	ds_load_b128 v[5:8], v12
	ds_load_b128 v[1:4], v12 offset:16
	ds_load_b96 v[9:11], v12 offset:32
	ds_load_u16 v23, v12 offset:44
	s_waitcnt lgkmcnt(0)
	s_barrier
	buffer_gl0_inv
	s_cbranch_scc1 .LBB771_55
; %bb.51:
	s_lshl_b64 s[2:3], s[2:3], 1
	v_mov_b32_e32 v12, 0
	s_add_u32 s2, s0, s2
	s_addc_u32 s3, s1, s3
	s_lshl_b64 s[0:1], s[14:15], 1
	s_delay_alu instid0(SALU_CYCLE_1)
	s_add_u32 s0, s2, s0
	s_addc_u32 s1, s3, s1
	s_cmp_eq_u64 s[16:17], s[18:19]
	global_load_u16 v26, v12, s[0:1] offset:-2
	s_cbranch_scc1 .LBB771_56
; %bb.52:
	s_waitcnt vmcnt(0)
	v_mov_b32_e32 v12, v26
	s_mov_b32 s0, 0
	s_mov_b32 s1, exec_lo
	ds_store_b16 v22, v23
	s_waitcnt lgkmcnt(0)
	s_barrier
	buffer_gl0_inv
	v_cmpx_ne_u32_e32 0, v0
	s_cbranch_execz .LBB771_54
; %bb.53:
	v_add_nc_u32_e32 v12, -2, v22
	ds_load_u16 v12, v12
.LBB771_54:
	s_or_b32 exec_lo, exec_lo, s1
	s_waitcnt lgkmcnt(0)
	v_add_nc_u16 v24, v12, v5
	s_branch .LBB771_57
.LBB771_55:
                                        ; implicit-def: $vgpr25
                                        ; implicit-def: $vgpr12_vgpr13
                                        ; implicit-def: $vgpr14_vgpr15
                                        ; implicit-def: $vgpr16_vgpr17
                                        ; implicit-def: $vgpr18_vgpr19
                                        ; implicit-def: $vgpr20_vgpr21
                                        ; implicit-def: $vgpr24
	s_branch .LBB771_62
.LBB771_56:
	s_mov_b32 s0, -1
                                        ; implicit-def: $vgpr24
.LBB771_57:
	v_mov_b32_e32 v13, v10
	v_mov_b32_e32 v15, v4
	;; [unrolled: 1-line block ×4, first 2 shown]
	v_dual_mov_b32 v21, v6 :: v_dual_mov_b32 v20, v5
	v_dual_mov_b32 v25, v11 :: v_dual_mov_b32 v12, v9
	v_mov_b32_e32 v14, v3
	v_mov_b32_e32 v16, v1
	;; [unrolled: 1-line block ×3, first 2 shown]
	s_and_b32 vcc_lo, exec_lo, s0
	s_cbranch_vccz .LBB771_61
; %bb.58:
	v_mul_u32_u24_e32 v18, 23, v0
	s_mov_b32 s0, exec_lo
	ds_store_b16 v22, v23
	s_waitcnt vmcnt(0) lgkmcnt(0)
	s_barrier
	buffer_gl0_inv
	v_cmpx_ne_u32_e32 0, v0
	s_cbranch_execz .LBB771_60
; %bb.59:
	v_add_nc_u32_e32 v12, -2, v22
	ds_load_u16 v26, v12
.LBB771_60:
	s_or_b32 exec_lo, exec_lo, s0
	v_lshrrev_b32_e32 v17, 16, v10
	v_add_nc_u32_e32 v12, 21, v18
	s_mul_i32 s0, s16, 0xfffff480
	v_lshrrev_b32_e32 v14, 16, v11
	s_add_i32 s0, s0, s10
	v_add_nc_u32_e32 v15, 19, v18
	v_cmp_gt_u32_e32 vcc_lo, s0, v12
	v_add_nc_u32_e32 v13, 22, v18
	v_add_nc_u32_e32 v16, 20, v18
	v_lshrrev_b32_e32 v21, 16, v3
	v_lshrrev_b32_e32 v28, 16, v2
	v_cndmask_b32_e32 v12, 0, v11, vcc_lo
	v_cmp_gt_u32_e32 vcc_lo, s0, v13
	v_lshrrev_b32_e32 v20, 16, v4
	v_lshrrev_b32_e32 v29, 16, v1
	v_add_nc_u32_e32 v19, 14, v18
	v_add_nc_u32_e32 v24, 9, v18
	v_cndmask_b32_e32 v13, 0, v14, vcc_lo
	v_cmp_gt_u32_e32 vcc_lo, s0, v15
	v_lshrrev_b32_e32 v31, 16, v6
	v_add_nc_u32_e32 v27, 10, v18
	v_lshrrev_b32_e32 v32, 16, v5
	v_perm_b32 v25, v13, v12, 0x5040100
	v_cndmask_b32_e32 v14, 0, v10, vcc_lo
	v_cmp_gt_u32_e32 vcc_lo, s0, v16
	v_add_nc_u32_e32 v16, 17, v18
	v_add_nc_u32_e32 v12, 18, v18
	v_dual_cndmask_b32 v15, 0, v17 :: v_dual_add_nc_u32 v30, 2, v18
	s_delay_alu instid0(VALU_DEP_3) | instskip(SKIP_2) | instid1(VALU_DEP_4)
	v_cmp_gt_u32_e32 vcc_lo, s0, v16
	v_lshrrev_b32_e32 v17, 16, v9
	v_add_nc_u32_e32 v16, 16, v18
	v_perm_b32 v13, v15, v14, 0x5040100
	v_cndmask_b32_e32 v14, 0, v9, vcc_lo
	v_cmp_gt_u32_e32 vcc_lo, s0, v12
	v_dual_cndmask_b32 v12, 0, v17 :: v_dual_add_nc_u32 v15, 15, v18
	s_delay_alu instid0(VALU_DEP_1) | instskip(SKIP_1) | instid1(VALU_DEP_3)
	v_cmp_gt_u32_e32 vcc_lo, s0, v15
	v_add_nc_u32_e32 v17, 13, v18
	v_perm_b32 v12, v12, v14, 0x5040100
	v_cndmask_b32_e32 v15, 0, v4, vcc_lo
	v_cmp_gt_u32_e32 vcc_lo, s0, v16
	v_cndmask_b32_e32 v16, 0, v20, vcc_lo
	v_cmp_gt_u32_e32 vcc_lo, s0, v17
	v_add_nc_u32_e32 v20, 11, v18
	s_delay_alu instid0(VALU_DEP_3)
	v_perm_b32 v15, v16, v15, 0x5040100
	v_cndmask_b32_e32 v17, 0, v3, vcc_lo
	v_cmp_gt_u32_e32 vcc_lo, s0, v19
	v_cndmask_b32_e32 v19, 0, v21, vcc_lo
	v_add_nc_u32_e32 v21, 12, v18
	v_cmp_gt_u32_e32 vcc_lo, s0, v20
	s_delay_alu instid0(VALU_DEP_3)
	v_perm_b32 v14, v19, v17, 0x5040100
	v_add_nc_u32_e32 v19, 7, v18
	v_cndmask_b32_e32 v20, 0, v2, vcc_lo
	v_cmp_gt_u32_e32 vcc_lo, s0, v21
	v_cndmask_b32_e32 v21, 0, v28, vcc_lo
	v_cmp_gt_u32_e32 vcc_lo, s0, v24
	v_lshrrev_b32_e32 v28, 16, v7
	s_delay_alu instid0(VALU_DEP_3)
	v_perm_b32 v17, v21, v20, 0x5040100
	v_cndmask_b32_e32 v24, 0, v1, vcc_lo
	v_cmp_gt_u32_e32 vcc_lo, s0, v27
	v_add_nc_u32_e32 v20, 8, v18
	v_add_nc_u32_e32 v21, 5, v18
	v_cndmask_b32_e32 v27, 0, v29, vcc_lo
	v_cmp_gt_u32_e32 vcc_lo, s0, v19
	v_add_nc_u32_e32 v29, 1, v18
	s_delay_alu instid0(VALU_DEP_3) | instskip(SKIP_4) | instid1(VALU_DEP_4)
	v_perm_b32 v16, v27, v24, 0x5040100
	v_lshrrev_b32_e32 v27, 16, v8
	v_cndmask_b32_e32 v19, 0, v8, vcc_lo
	v_cmp_gt_u32_e32 vcc_lo, s0, v20
	v_add_nc_u32_e32 v24, 6, v18
	v_cndmask_b32_e32 v20, 0, v27, vcc_lo
	v_cmp_gt_u32_e32 vcc_lo, s0, v21
	v_add_nc_u32_e32 v27, 3, v18
	s_delay_alu instid0(VALU_DEP_3)
	v_perm_b32 v19, v20, v19, 0x5040100
	v_cndmask_b32_e32 v21, 0, v7, vcc_lo
	v_cmp_gt_u32_e32 vcc_lo, s0, v24
	v_cndmask_b32_e32 v24, 0, v28, vcc_lo
	v_add_nc_u32_e32 v28, 4, v18
	v_cmp_gt_u32_e32 vcc_lo, s0, v27
	v_cndmask_b32_e32 v27, 0, v6, vcc_lo
	s_delay_alu instid0(VALU_DEP_3)
	v_cmp_gt_u32_e32 vcc_lo, s0, v28
	v_cndmask_b32_e32 v28, 0, v31, vcc_lo
	v_cmp_gt_u32_e32 vcc_lo, s0, v29
	v_cndmask_b32_e32 v29, 0, v5, vcc_lo
	;; [unrolled: 2-line block ×3, first 2 shown]
	v_cmp_gt_u32_e32 vcc_lo, s0, v18
	v_perm_b32 v18, v24, v21, 0x5040100
	v_perm_b32 v21, v28, v27, 0x5040100
	s_delay_alu instid0(VALU_DEP_4) | instskip(SKIP_2) | instid1(VALU_DEP_1)
	v_perm_b32 v20, v30, v29, 0x5040100
	s_waitcnt lgkmcnt(0)
	v_cndmask_b32_e32 v26, 0, v26, vcc_lo
	v_add_nc_u16 v24, v26, v5
.LBB771_61:
	s_cbranch_execnz .LBB771_71
.LBB771_62:
	v_cmp_ne_u32_e32 vcc_lo, 0, v0
	s_cmp_eq_u64 s[12:13], 1
	s_cbranch_scc1 .LBB771_66
; %bb.63:
	v_mov_b32_e32 v24, v5
	s_mov_b32 s0, 0
	ds_store_b16 v22, v23
	s_waitcnt vmcnt(0) lgkmcnt(0)
	s_barrier
	buffer_gl0_inv
	s_and_saveexec_b32 s1, vcc_lo
	s_cbranch_execz .LBB771_65
; %bb.64:
	v_add_nc_u32_e32 v12, -2, v22
	ds_load_u16 v12, v12
	s_waitcnt lgkmcnt(0)
	v_add_nc_u16 v24, v12, v5
.LBB771_65:
	s_or_b32 exec_lo, exec_lo, s1
	s_branch .LBB771_67
.LBB771_66:
	s_mov_b32 s0, -1
                                        ; implicit-def: $vgpr24
.LBB771_67:
	v_mov_b32_e32 v13, v10
	v_mov_b32_e32 v15, v4
	;; [unrolled: 1-line block ×4, first 2 shown]
	v_dual_mov_b32 v21, v6 :: v_dual_mov_b32 v20, v5
	v_dual_mov_b32 v25, v11 :: v_dual_mov_b32 v12, v9
	v_mov_b32_e32 v14, v3
	v_mov_b32_e32 v16, v1
	v_mov_b32_e32 v18, v7
	s_and_not1_b32 vcc_lo, exec_lo, s0
	s_cbranch_vccnz .LBB771_71
; %bb.68:
	v_mad_u32_u24 v15, v0, 23, 19
	v_mad_u32_u24 v16, v0, 23, 20
	;; [unrolled: 1-line block ×3, first 2 shown]
	v_lshrrev_b32_e32 v19, 16, v10
	v_mad_u32_u24 v18, v0, 23, 18
	v_cmp_gt_u32_e32 vcc_lo, s10, v15
	v_mad_u32_u24 v12, v0, 23, 21
	v_lshrrev_b32_e32 v14, 16, v11
	v_lshrrev_b32_e32 v21, 16, v9
	v_mad_u32_u24 v13, v0, 23, 22
	v_cndmask_b32_e32 v15, 0, v10, vcc_lo
	v_cmp_gt_u32_e32 vcc_lo, s10, v16
	v_lshrrev_b32_e32 v24, 16, v2
	v_lshrrev_b32_e32 v30, 16, v6
	;; [unrolled: 1-line block ×3, first 2 shown]
	v_mad_u32_u24 v28, v0, 23, 1
	v_cndmask_b32_e32 v16, 0, v19, vcc_lo
	v_cmp_gt_u32_e32 vcc_lo, s10, v17
	v_mad_u32_u24 v19, v0, 23, 11
	v_mad_u32_u24 v29, v0, 23, 2
	v_lshrrev_b32_e32 v31, 16, v5
	v_mul_u32_u24_e32 v20, 23, v0
	v_cndmask_b32_e32 v17, 0, v9, vcc_lo
	v_cmp_gt_u32_e32 vcc_lo, s10, v18
	ds_store_b16 v22, v23
	s_waitcnt vmcnt(0) lgkmcnt(0)
	v_cmp_gt_u32_e64 s0, s10, v20
	s_barrier
	v_cndmask_b32_e32 v18, 0, v21, vcc_lo
	v_cmp_gt_u32_e32 vcc_lo, s10, v12
	v_mad_u32_u24 v21, v0, 23, 12
	buffer_gl0_inv
	v_cndmask_b32_e32 v25, 0, v11, vcc_lo
	v_cmp_gt_u32_e32 vcc_lo, s10, v13
	v_perm_b32 v13, v16, v15, 0x5040100
	v_mad_u32_u24 v15, v0, 23, 16
	v_mad_u32_u24 v16, v0, 23, 13
	v_cndmask_b32_e32 v26, 0, v14, vcc_lo
	v_mad_u32_u24 v14, v0, 23, 15
	v_perm_b32 v12, v18, v17, 0x5040100
	v_lshrrev_b32_e32 v17, 16, v4
	v_mad_u32_u24 v18, v0, 23, 14
	s_delay_alu instid0(VALU_DEP_4)
	v_cmp_gt_u32_e32 vcc_lo, s10, v14
	v_cndmask_b32_e32 v14, 0, v4, vcc_lo
	v_cmp_gt_u32_e32 vcc_lo, s10, v15
	v_cndmask_b32_e32 v15, 0, v17, vcc_lo
	v_cmp_gt_u32_e32 vcc_lo, s10, v16
	v_lshrrev_b32_e32 v17, 16, v3
	s_delay_alu instid0(VALU_DEP_3) | instskip(SKIP_2) | instid1(VALU_DEP_4)
	v_perm_b32 v15, v15, v14, 0x5040100
	v_cndmask_b32_e32 v16, 0, v3, vcc_lo
	v_cmp_gt_u32_e32 vcc_lo, s10, v18
	v_cndmask_b32_e32 v17, 0, v17, vcc_lo
	v_cmp_gt_u32_e32 vcc_lo, s10, v19
	s_delay_alu instid0(VALU_DEP_2)
	v_perm_b32 v14, v17, v16, 0x5040100
	v_cndmask_b32_e32 v18, 0, v2, vcc_lo
	v_cmp_gt_u32_e32 vcc_lo, s10, v21
	v_mad_u32_u24 v21, v0, 23, 9
	v_mad_u32_u24 v16, v0, 23, 10
	v_cndmask_b32_e32 v19, 0, v24, vcc_lo
	s_delay_alu instid0(VALU_DEP_3) | instskip(SKIP_2) | instid1(VALU_DEP_4)
	v_cmp_gt_u32_e32 vcc_lo, s10, v21
	v_mad_u32_u24 v21, v0, 23, 7
	v_mad_u32_u24 v24, v0, 23, 8
	v_perm_b32 v17, v19, v18, 0x5040100
	v_cndmask_b32_e32 v18, 0, v1, vcc_lo
	v_lshrrev_b32_e32 v19, 16, v1
	v_cmp_gt_u32_e32 vcc_lo, s10, v16
	s_delay_alu instid0(VALU_DEP_2)
	v_cndmask_b32_e32 v16, 0, v19, vcc_lo
	v_cmp_gt_u32_e32 vcc_lo, s10, v21
	v_cndmask_b32_e32 v19, 0, v8, vcc_lo
	v_cmp_gt_u32_e32 vcc_lo, s10, v24
	v_mad_u32_u24 v24, v0, 23, 5
	v_perm_b32 v16, v16, v18, 0x5040100
	v_mad_u32_u24 v18, v0, 23, 6
	v_cndmask_b32_e32 v21, 0, v27, vcc_lo
	s_delay_alu instid0(VALU_DEP_4) | instskip(SKIP_2) | instid1(VALU_DEP_4)
	v_cmp_gt_u32_e32 vcc_lo, s10, v24
	v_lshrrev_b32_e32 v27, 16, v7
	v_mad_u32_u24 v24, v0, 23, 3
	v_perm_b32 v19, v21, v19, 0x5040100
	v_cndmask_b32_e32 v21, 0, v7, vcc_lo
	v_cmp_gt_u32_e32 vcc_lo, s10, v18
	v_cndmask_b32_e32 v18, 0, v27, vcc_lo
	v_mad_u32_u24 v27, v0, 23, 4
	v_cmp_gt_u32_e32 vcc_lo, s10, v24
	v_cndmask_b32_e32 v24, 0, v6, vcc_lo
	s_delay_alu instid0(VALU_DEP_3)
	v_cmp_gt_u32_e32 vcc_lo, s10, v27
	v_cndmask_b32_e32 v27, 0, v30, vcc_lo
	v_cmp_gt_u32_e32 vcc_lo, s10, v28
	v_cndmask_b32_e32 v28, 0, v5, vcc_lo
	v_cmp_gt_u32_e32 vcc_lo, s10, v29
	v_perm_b32 v18, v18, v21, 0x5040100
	v_perm_b32 v21, v27, v24, 0x5040100
	v_dual_mov_b32 v24, v5 :: v_dual_cndmask_b32 v29, 0, v31
	v_cmp_ne_u32_e32 vcc_lo, 0, v0
	s_delay_alu instid0(VALU_DEP_2) | instskip(SKIP_1) | instid1(SALU_CYCLE_1)
	v_perm_b32 v20, v29, v28, 0x5040100
	s_and_b32 s1, vcc_lo, s0
	s_and_saveexec_b32 s0, s1
	s_cbranch_execz .LBB771_70
; %bb.69:
	v_add_nc_u32_e32 v24, -2, v22
	ds_load_u16 v24, v24
	s_waitcnt lgkmcnt(0)
	v_add_nc_u16 v24, v24, v5
.LBB771_70:
	s_or_b32 exec_lo, exec_lo, s0
	v_perm_b32 v25, v26, v25, 0x5040100
.LBB771_71:
	s_waitcnt vmcnt(0)
	v_alignbit_b32 v26, v7, v6, 16
	v_alignbit_b32 v5, v6, v5, 16
	;; [unrolled: 1-line block ×5, first 2 shown]
	v_pk_add_u16 v6, v21, v26
	v_alignbit_b32 v21, v3, v2, 16
	v_alignbit_b32 v3, v4, v3, 16
	v_pk_add_u16 v1, v16, v1
	v_alignbit_b32 v16, v9, v4, 16
	v_alignbit_b32 v9, v10, v9, 16
	;; [unrolled: 3-line block ×3, first 2 shown]
	v_pk_add_u16 v5, v20, v5
	v_pk_add_u16 v8, v19, v27
	;; [unrolled: 1-line block ×8, first 2 shown]
	v_mul_u32_u24_e32 v14, 46, v0
	v_mul_i32_i24_e32 v15, 0xffffffd4, v0
	s_add_u32 s0, s8, s6
	s_addc_u32 s1, s9, s7
	s_and_b32 vcc_lo, exec_lo, s22
	s_barrier
	buffer_gl0_inv
	s_cbranch_vccz .LBB771_117
; %bb.72:
	v_mad_u32_u24 v12, v0, 46, v15
	ds_store_b16 v14, v24
	ds_store_b128 v14, v[5:8] offset:2
	ds_store_b128 v14, v[1:4] offset:18
	ds_store_b96 v14, v[9:11] offset:34
	s_waitcnt lgkmcnt(0)
	s_barrier
	buffer_gl0_inv
	ds_load_u16 v39, v12 offset:256
	ds_load_u16 v38, v12 offset:512
	;; [unrolled: 1-line block ×22, first 2 shown]
	s_mov_b32 s5, 0
	s_add_i32 s11, s11, s10
	s_lshl_b64 s[2:3], s[4:5], 1
	s_delay_alu instid0(SALU_CYCLE_1) | instskip(SKIP_2) | instid1(VALU_DEP_1)
	s_add_u32 s2, s0, s2
	s_addc_u32 s3, s1, s3
	v_add_co_u32 v12, s2, s2, v22
	v_add_co_ci_u32_e64 v13, null, s3, 0, s2
	s_mov_b32 s2, exec_lo
	v_cmpx_gt_u32_e64 s11, v0
	s_cbranch_execz .LBB771_74
; %bb.73:
	v_add_nc_u32_e32 v40, v14, v15
	ds_load_u16 v40, v40
	s_waitcnt lgkmcnt(0)
	global_store_b16 v[12:13], v40, off
.LBB771_74:
	s_or_b32 exec_lo, exec_lo, s2
	v_or_b32_e32 v40, 0x80, v0
	s_mov_b32 s2, exec_lo
	s_delay_alu instid0(VALU_DEP_1)
	v_cmpx_gt_u32_e64 s11, v40
	s_cbranch_execz .LBB771_76
; %bb.75:
	s_waitcnt lgkmcnt(21)
	global_store_b16 v[12:13], v39, off offset:256
.LBB771_76:
	s_or_b32 exec_lo, exec_lo, s2
	s_waitcnt lgkmcnt(21)
	v_or_b32_e32 v39, 0x100, v0
	s_mov_b32 s2, exec_lo
	s_delay_alu instid0(VALU_DEP_1)
	v_cmpx_gt_u32_e64 s11, v39
	s_cbranch_execz .LBB771_78
; %bb.77:
	s_waitcnt lgkmcnt(20)
	global_store_b16 v[12:13], v38, off offset:512
.LBB771_78:
	s_or_b32 exec_lo, exec_lo, s2
	s_waitcnt lgkmcnt(20)
	;; [unrolled: 11-line block ×15, first 2 shown]
	v_or_b32_e32 v25, 0x800, v0
	s_mov_b32 s2, exec_lo
	s_delay_alu instid0(VALU_DEP_1)
	v_cmpx_gt_u32_e64 s11, v25
	s_cbranch_execz .LBB771_106
; %bb.105:
	v_add_co_u32 v25, vcc_lo, 0x1000, v12
	v_add_co_ci_u32_e32 v26, vcc_lo, 0, v13, vcc_lo
	s_waitcnt lgkmcnt(6)
	global_store_b16 v[25:26], v23, off
.LBB771_106:
	s_or_b32 exec_lo, exec_lo, s2
	s_waitcnt lgkmcnt(6)
	v_or_b32_e32 v23, 0x880, v0
	s_mov_b32 s2, exec_lo
	s_delay_alu instid0(VALU_DEP_1)
	v_cmpx_gt_u32_e64 s11, v23
	s_cbranch_execz .LBB771_108
; %bb.107:
	v_add_co_u32 v25, vcc_lo, 0x1000, v12
	v_add_co_ci_u32_e32 v26, vcc_lo, 0, v13, vcc_lo
	s_waitcnt lgkmcnt(5)
	global_store_b16 v[25:26], v21, off offset:256
.LBB771_108:
	s_or_b32 exec_lo, exec_lo, s2
	s_waitcnt lgkmcnt(5)
	v_or_b32_e32 v21, 0x900, v0
	s_mov_b32 s2, exec_lo
	s_delay_alu instid0(VALU_DEP_1)
	v_cmpx_gt_u32_e64 s11, v21
	s_cbranch_execz .LBB771_110
; %bb.109:
	v_add_co_u32 v25, vcc_lo, 0x1000, v12
	v_add_co_ci_u32_e32 v26, vcc_lo, 0, v13, vcc_lo
	s_waitcnt lgkmcnt(4)
	global_store_b16 v[25:26], v20, off offset:512
.LBB771_110:
	;; [unrolled: 13-line block ×5, first 2 shown]
	s_or_b32 exec_lo, exec_lo, s2
	s_waitcnt lgkmcnt(1)
	v_or_b32_e32 v17, 0xb00, v0
	s_delay_alu instid0(VALU_DEP_1)
	v_cmp_gt_u32_e64 s2, s11, v17
	s_branch .LBB771_119
.LBB771_117:
	s_mov_b32 s2, 0
                                        ; implicit-def: $vgpr16
                                        ; implicit-def: $vgpr12_vgpr13
	s_cbranch_execz .LBB771_119
; %bb.118:
	v_mad_u32_u24 v0, v0, 46, v15
	ds_store_b16 v14, v24
	ds_store_b128 v14, v[5:8] offset:2
	ds_store_b128 v14, v[1:4] offset:18
	ds_store_b96 v14, v[9:11] offset:34
	s_waitcnt lgkmcnt(0)
	s_waitcnt_vscnt null, 0x0
	s_barrier
	buffer_gl0_inv
	ds_load_u16 v2, v0
	ds_load_u16 v1, v0 offset:256
	ds_load_u16 v3, v0 offset:512
	;; [unrolled: 1-line block ×22, first 2 shown]
	s_mov_b32 s5, 0
	s_delay_alu instid0(SALU_CYCLE_1) | instskip(NEXT) | instid1(SALU_CYCLE_1)
	s_lshl_b64 s[4:5], s[4:5], 1
	s_add_u32 s0, s0, s4
	s_addc_u32 s1, s1, s5
	v_add_co_u32 v12, s3, s0, v22
	s_delay_alu instid0(VALU_DEP_1)
	v_add_co_ci_u32_e64 v13, null, s1, 0, s3
	s_waitcnt lgkmcnt(21)
	global_store_b16 v22, v1, s[0:1] offset:256
	s_waitcnt lgkmcnt(20)
	global_store_b16 v22, v3, s[0:1] offset:512
	;; [unrolled: 2-line block ×9, first 2 shown]
	v_add_co_u32 v0, vcc_lo, 0x1000, v12
	v_add_co_ci_u32_e32 v1, vcc_lo, 0, v13, vcc_lo
	s_or_b32 s2, s2, exec_lo
	s_waitcnt lgkmcnt(12)
	global_store_b16 v22, v11, s[0:1] offset:2560
	s_waitcnt lgkmcnt(11)
	global_store_b16 v22, v14, s[0:1] offset:2816
	;; [unrolled: 2-line block ×6, first 2 shown]
	s_waitcnt lgkmcnt(6)
	global_store_b16 v[0:1], v20, off
	s_waitcnt lgkmcnt(5)
	global_store_b16 v[0:1], v21, off offset:256
	s_waitcnt lgkmcnt(4)
	global_store_b16 v[0:1], v23, off offset:512
	;; [unrolled: 2-line block ×3, first 2 shown]
	s_waitcnt lgkmcnt(2)
	s_clause 0x1
	global_store_b16 v[0:1], v25, off offset:1024
	global_store_b16 v22, v2, s[0:1]
	s_waitcnt lgkmcnt(1)
	global_store_b16 v[0:1], v26, off offset:1280
.LBB771_119:
	s_delay_alu instid0(VALU_DEP_1)
	s_and_saveexec_b32 s0, s2
	s_cbranch_execnz .LBB771_121
; %bb.120:
	s_nop 0
	s_sendmsg sendmsg(MSG_DEALLOC_VGPRS)
	s_endpgm
.LBB771_121:
	v_add_co_u32 v0, vcc_lo, 0x1000, v12
	v_add_co_ci_u32_e32 v1, vcc_lo, 0, v13, vcc_lo
	s_waitcnt lgkmcnt(0)
	global_store_b16 v[0:1], v16, off offset:1536
	s_nop 0
	s_sendmsg sendmsg(MSG_DEALLOC_VGPRS)
	s_endpgm
	.section	.rodata,"a",@progbits
	.p2align	6, 0x0
	.amdhsa_kernel _ZN7rocprim17ROCPRIM_400000_NS6detail17trampoline_kernelINS0_14default_configENS1_35adjacent_difference_config_selectorILb1EsEEZNS1_24adjacent_difference_implIS3_Lb1ELb0EPKsPsN6thrust23THRUST_200600_302600_NS4plusIsEEEE10hipError_tPvRmT2_T3_mT4_P12ihipStream_tbEUlT_E_NS1_11comp_targetILNS1_3genE9ELNS1_11target_archE1100ELNS1_3gpuE3ELNS1_3repE0EEENS1_30default_config_static_selectorELNS0_4arch9wavefront6targetE0EEEvT1_
		.amdhsa_group_segment_fixed_size 5888
		.amdhsa_private_segment_fixed_size 0
		.amdhsa_kernarg_size 56
		.amdhsa_user_sgpr_count 15
		.amdhsa_user_sgpr_dispatch_ptr 0
		.amdhsa_user_sgpr_queue_ptr 0
		.amdhsa_user_sgpr_kernarg_segment_ptr 1
		.amdhsa_user_sgpr_dispatch_id 0
		.amdhsa_user_sgpr_private_segment_size 0
		.amdhsa_wavefront_size32 1
		.amdhsa_uses_dynamic_stack 0
		.amdhsa_enable_private_segment 0
		.amdhsa_system_sgpr_workgroup_id_x 1
		.amdhsa_system_sgpr_workgroup_id_y 0
		.amdhsa_system_sgpr_workgroup_id_z 0
		.amdhsa_system_sgpr_workgroup_info 0
		.amdhsa_system_vgpr_workitem_id 0
		.amdhsa_next_free_vgpr 41
		.amdhsa_next_free_sgpr 26
		.amdhsa_reserve_vcc 1
		.amdhsa_float_round_mode_32 0
		.amdhsa_float_round_mode_16_64 0
		.amdhsa_float_denorm_mode_32 3
		.amdhsa_float_denorm_mode_16_64 3
		.amdhsa_dx10_clamp 1
		.amdhsa_ieee_mode 1
		.amdhsa_fp16_overflow 0
		.amdhsa_workgroup_processor_mode 1
		.amdhsa_memory_ordered 1
		.amdhsa_forward_progress 0
		.amdhsa_shared_vgpr_count 0
		.amdhsa_exception_fp_ieee_invalid_op 0
		.amdhsa_exception_fp_denorm_src 0
		.amdhsa_exception_fp_ieee_div_zero 0
		.amdhsa_exception_fp_ieee_overflow 0
		.amdhsa_exception_fp_ieee_underflow 0
		.amdhsa_exception_fp_ieee_inexact 0
		.amdhsa_exception_int_div_zero 0
	.end_amdhsa_kernel
	.section	.text._ZN7rocprim17ROCPRIM_400000_NS6detail17trampoline_kernelINS0_14default_configENS1_35adjacent_difference_config_selectorILb1EsEEZNS1_24adjacent_difference_implIS3_Lb1ELb0EPKsPsN6thrust23THRUST_200600_302600_NS4plusIsEEEE10hipError_tPvRmT2_T3_mT4_P12ihipStream_tbEUlT_E_NS1_11comp_targetILNS1_3genE9ELNS1_11target_archE1100ELNS1_3gpuE3ELNS1_3repE0EEENS1_30default_config_static_selectorELNS0_4arch9wavefront6targetE0EEEvT1_,"axG",@progbits,_ZN7rocprim17ROCPRIM_400000_NS6detail17trampoline_kernelINS0_14default_configENS1_35adjacent_difference_config_selectorILb1EsEEZNS1_24adjacent_difference_implIS3_Lb1ELb0EPKsPsN6thrust23THRUST_200600_302600_NS4plusIsEEEE10hipError_tPvRmT2_T3_mT4_P12ihipStream_tbEUlT_E_NS1_11comp_targetILNS1_3genE9ELNS1_11target_archE1100ELNS1_3gpuE3ELNS1_3repE0EEENS1_30default_config_static_selectorELNS0_4arch9wavefront6targetE0EEEvT1_,comdat
.Lfunc_end771:
	.size	_ZN7rocprim17ROCPRIM_400000_NS6detail17trampoline_kernelINS0_14default_configENS1_35adjacent_difference_config_selectorILb1EsEEZNS1_24adjacent_difference_implIS3_Lb1ELb0EPKsPsN6thrust23THRUST_200600_302600_NS4plusIsEEEE10hipError_tPvRmT2_T3_mT4_P12ihipStream_tbEUlT_E_NS1_11comp_targetILNS1_3genE9ELNS1_11target_archE1100ELNS1_3gpuE3ELNS1_3repE0EEENS1_30default_config_static_selectorELNS0_4arch9wavefront6targetE0EEEvT1_, .Lfunc_end771-_ZN7rocprim17ROCPRIM_400000_NS6detail17trampoline_kernelINS0_14default_configENS1_35adjacent_difference_config_selectorILb1EsEEZNS1_24adjacent_difference_implIS3_Lb1ELb0EPKsPsN6thrust23THRUST_200600_302600_NS4plusIsEEEE10hipError_tPvRmT2_T3_mT4_P12ihipStream_tbEUlT_E_NS1_11comp_targetILNS1_3genE9ELNS1_11target_archE1100ELNS1_3gpuE3ELNS1_3repE0EEENS1_30default_config_static_selectorELNS0_4arch9wavefront6targetE0EEEvT1_
                                        ; -- End function
	.section	.AMDGPU.csdata,"",@progbits
; Kernel info:
; codeLenInByte = 6144
; NumSgprs: 28
; NumVgprs: 41
; ScratchSize: 0
; MemoryBound: 0
; FloatMode: 240
; IeeeMode: 1
; LDSByteSize: 5888 bytes/workgroup (compile time only)
; SGPRBlocks: 3
; VGPRBlocks: 5
; NumSGPRsForWavesPerEU: 28
; NumVGPRsForWavesPerEU: 41
; Occupancy: 16
; WaveLimiterHint : 1
; COMPUTE_PGM_RSRC2:SCRATCH_EN: 0
; COMPUTE_PGM_RSRC2:USER_SGPR: 15
; COMPUTE_PGM_RSRC2:TRAP_HANDLER: 0
; COMPUTE_PGM_RSRC2:TGID_X_EN: 1
; COMPUTE_PGM_RSRC2:TGID_Y_EN: 0
; COMPUTE_PGM_RSRC2:TGID_Z_EN: 0
; COMPUTE_PGM_RSRC2:TIDIG_COMP_CNT: 0
	.section	.text._ZN7rocprim17ROCPRIM_400000_NS6detail17trampoline_kernelINS0_14default_configENS1_35adjacent_difference_config_selectorILb1EsEEZNS1_24adjacent_difference_implIS3_Lb1ELb0EPKsPsN6thrust23THRUST_200600_302600_NS4plusIsEEEE10hipError_tPvRmT2_T3_mT4_P12ihipStream_tbEUlT_E_NS1_11comp_targetILNS1_3genE8ELNS1_11target_archE1030ELNS1_3gpuE2ELNS1_3repE0EEENS1_30default_config_static_selectorELNS0_4arch9wavefront6targetE0EEEvT1_,"axG",@progbits,_ZN7rocprim17ROCPRIM_400000_NS6detail17trampoline_kernelINS0_14default_configENS1_35adjacent_difference_config_selectorILb1EsEEZNS1_24adjacent_difference_implIS3_Lb1ELb0EPKsPsN6thrust23THRUST_200600_302600_NS4plusIsEEEE10hipError_tPvRmT2_T3_mT4_P12ihipStream_tbEUlT_E_NS1_11comp_targetILNS1_3genE8ELNS1_11target_archE1030ELNS1_3gpuE2ELNS1_3repE0EEENS1_30default_config_static_selectorELNS0_4arch9wavefront6targetE0EEEvT1_,comdat
	.protected	_ZN7rocprim17ROCPRIM_400000_NS6detail17trampoline_kernelINS0_14default_configENS1_35adjacent_difference_config_selectorILb1EsEEZNS1_24adjacent_difference_implIS3_Lb1ELb0EPKsPsN6thrust23THRUST_200600_302600_NS4plusIsEEEE10hipError_tPvRmT2_T3_mT4_P12ihipStream_tbEUlT_E_NS1_11comp_targetILNS1_3genE8ELNS1_11target_archE1030ELNS1_3gpuE2ELNS1_3repE0EEENS1_30default_config_static_selectorELNS0_4arch9wavefront6targetE0EEEvT1_ ; -- Begin function _ZN7rocprim17ROCPRIM_400000_NS6detail17trampoline_kernelINS0_14default_configENS1_35adjacent_difference_config_selectorILb1EsEEZNS1_24adjacent_difference_implIS3_Lb1ELb0EPKsPsN6thrust23THRUST_200600_302600_NS4plusIsEEEE10hipError_tPvRmT2_T3_mT4_P12ihipStream_tbEUlT_E_NS1_11comp_targetILNS1_3genE8ELNS1_11target_archE1030ELNS1_3gpuE2ELNS1_3repE0EEENS1_30default_config_static_selectorELNS0_4arch9wavefront6targetE0EEEvT1_
	.globl	_ZN7rocprim17ROCPRIM_400000_NS6detail17trampoline_kernelINS0_14default_configENS1_35adjacent_difference_config_selectorILb1EsEEZNS1_24adjacent_difference_implIS3_Lb1ELb0EPKsPsN6thrust23THRUST_200600_302600_NS4plusIsEEEE10hipError_tPvRmT2_T3_mT4_P12ihipStream_tbEUlT_E_NS1_11comp_targetILNS1_3genE8ELNS1_11target_archE1030ELNS1_3gpuE2ELNS1_3repE0EEENS1_30default_config_static_selectorELNS0_4arch9wavefront6targetE0EEEvT1_
	.p2align	8
	.type	_ZN7rocprim17ROCPRIM_400000_NS6detail17trampoline_kernelINS0_14default_configENS1_35adjacent_difference_config_selectorILb1EsEEZNS1_24adjacent_difference_implIS3_Lb1ELb0EPKsPsN6thrust23THRUST_200600_302600_NS4plusIsEEEE10hipError_tPvRmT2_T3_mT4_P12ihipStream_tbEUlT_E_NS1_11comp_targetILNS1_3genE8ELNS1_11target_archE1030ELNS1_3gpuE2ELNS1_3repE0EEENS1_30default_config_static_selectorELNS0_4arch9wavefront6targetE0EEEvT1_,@function
_ZN7rocprim17ROCPRIM_400000_NS6detail17trampoline_kernelINS0_14default_configENS1_35adjacent_difference_config_selectorILb1EsEEZNS1_24adjacent_difference_implIS3_Lb1ELb0EPKsPsN6thrust23THRUST_200600_302600_NS4plusIsEEEE10hipError_tPvRmT2_T3_mT4_P12ihipStream_tbEUlT_E_NS1_11comp_targetILNS1_3genE8ELNS1_11target_archE1030ELNS1_3gpuE2ELNS1_3repE0EEENS1_30default_config_static_selectorELNS0_4arch9wavefront6targetE0EEEvT1_: ; @_ZN7rocprim17ROCPRIM_400000_NS6detail17trampoline_kernelINS0_14default_configENS1_35adjacent_difference_config_selectorILb1EsEEZNS1_24adjacent_difference_implIS3_Lb1ELb0EPKsPsN6thrust23THRUST_200600_302600_NS4plusIsEEEE10hipError_tPvRmT2_T3_mT4_P12ihipStream_tbEUlT_E_NS1_11comp_targetILNS1_3genE8ELNS1_11target_archE1030ELNS1_3gpuE2ELNS1_3repE0EEENS1_30default_config_static_selectorELNS0_4arch9wavefront6targetE0EEEvT1_
; %bb.0:
	.section	.rodata,"a",@progbits
	.p2align	6, 0x0
	.amdhsa_kernel _ZN7rocprim17ROCPRIM_400000_NS6detail17trampoline_kernelINS0_14default_configENS1_35adjacent_difference_config_selectorILb1EsEEZNS1_24adjacent_difference_implIS3_Lb1ELb0EPKsPsN6thrust23THRUST_200600_302600_NS4plusIsEEEE10hipError_tPvRmT2_T3_mT4_P12ihipStream_tbEUlT_E_NS1_11comp_targetILNS1_3genE8ELNS1_11target_archE1030ELNS1_3gpuE2ELNS1_3repE0EEENS1_30default_config_static_selectorELNS0_4arch9wavefront6targetE0EEEvT1_
		.amdhsa_group_segment_fixed_size 0
		.amdhsa_private_segment_fixed_size 0
		.amdhsa_kernarg_size 56
		.amdhsa_user_sgpr_count 15
		.amdhsa_user_sgpr_dispatch_ptr 0
		.amdhsa_user_sgpr_queue_ptr 0
		.amdhsa_user_sgpr_kernarg_segment_ptr 1
		.amdhsa_user_sgpr_dispatch_id 0
		.amdhsa_user_sgpr_private_segment_size 0
		.amdhsa_wavefront_size32 1
		.amdhsa_uses_dynamic_stack 0
		.amdhsa_enable_private_segment 0
		.amdhsa_system_sgpr_workgroup_id_x 1
		.amdhsa_system_sgpr_workgroup_id_y 0
		.amdhsa_system_sgpr_workgroup_id_z 0
		.amdhsa_system_sgpr_workgroup_info 0
		.amdhsa_system_vgpr_workitem_id 0
		.amdhsa_next_free_vgpr 1
		.amdhsa_next_free_sgpr 1
		.amdhsa_reserve_vcc 0
		.amdhsa_float_round_mode_32 0
		.amdhsa_float_round_mode_16_64 0
		.amdhsa_float_denorm_mode_32 3
		.amdhsa_float_denorm_mode_16_64 3
		.amdhsa_dx10_clamp 1
		.amdhsa_ieee_mode 1
		.amdhsa_fp16_overflow 0
		.amdhsa_workgroup_processor_mode 1
		.amdhsa_memory_ordered 1
		.amdhsa_forward_progress 0
		.amdhsa_shared_vgpr_count 0
		.amdhsa_exception_fp_ieee_invalid_op 0
		.amdhsa_exception_fp_denorm_src 0
		.amdhsa_exception_fp_ieee_div_zero 0
		.amdhsa_exception_fp_ieee_overflow 0
		.amdhsa_exception_fp_ieee_underflow 0
		.amdhsa_exception_fp_ieee_inexact 0
		.amdhsa_exception_int_div_zero 0
	.end_amdhsa_kernel
	.section	.text._ZN7rocprim17ROCPRIM_400000_NS6detail17trampoline_kernelINS0_14default_configENS1_35adjacent_difference_config_selectorILb1EsEEZNS1_24adjacent_difference_implIS3_Lb1ELb0EPKsPsN6thrust23THRUST_200600_302600_NS4plusIsEEEE10hipError_tPvRmT2_T3_mT4_P12ihipStream_tbEUlT_E_NS1_11comp_targetILNS1_3genE8ELNS1_11target_archE1030ELNS1_3gpuE2ELNS1_3repE0EEENS1_30default_config_static_selectorELNS0_4arch9wavefront6targetE0EEEvT1_,"axG",@progbits,_ZN7rocprim17ROCPRIM_400000_NS6detail17trampoline_kernelINS0_14default_configENS1_35adjacent_difference_config_selectorILb1EsEEZNS1_24adjacent_difference_implIS3_Lb1ELb0EPKsPsN6thrust23THRUST_200600_302600_NS4plusIsEEEE10hipError_tPvRmT2_T3_mT4_P12ihipStream_tbEUlT_E_NS1_11comp_targetILNS1_3genE8ELNS1_11target_archE1030ELNS1_3gpuE2ELNS1_3repE0EEENS1_30default_config_static_selectorELNS0_4arch9wavefront6targetE0EEEvT1_,comdat
.Lfunc_end772:
	.size	_ZN7rocprim17ROCPRIM_400000_NS6detail17trampoline_kernelINS0_14default_configENS1_35adjacent_difference_config_selectorILb1EsEEZNS1_24adjacent_difference_implIS3_Lb1ELb0EPKsPsN6thrust23THRUST_200600_302600_NS4plusIsEEEE10hipError_tPvRmT2_T3_mT4_P12ihipStream_tbEUlT_E_NS1_11comp_targetILNS1_3genE8ELNS1_11target_archE1030ELNS1_3gpuE2ELNS1_3repE0EEENS1_30default_config_static_selectorELNS0_4arch9wavefront6targetE0EEEvT1_, .Lfunc_end772-_ZN7rocprim17ROCPRIM_400000_NS6detail17trampoline_kernelINS0_14default_configENS1_35adjacent_difference_config_selectorILb1EsEEZNS1_24adjacent_difference_implIS3_Lb1ELb0EPKsPsN6thrust23THRUST_200600_302600_NS4plusIsEEEE10hipError_tPvRmT2_T3_mT4_P12ihipStream_tbEUlT_E_NS1_11comp_targetILNS1_3genE8ELNS1_11target_archE1030ELNS1_3gpuE2ELNS1_3repE0EEENS1_30default_config_static_selectorELNS0_4arch9wavefront6targetE0EEEvT1_
                                        ; -- End function
	.section	.AMDGPU.csdata,"",@progbits
; Kernel info:
; codeLenInByte = 0
; NumSgprs: 0
; NumVgprs: 0
; ScratchSize: 0
; MemoryBound: 0
; FloatMode: 240
; IeeeMode: 1
; LDSByteSize: 0 bytes/workgroup (compile time only)
; SGPRBlocks: 0
; VGPRBlocks: 0
; NumSGPRsForWavesPerEU: 1
; NumVGPRsForWavesPerEU: 1
; Occupancy: 16
; WaveLimiterHint : 0
; COMPUTE_PGM_RSRC2:SCRATCH_EN: 0
; COMPUTE_PGM_RSRC2:USER_SGPR: 15
; COMPUTE_PGM_RSRC2:TRAP_HANDLER: 0
; COMPUTE_PGM_RSRC2:TGID_X_EN: 1
; COMPUTE_PGM_RSRC2:TGID_Y_EN: 0
; COMPUTE_PGM_RSRC2:TGID_Z_EN: 0
; COMPUTE_PGM_RSRC2:TIDIG_COMP_CNT: 0
	.section	.text._ZN7rocprim17ROCPRIM_400000_NS6detail17trampoline_kernelINS0_14default_configENS1_25transform_config_selectorIdLb0EEEZNS1_14transform_implILb0ES3_S5_NS0_18transform_iteratorINS0_17counting_iteratorImlEEZNS1_24adjacent_difference_implIS3_Lb1ELb0EPdN6thrust23THRUST_200600_302600_NS16discard_iteratorINSD_11use_defaultEEENSD_5minusIdEEEE10hipError_tPvRmT2_T3_mT4_P12ihipStream_tbEUlmE_dEESB_NS0_8identityIvEEEESJ_SM_SN_mSO_SQ_bEUlT_E_NS1_11comp_targetILNS1_3genE0ELNS1_11target_archE4294967295ELNS1_3gpuE0ELNS1_3repE0EEENS1_30default_config_static_selectorELNS0_4arch9wavefront6targetE0EEEvT1_,"axG",@progbits,_ZN7rocprim17ROCPRIM_400000_NS6detail17trampoline_kernelINS0_14default_configENS1_25transform_config_selectorIdLb0EEEZNS1_14transform_implILb0ES3_S5_NS0_18transform_iteratorINS0_17counting_iteratorImlEEZNS1_24adjacent_difference_implIS3_Lb1ELb0EPdN6thrust23THRUST_200600_302600_NS16discard_iteratorINSD_11use_defaultEEENSD_5minusIdEEEE10hipError_tPvRmT2_T3_mT4_P12ihipStream_tbEUlmE_dEESB_NS0_8identityIvEEEESJ_SM_SN_mSO_SQ_bEUlT_E_NS1_11comp_targetILNS1_3genE0ELNS1_11target_archE4294967295ELNS1_3gpuE0ELNS1_3repE0EEENS1_30default_config_static_selectorELNS0_4arch9wavefront6targetE0EEEvT1_,comdat
	.protected	_ZN7rocprim17ROCPRIM_400000_NS6detail17trampoline_kernelINS0_14default_configENS1_25transform_config_selectorIdLb0EEEZNS1_14transform_implILb0ES3_S5_NS0_18transform_iteratorINS0_17counting_iteratorImlEEZNS1_24adjacent_difference_implIS3_Lb1ELb0EPdN6thrust23THRUST_200600_302600_NS16discard_iteratorINSD_11use_defaultEEENSD_5minusIdEEEE10hipError_tPvRmT2_T3_mT4_P12ihipStream_tbEUlmE_dEESB_NS0_8identityIvEEEESJ_SM_SN_mSO_SQ_bEUlT_E_NS1_11comp_targetILNS1_3genE0ELNS1_11target_archE4294967295ELNS1_3gpuE0ELNS1_3repE0EEENS1_30default_config_static_selectorELNS0_4arch9wavefront6targetE0EEEvT1_ ; -- Begin function _ZN7rocprim17ROCPRIM_400000_NS6detail17trampoline_kernelINS0_14default_configENS1_25transform_config_selectorIdLb0EEEZNS1_14transform_implILb0ES3_S5_NS0_18transform_iteratorINS0_17counting_iteratorImlEEZNS1_24adjacent_difference_implIS3_Lb1ELb0EPdN6thrust23THRUST_200600_302600_NS16discard_iteratorINSD_11use_defaultEEENSD_5minusIdEEEE10hipError_tPvRmT2_T3_mT4_P12ihipStream_tbEUlmE_dEESB_NS0_8identityIvEEEESJ_SM_SN_mSO_SQ_bEUlT_E_NS1_11comp_targetILNS1_3genE0ELNS1_11target_archE4294967295ELNS1_3gpuE0ELNS1_3repE0EEENS1_30default_config_static_selectorELNS0_4arch9wavefront6targetE0EEEvT1_
	.globl	_ZN7rocprim17ROCPRIM_400000_NS6detail17trampoline_kernelINS0_14default_configENS1_25transform_config_selectorIdLb0EEEZNS1_14transform_implILb0ES3_S5_NS0_18transform_iteratorINS0_17counting_iteratorImlEEZNS1_24adjacent_difference_implIS3_Lb1ELb0EPdN6thrust23THRUST_200600_302600_NS16discard_iteratorINSD_11use_defaultEEENSD_5minusIdEEEE10hipError_tPvRmT2_T3_mT4_P12ihipStream_tbEUlmE_dEESB_NS0_8identityIvEEEESJ_SM_SN_mSO_SQ_bEUlT_E_NS1_11comp_targetILNS1_3genE0ELNS1_11target_archE4294967295ELNS1_3gpuE0ELNS1_3repE0EEENS1_30default_config_static_selectorELNS0_4arch9wavefront6targetE0EEEvT1_
	.p2align	8
	.type	_ZN7rocprim17ROCPRIM_400000_NS6detail17trampoline_kernelINS0_14default_configENS1_25transform_config_selectorIdLb0EEEZNS1_14transform_implILb0ES3_S5_NS0_18transform_iteratorINS0_17counting_iteratorImlEEZNS1_24adjacent_difference_implIS3_Lb1ELb0EPdN6thrust23THRUST_200600_302600_NS16discard_iteratorINSD_11use_defaultEEENSD_5minusIdEEEE10hipError_tPvRmT2_T3_mT4_P12ihipStream_tbEUlmE_dEESB_NS0_8identityIvEEEESJ_SM_SN_mSO_SQ_bEUlT_E_NS1_11comp_targetILNS1_3genE0ELNS1_11target_archE4294967295ELNS1_3gpuE0ELNS1_3repE0EEENS1_30default_config_static_selectorELNS0_4arch9wavefront6targetE0EEEvT1_,@function
_ZN7rocprim17ROCPRIM_400000_NS6detail17trampoline_kernelINS0_14default_configENS1_25transform_config_selectorIdLb0EEEZNS1_14transform_implILb0ES3_S5_NS0_18transform_iteratorINS0_17counting_iteratorImlEEZNS1_24adjacent_difference_implIS3_Lb1ELb0EPdN6thrust23THRUST_200600_302600_NS16discard_iteratorINSD_11use_defaultEEENSD_5minusIdEEEE10hipError_tPvRmT2_T3_mT4_P12ihipStream_tbEUlmE_dEESB_NS0_8identityIvEEEESJ_SM_SN_mSO_SQ_bEUlT_E_NS1_11comp_targetILNS1_3genE0ELNS1_11target_archE4294967295ELNS1_3gpuE0ELNS1_3repE0EEENS1_30default_config_static_selectorELNS0_4arch9wavefront6targetE0EEEvT1_: ; @_ZN7rocprim17ROCPRIM_400000_NS6detail17trampoline_kernelINS0_14default_configENS1_25transform_config_selectorIdLb0EEEZNS1_14transform_implILb0ES3_S5_NS0_18transform_iteratorINS0_17counting_iteratorImlEEZNS1_24adjacent_difference_implIS3_Lb1ELb0EPdN6thrust23THRUST_200600_302600_NS16discard_iteratorINSD_11use_defaultEEENSD_5minusIdEEEE10hipError_tPvRmT2_T3_mT4_P12ihipStream_tbEUlmE_dEESB_NS0_8identityIvEEEESJ_SM_SN_mSO_SQ_bEUlT_E_NS1_11comp_targetILNS1_3genE0ELNS1_11target_archE4294967295ELNS1_3gpuE0ELNS1_3repE0EEENS1_30default_config_static_selectorELNS0_4arch9wavefront6targetE0EEEvT1_
; %bb.0:
	.section	.rodata,"a",@progbits
	.p2align	6, 0x0
	.amdhsa_kernel _ZN7rocprim17ROCPRIM_400000_NS6detail17trampoline_kernelINS0_14default_configENS1_25transform_config_selectorIdLb0EEEZNS1_14transform_implILb0ES3_S5_NS0_18transform_iteratorINS0_17counting_iteratorImlEEZNS1_24adjacent_difference_implIS3_Lb1ELb0EPdN6thrust23THRUST_200600_302600_NS16discard_iteratorINSD_11use_defaultEEENSD_5minusIdEEEE10hipError_tPvRmT2_T3_mT4_P12ihipStream_tbEUlmE_dEESB_NS0_8identityIvEEEESJ_SM_SN_mSO_SQ_bEUlT_E_NS1_11comp_targetILNS1_3genE0ELNS1_11target_archE4294967295ELNS1_3gpuE0ELNS1_3repE0EEENS1_30default_config_static_selectorELNS0_4arch9wavefront6targetE0EEEvT1_
		.amdhsa_group_segment_fixed_size 0
		.amdhsa_private_segment_fixed_size 0
		.amdhsa_kernarg_size 56
		.amdhsa_user_sgpr_count 15
		.amdhsa_user_sgpr_dispatch_ptr 0
		.amdhsa_user_sgpr_queue_ptr 0
		.amdhsa_user_sgpr_kernarg_segment_ptr 1
		.amdhsa_user_sgpr_dispatch_id 0
		.amdhsa_user_sgpr_private_segment_size 0
		.amdhsa_wavefront_size32 1
		.amdhsa_uses_dynamic_stack 0
		.amdhsa_enable_private_segment 0
		.amdhsa_system_sgpr_workgroup_id_x 1
		.amdhsa_system_sgpr_workgroup_id_y 0
		.amdhsa_system_sgpr_workgroup_id_z 0
		.amdhsa_system_sgpr_workgroup_info 0
		.amdhsa_system_vgpr_workitem_id 0
		.amdhsa_next_free_vgpr 1
		.amdhsa_next_free_sgpr 1
		.amdhsa_reserve_vcc 0
		.amdhsa_float_round_mode_32 0
		.amdhsa_float_round_mode_16_64 0
		.amdhsa_float_denorm_mode_32 3
		.amdhsa_float_denorm_mode_16_64 3
		.amdhsa_dx10_clamp 1
		.amdhsa_ieee_mode 1
		.amdhsa_fp16_overflow 0
		.amdhsa_workgroup_processor_mode 1
		.amdhsa_memory_ordered 1
		.amdhsa_forward_progress 0
		.amdhsa_shared_vgpr_count 0
		.amdhsa_exception_fp_ieee_invalid_op 0
		.amdhsa_exception_fp_denorm_src 0
		.amdhsa_exception_fp_ieee_div_zero 0
		.amdhsa_exception_fp_ieee_overflow 0
		.amdhsa_exception_fp_ieee_underflow 0
		.amdhsa_exception_fp_ieee_inexact 0
		.amdhsa_exception_int_div_zero 0
	.end_amdhsa_kernel
	.section	.text._ZN7rocprim17ROCPRIM_400000_NS6detail17trampoline_kernelINS0_14default_configENS1_25transform_config_selectorIdLb0EEEZNS1_14transform_implILb0ES3_S5_NS0_18transform_iteratorINS0_17counting_iteratorImlEEZNS1_24adjacent_difference_implIS3_Lb1ELb0EPdN6thrust23THRUST_200600_302600_NS16discard_iteratorINSD_11use_defaultEEENSD_5minusIdEEEE10hipError_tPvRmT2_T3_mT4_P12ihipStream_tbEUlmE_dEESB_NS0_8identityIvEEEESJ_SM_SN_mSO_SQ_bEUlT_E_NS1_11comp_targetILNS1_3genE0ELNS1_11target_archE4294967295ELNS1_3gpuE0ELNS1_3repE0EEENS1_30default_config_static_selectorELNS0_4arch9wavefront6targetE0EEEvT1_,"axG",@progbits,_ZN7rocprim17ROCPRIM_400000_NS6detail17trampoline_kernelINS0_14default_configENS1_25transform_config_selectorIdLb0EEEZNS1_14transform_implILb0ES3_S5_NS0_18transform_iteratorINS0_17counting_iteratorImlEEZNS1_24adjacent_difference_implIS3_Lb1ELb0EPdN6thrust23THRUST_200600_302600_NS16discard_iteratorINSD_11use_defaultEEENSD_5minusIdEEEE10hipError_tPvRmT2_T3_mT4_P12ihipStream_tbEUlmE_dEESB_NS0_8identityIvEEEESJ_SM_SN_mSO_SQ_bEUlT_E_NS1_11comp_targetILNS1_3genE0ELNS1_11target_archE4294967295ELNS1_3gpuE0ELNS1_3repE0EEENS1_30default_config_static_selectorELNS0_4arch9wavefront6targetE0EEEvT1_,comdat
.Lfunc_end773:
	.size	_ZN7rocprim17ROCPRIM_400000_NS6detail17trampoline_kernelINS0_14default_configENS1_25transform_config_selectorIdLb0EEEZNS1_14transform_implILb0ES3_S5_NS0_18transform_iteratorINS0_17counting_iteratorImlEEZNS1_24adjacent_difference_implIS3_Lb1ELb0EPdN6thrust23THRUST_200600_302600_NS16discard_iteratorINSD_11use_defaultEEENSD_5minusIdEEEE10hipError_tPvRmT2_T3_mT4_P12ihipStream_tbEUlmE_dEESB_NS0_8identityIvEEEESJ_SM_SN_mSO_SQ_bEUlT_E_NS1_11comp_targetILNS1_3genE0ELNS1_11target_archE4294967295ELNS1_3gpuE0ELNS1_3repE0EEENS1_30default_config_static_selectorELNS0_4arch9wavefront6targetE0EEEvT1_, .Lfunc_end773-_ZN7rocprim17ROCPRIM_400000_NS6detail17trampoline_kernelINS0_14default_configENS1_25transform_config_selectorIdLb0EEEZNS1_14transform_implILb0ES3_S5_NS0_18transform_iteratorINS0_17counting_iteratorImlEEZNS1_24adjacent_difference_implIS3_Lb1ELb0EPdN6thrust23THRUST_200600_302600_NS16discard_iteratorINSD_11use_defaultEEENSD_5minusIdEEEE10hipError_tPvRmT2_T3_mT4_P12ihipStream_tbEUlmE_dEESB_NS0_8identityIvEEEESJ_SM_SN_mSO_SQ_bEUlT_E_NS1_11comp_targetILNS1_3genE0ELNS1_11target_archE4294967295ELNS1_3gpuE0ELNS1_3repE0EEENS1_30default_config_static_selectorELNS0_4arch9wavefront6targetE0EEEvT1_
                                        ; -- End function
	.section	.AMDGPU.csdata,"",@progbits
; Kernel info:
; codeLenInByte = 0
; NumSgprs: 0
; NumVgprs: 0
; ScratchSize: 0
; MemoryBound: 0
; FloatMode: 240
; IeeeMode: 1
; LDSByteSize: 0 bytes/workgroup (compile time only)
; SGPRBlocks: 0
; VGPRBlocks: 0
; NumSGPRsForWavesPerEU: 1
; NumVGPRsForWavesPerEU: 1
; Occupancy: 16
; WaveLimiterHint : 0
; COMPUTE_PGM_RSRC2:SCRATCH_EN: 0
; COMPUTE_PGM_RSRC2:USER_SGPR: 15
; COMPUTE_PGM_RSRC2:TRAP_HANDLER: 0
; COMPUTE_PGM_RSRC2:TGID_X_EN: 1
; COMPUTE_PGM_RSRC2:TGID_Y_EN: 0
; COMPUTE_PGM_RSRC2:TGID_Z_EN: 0
; COMPUTE_PGM_RSRC2:TIDIG_COMP_CNT: 0
	.section	.text._ZN7rocprim17ROCPRIM_400000_NS6detail17trampoline_kernelINS0_14default_configENS1_25transform_config_selectorIdLb0EEEZNS1_14transform_implILb0ES3_S5_NS0_18transform_iteratorINS0_17counting_iteratorImlEEZNS1_24adjacent_difference_implIS3_Lb1ELb0EPdN6thrust23THRUST_200600_302600_NS16discard_iteratorINSD_11use_defaultEEENSD_5minusIdEEEE10hipError_tPvRmT2_T3_mT4_P12ihipStream_tbEUlmE_dEESB_NS0_8identityIvEEEESJ_SM_SN_mSO_SQ_bEUlT_E_NS1_11comp_targetILNS1_3genE5ELNS1_11target_archE942ELNS1_3gpuE9ELNS1_3repE0EEENS1_30default_config_static_selectorELNS0_4arch9wavefront6targetE0EEEvT1_,"axG",@progbits,_ZN7rocprim17ROCPRIM_400000_NS6detail17trampoline_kernelINS0_14default_configENS1_25transform_config_selectorIdLb0EEEZNS1_14transform_implILb0ES3_S5_NS0_18transform_iteratorINS0_17counting_iteratorImlEEZNS1_24adjacent_difference_implIS3_Lb1ELb0EPdN6thrust23THRUST_200600_302600_NS16discard_iteratorINSD_11use_defaultEEENSD_5minusIdEEEE10hipError_tPvRmT2_T3_mT4_P12ihipStream_tbEUlmE_dEESB_NS0_8identityIvEEEESJ_SM_SN_mSO_SQ_bEUlT_E_NS1_11comp_targetILNS1_3genE5ELNS1_11target_archE942ELNS1_3gpuE9ELNS1_3repE0EEENS1_30default_config_static_selectorELNS0_4arch9wavefront6targetE0EEEvT1_,comdat
	.protected	_ZN7rocprim17ROCPRIM_400000_NS6detail17trampoline_kernelINS0_14default_configENS1_25transform_config_selectorIdLb0EEEZNS1_14transform_implILb0ES3_S5_NS0_18transform_iteratorINS0_17counting_iteratorImlEEZNS1_24adjacent_difference_implIS3_Lb1ELb0EPdN6thrust23THRUST_200600_302600_NS16discard_iteratorINSD_11use_defaultEEENSD_5minusIdEEEE10hipError_tPvRmT2_T3_mT4_P12ihipStream_tbEUlmE_dEESB_NS0_8identityIvEEEESJ_SM_SN_mSO_SQ_bEUlT_E_NS1_11comp_targetILNS1_3genE5ELNS1_11target_archE942ELNS1_3gpuE9ELNS1_3repE0EEENS1_30default_config_static_selectorELNS0_4arch9wavefront6targetE0EEEvT1_ ; -- Begin function _ZN7rocprim17ROCPRIM_400000_NS6detail17trampoline_kernelINS0_14default_configENS1_25transform_config_selectorIdLb0EEEZNS1_14transform_implILb0ES3_S5_NS0_18transform_iteratorINS0_17counting_iteratorImlEEZNS1_24adjacent_difference_implIS3_Lb1ELb0EPdN6thrust23THRUST_200600_302600_NS16discard_iteratorINSD_11use_defaultEEENSD_5minusIdEEEE10hipError_tPvRmT2_T3_mT4_P12ihipStream_tbEUlmE_dEESB_NS0_8identityIvEEEESJ_SM_SN_mSO_SQ_bEUlT_E_NS1_11comp_targetILNS1_3genE5ELNS1_11target_archE942ELNS1_3gpuE9ELNS1_3repE0EEENS1_30default_config_static_selectorELNS0_4arch9wavefront6targetE0EEEvT1_
	.globl	_ZN7rocprim17ROCPRIM_400000_NS6detail17trampoline_kernelINS0_14default_configENS1_25transform_config_selectorIdLb0EEEZNS1_14transform_implILb0ES3_S5_NS0_18transform_iteratorINS0_17counting_iteratorImlEEZNS1_24adjacent_difference_implIS3_Lb1ELb0EPdN6thrust23THRUST_200600_302600_NS16discard_iteratorINSD_11use_defaultEEENSD_5minusIdEEEE10hipError_tPvRmT2_T3_mT4_P12ihipStream_tbEUlmE_dEESB_NS0_8identityIvEEEESJ_SM_SN_mSO_SQ_bEUlT_E_NS1_11comp_targetILNS1_3genE5ELNS1_11target_archE942ELNS1_3gpuE9ELNS1_3repE0EEENS1_30default_config_static_selectorELNS0_4arch9wavefront6targetE0EEEvT1_
	.p2align	8
	.type	_ZN7rocprim17ROCPRIM_400000_NS6detail17trampoline_kernelINS0_14default_configENS1_25transform_config_selectorIdLb0EEEZNS1_14transform_implILb0ES3_S5_NS0_18transform_iteratorINS0_17counting_iteratorImlEEZNS1_24adjacent_difference_implIS3_Lb1ELb0EPdN6thrust23THRUST_200600_302600_NS16discard_iteratorINSD_11use_defaultEEENSD_5minusIdEEEE10hipError_tPvRmT2_T3_mT4_P12ihipStream_tbEUlmE_dEESB_NS0_8identityIvEEEESJ_SM_SN_mSO_SQ_bEUlT_E_NS1_11comp_targetILNS1_3genE5ELNS1_11target_archE942ELNS1_3gpuE9ELNS1_3repE0EEENS1_30default_config_static_selectorELNS0_4arch9wavefront6targetE0EEEvT1_,@function
_ZN7rocprim17ROCPRIM_400000_NS6detail17trampoline_kernelINS0_14default_configENS1_25transform_config_selectorIdLb0EEEZNS1_14transform_implILb0ES3_S5_NS0_18transform_iteratorINS0_17counting_iteratorImlEEZNS1_24adjacent_difference_implIS3_Lb1ELb0EPdN6thrust23THRUST_200600_302600_NS16discard_iteratorINSD_11use_defaultEEENSD_5minusIdEEEE10hipError_tPvRmT2_T3_mT4_P12ihipStream_tbEUlmE_dEESB_NS0_8identityIvEEEESJ_SM_SN_mSO_SQ_bEUlT_E_NS1_11comp_targetILNS1_3genE5ELNS1_11target_archE942ELNS1_3gpuE9ELNS1_3repE0EEENS1_30default_config_static_selectorELNS0_4arch9wavefront6targetE0EEEvT1_: ; @_ZN7rocprim17ROCPRIM_400000_NS6detail17trampoline_kernelINS0_14default_configENS1_25transform_config_selectorIdLb0EEEZNS1_14transform_implILb0ES3_S5_NS0_18transform_iteratorINS0_17counting_iteratorImlEEZNS1_24adjacent_difference_implIS3_Lb1ELb0EPdN6thrust23THRUST_200600_302600_NS16discard_iteratorINSD_11use_defaultEEENSD_5minusIdEEEE10hipError_tPvRmT2_T3_mT4_P12ihipStream_tbEUlmE_dEESB_NS0_8identityIvEEEESJ_SM_SN_mSO_SQ_bEUlT_E_NS1_11comp_targetILNS1_3genE5ELNS1_11target_archE942ELNS1_3gpuE9ELNS1_3repE0EEENS1_30default_config_static_selectorELNS0_4arch9wavefront6targetE0EEEvT1_
; %bb.0:
	.section	.rodata,"a",@progbits
	.p2align	6, 0x0
	.amdhsa_kernel _ZN7rocprim17ROCPRIM_400000_NS6detail17trampoline_kernelINS0_14default_configENS1_25transform_config_selectorIdLb0EEEZNS1_14transform_implILb0ES3_S5_NS0_18transform_iteratorINS0_17counting_iteratorImlEEZNS1_24adjacent_difference_implIS3_Lb1ELb0EPdN6thrust23THRUST_200600_302600_NS16discard_iteratorINSD_11use_defaultEEENSD_5minusIdEEEE10hipError_tPvRmT2_T3_mT4_P12ihipStream_tbEUlmE_dEESB_NS0_8identityIvEEEESJ_SM_SN_mSO_SQ_bEUlT_E_NS1_11comp_targetILNS1_3genE5ELNS1_11target_archE942ELNS1_3gpuE9ELNS1_3repE0EEENS1_30default_config_static_selectorELNS0_4arch9wavefront6targetE0EEEvT1_
		.amdhsa_group_segment_fixed_size 0
		.amdhsa_private_segment_fixed_size 0
		.amdhsa_kernarg_size 56
		.amdhsa_user_sgpr_count 15
		.amdhsa_user_sgpr_dispatch_ptr 0
		.amdhsa_user_sgpr_queue_ptr 0
		.amdhsa_user_sgpr_kernarg_segment_ptr 1
		.amdhsa_user_sgpr_dispatch_id 0
		.amdhsa_user_sgpr_private_segment_size 0
		.amdhsa_wavefront_size32 1
		.amdhsa_uses_dynamic_stack 0
		.amdhsa_enable_private_segment 0
		.amdhsa_system_sgpr_workgroup_id_x 1
		.amdhsa_system_sgpr_workgroup_id_y 0
		.amdhsa_system_sgpr_workgroup_id_z 0
		.amdhsa_system_sgpr_workgroup_info 0
		.amdhsa_system_vgpr_workitem_id 0
		.amdhsa_next_free_vgpr 1
		.amdhsa_next_free_sgpr 1
		.amdhsa_reserve_vcc 0
		.amdhsa_float_round_mode_32 0
		.amdhsa_float_round_mode_16_64 0
		.amdhsa_float_denorm_mode_32 3
		.amdhsa_float_denorm_mode_16_64 3
		.amdhsa_dx10_clamp 1
		.amdhsa_ieee_mode 1
		.amdhsa_fp16_overflow 0
		.amdhsa_workgroup_processor_mode 1
		.amdhsa_memory_ordered 1
		.amdhsa_forward_progress 0
		.amdhsa_shared_vgpr_count 0
		.amdhsa_exception_fp_ieee_invalid_op 0
		.amdhsa_exception_fp_denorm_src 0
		.amdhsa_exception_fp_ieee_div_zero 0
		.amdhsa_exception_fp_ieee_overflow 0
		.amdhsa_exception_fp_ieee_underflow 0
		.amdhsa_exception_fp_ieee_inexact 0
		.amdhsa_exception_int_div_zero 0
	.end_amdhsa_kernel
	.section	.text._ZN7rocprim17ROCPRIM_400000_NS6detail17trampoline_kernelINS0_14default_configENS1_25transform_config_selectorIdLb0EEEZNS1_14transform_implILb0ES3_S5_NS0_18transform_iteratorINS0_17counting_iteratorImlEEZNS1_24adjacent_difference_implIS3_Lb1ELb0EPdN6thrust23THRUST_200600_302600_NS16discard_iteratorINSD_11use_defaultEEENSD_5minusIdEEEE10hipError_tPvRmT2_T3_mT4_P12ihipStream_tbEUlmE_dEESB_NS0_8identityIvEEEESJ_SM_SN_mSO_SQ_bEUlT_E_NS1_11comp_targetILNS1_3genE5ELNS1_11target_archE942ELNS1_3gpuE9ELNS1_3repE0EEENS1_30default_config_static_selectorELNS0_4arch9wavefront6targetE0EEEvT1_,"axG",@progbits,_ZN7rocprim17ROCPRIM_400000_NS6detail17trampoline_kernelINS0_14default_configENS1_25transform_config_selectorIdLb0EEEZNS1_14transform_implILb0ES3_S5_NS0_18transform_iteratorINS0_17counting_iteratorImlEEZNS1_24adjacent_difference_implIS3_Lb1ELb0EPdN6thrust23THRUST_200600_302600_NS16discard_iteratorINSD_11use_defaultEEENSD_5minusIdEEEE10hipError_tPvRmT2_T3_mT4_P12ihipStream_tbEUlmE_dEESB_NS0_8identityIvEEEESJ_SM_SN_mSO_SQ_bEUlT_E_NS1_11comp_targetILNS1_3genE5ELNS1_11target_archE942ELNS1_3gpuE9ELNS1_3repE0EEENS1_30default_config_static_selectorELNS0_4arch9wavefront6targetE0EEEvT1_,comdat
.Lfunc_end774:
	.size	_ZN7rocprim17ROCPRIM_400000_NS6detail17trampoline_kernelINS0_14default_configENS1_25transform_config_selectorIdLb0EEEZNS1_14transform_implILb0ES3_S5_NS0_18transform_iteratorINS0_17counting_iteratorImlEEZNS1_24adjacent_difference_implIS3_Lb1ELb0EPdN6thrust23THRUST_200600_302600_NS16discard_iteratorINSD_11use_defaultEEENSD_5minusIdEEEE10hipError_tPvRmT2_T3_mT4_P12ihipStream_tbEUlmE_dEESB_NS0_8identityIvEEEESJ_SM_SN_mSO_SQ_bEUlT_E_NS1_11comp_targetILNS1_3genE5ELNS1_11target_archE942ELNS1_3gpuE9ELNS1_3repE0EEENS1_30default_config_static_selectorELNS0_4arch9wavefront6targetE0EEEvT1_, .Lfunc_end774-_ZN7rocprim17ROCPRIM_400000_NS6detail17trampoline_kernelINS0_14default_configENS1_25transform_config_selectorIdLb0EEEZNS1_14transform_implILb0ES3_S5_NS0_18transform_iteratorINS0_17counting_iteratorImlEEZNS1_24adjacent_difference_implIS3_Lb1ELb0EPdN6thrust23THRUST_200600_302600_NS16discard_iteratorINSD_11use_defaultEEENSD_5minusIdEEEE10hipError_tPvRmT2_T3_mT4_P12ihipStream_tbEUlmE_dEESB_NS0_8identityIvEEEESJ_SM_SN_mSO_SQ_bEUlT_E_NS1_11comp_targetILNS1_3genE5ELNS1_11target_archE942ELNS1_3gpuE9ELNS1_3repE0EEENS1_30default_config_static_selectorELNS0_4arch9wavefront6targetE0EEEvT1_
                                        ; -- End function
	.section	.AMDGPU.csdata,"",@progbits
; Kernel info:
; codeLenInByte = 0
; NumSgprs: 0
; NumVgprs: 0
; ScratchSize: 0
; MemoryBound: 0
; FloatMode: 240
; IeeeMode: 1
; LDSByteSize: 0 bytes/workgroup (compile time only)
; SGPRBlocks: 0
; VGPRBlocks: 0
; NumSGPRsForWavesPerEU: 1
; NumVGPRsForWavesPerEU: 1
; Occupancy: 16
; WaveLimiterHint : 0
; COMPUTE_PGM_RSRC2:SCRATCH_EN: 0
; COMPUTE_PGM_RSRC2:USER_SGPR: 15
; COMPUTE_PGM_RSRC2:TRAP_HANDLER: 0
; COMPUTE_PGM_RSRC2:TGID_X_EN: 1
; COMPUTE_PGM_RSRC2:TGID_Y_EN: 0
; COMPUTE_PGM_RSRC2:TGID_Z_EN: 0
; COMPUTE_PGM_RSRC2:TIDIG_COMP_CNT: 0
	.section	.text._ZN7rocprim17ROCPRIM_400000_NS6detail17trampoline_kernelINS0_14default_configENS1_25transform_config_selectorIdLb0EEEZNS1_14transform_implILb0ES3_S5_NS0_18transform_iteratorINS0_17counting_iteratorImlEEZNS1_24adjacent_difference_implIS3_Lb1ELb0EPdN6thrust23THRUST_200600_302600_NS16discard_iteratorINSD_11use_defaultEEENSD_5minusIdEEEE10hipError_tPvRmT2_T3_mT4_P12ihipStream_tbEUlmE_dEESB_NS0_8identityIvEEEESJ_SM_SN_mSO_SQ_bEUlT_E_NS1_11comp_targetILNS1_3genE4ELNS1_11target_archE910ELNS1_3gpuE8ELNS1_3repE0EEENS1_30default_config_static_selectorELNS0_4arch9wavefront6targetE0EEEvT1_,"axG",@progbits,_ZN7rocprim17ROCPRIM_400000_NS6detail17trampoline_kernelINS0_14default_configENS1_25transform_config_selectorIdLb0EEEZNS1_14transform_implILb0ES3_S5_NS0_18transform_iteratorINS0_17counting_iteratorImlEEZNS1_24adjacent_difference_implIS3_Lb1ELb0EPdN6thrust23THRUST_200600_302600_NS16discard_iteratorINSD_11use_defaultEEENSD_5minusIdEEEE10hipError_tPvRmT2_T3_mT4_P12ihipStream_tbEUlmE_dEESB_NS0_8identityIvEEEESJ_SM_SN_mSO_SQ_bEUlT_E_NS1_11comp_targetILNS1_3genE4ELNS1_11target_archE910ELNS1_3gpuE8ELNS1_3repE0EEENS1_30default_config_static_selectorELNS0_4arch9wavefront6targetE0EEEvT1_,comdat
	.protected	_ZN7rocprim17ROCPRIM_400000_NS6detail17trampoline_kernelINS0_14default_configENS1_25transform_config_selectorIdLb0EEEZNS1_14transform_implILb0ES3_S5_NS0_18transform_iteratorINS0_17counting_iteratorImlEEZNS1_24adjacent_difference_implIS3_Lb1ELb0EPdN6thrust23THRUST_200600_302600_NS16discard_iteratorINSD_11use_defaultEEENSD_5minusIdEEEE10hipError_tPvRmT2_T3_mT4_P12ihipStream_tbEUlmE_dEESB_NS0_8identityIvEEEESJ_SM_SN_mSO_SQ_bEUlT_E_NS1_11comp_targetILNS1_3genE4ELNS1_11target_archE910ELNS1_3gpuE8ELNS1_3repE0EEENS1_30default_config_static_selectorELNS0_4arch9wavefront6targetE0EEEvT1_ ; -- Begin function _ZN7rocprim17ROCPRIM_400000_NS6detail17trampoline_kernelINS0_14default_configENS1_25transform_config_selectorIdLb0EEEZNS1_14transform_implILb0ES3_S5_NS0_18transform_iteratorINS0_17counting_iteratorImlEEZNS1_24adjacent_difference_implIS3_Lb1ELb0EPdN6thrust23THRUST_200600_302600_NS16discard_iteratorINSD_11use_defaultEEENSD_5minusIdEEEE10hipError_tPvRmT2_T3_mT4_P12ihipStream_tbEUlmE_dEESB_NS0_8identityIvEEEESJ_SM_SN_mSO_SQ_bEUlT_E_NS1_11comp_targetILNS1_3genE4ELNS1_11target_archE910ELNS1_3gpuE8ELNS1_3repE0EEENS1_30default_config_static_selectorELNS0_4arch9wavefront6targetE0EEEvT1_
	.globl	_ZN7rocprim17ROCPRIM_400000_NS6detail17trampoline_kernelINS0_14default_configENS1_25transform_config_selectorIdLb0EEEZNS1_14transform_implILb0ES3_S5_NS0_18transform_iteratorINS0_17counting_iteratorImlEEZNS1_24adjacent_difference_implIS3_Lb1ELb0EPdN6thrust23THRUST_200600_302600_NS16discard_iteratorINSD_11use_defaultEEENSD_5minusIdEEEE10hipError_tPvRmT2_T3_mT4_P12ihipStream_tbEUlmE_dEESB_NS0_8identityIvEEEESJ_SM_SN_mSO_SQ_bEUlT_E_NS1_11comp_targetILNS1_3genE4ELNS1_11target_archE910ELNS1_3gpuE8ELNS1_3repE0EEENS1_30default_config_static_selectorELNS0_4arch9wavefront6targetE0EEEvT1_
	.p2align	8
	.type	_ZN7rocprim17ROCPRIM_400000_NS6detail17trampoline_kernelINS0_14default_configENS1_25transform_config_selectorIdLb0EEEZNS1_14transform_implILb0ES3_S5_NS0_18transform_iteratorINS0_17counting_iteratorImlEEZNS1_24adjacent_difference_implIS3_Lb1ELb0EPdN6thrust23THRUST_200600_302600_NS16discard_iteratorINSD_11use_defaultEEENSD_5minusIdEEEE10hipError_tPvRmT2_T3_mT4_P12ihipStream_tbEUlmE_dEESB_NS0_8identityIvEEEESJ_SM_SN_mSO_SQ_bEUlT_E_NS1_11comp_targetILNS1_3genE4ELNS1_11target_archE910ELNS1_3gpuE8ELNS1_3repE0EEENS1_30default_config_static_selectorELNS0_4arch9wavefront6targetE0EEEvT1_,@function
_ZN7rocprim17ROCPRIM_400000_NS6detail17trampoline_kernelINS0_14default_configENS1_25transform_config_selectorIdLb0EEEZNS1_14transform_implILb0ES3_S5_NS0_18transform_iteratorINS0_17counting_iteratorImlEEZNS1_24adjacent_difference_implIS3_Lb1ELb0EPdN6thrust23THRUST_200600_302600_NS16discard_iteratorINSD_11use_defaultEEENSD_5minusIdEEEE10hipError_tPvRmT2_T3_mT4_P12ihipStream_tbEUlmE_dEESB_NS0_8identityIvEEEESJ_SM_SN_mSO_SQ_bEUlT_E_NS1_11comp_targetILNS1_3genE4ELNS1_11target_archE910ELNS1_3gpuE8ELNS1_3repE0EEENS1_30default_config_static_selectorELNS0_4arch9wavefront6targetE0EEEvT1_: ; @_ZN7rocprim17ROCPRIM_400000_NS6detail17trampoline_kernelINS0_14default_configENS1_25transform_config_selectorIdLb0EEEZNS1_14transform_implILb0ES3_S5_NS0_18transform_iteratorINS0_17counting_iteratorImlEEZNS1_24adjacent_difference_implIS3_Lb1ELb0EPdN6thrust23THRUST_200600_302600_NS16discard_iteratorINSD_11use_defaultEEENSD_5minusIdEEEE10hipError_tPvRmT2_T3_mT4_P12ihipStream_tbEUlmE_dEESB_NS0_8identityIvEEEESJ_SM_SN_mSO_SQ_bEUlT_E_NS1_11comp_targetILNS1_3genE4ELNS1_11target_archE910ELNS1_3gpuE8ELNS1_3repE0EEENS1_30default_config_static_selectorELNS0_4arch9wavefront6targetE0EEEvT1_
; %bb.0:
	.section	.rodata,"a",@progbits
	.p2align	6, 0x0
	.amdhsa_kernel _ZN7rocprim17ROCPRIM_400000_NS6detail17trampoline_kernelINS0_14default_configENS1_25transform_config_selectorIdLb0EEEZNS1_14transform_implILb0ES3_S5_NS0_18transform_iteratorINS0_17counting_iteratorImlEEZNS1_24adjacent_difference_implIS3_Lb1ELb0EPdN6thrust23THRUST_200600_302600_NS16discard_iteratorINSD_11use_defaultEEENSD_5minusIdEEEE10hipError_tPvRmT2_T3_mT4_P12ihipStream_tbEUlmE_dEESB_NS0_8identityIvEEEESJ_SM_SN_mSO_SQ_bEUlT_E_NS1_11comp_targetILNS1_3genE4ELNS1_11target_archE910ELNS1_3gpuE8ELNS1_3repE0EEENS1_30default_config_static_selectorELNS0_4arch9wavefront6targetE0EEEvT1_
		.amdhsa_group_segment_fixed_size 0
		.amdhsa_private_segment_fixed_size 0
		.amdhsa_kernarg_size 56
		.amdhsa_user_sgpr_count 15
		.amdhsa_user_sgpr_dispatch_ptr 0
		.amdhsa_user_sgpr_queue_ptr 0
		.amdhsa_user_sgpr_kernarg_segment_ptr 1
		.amdhsa_user_sgpr_dispatch_id 0
		.amdhsa_user_sgpr_private_segment_size 0
		.amdhsa_wavefront_size32 1
		.amdhsa_uses_dynamic_stack 0
		.amdhsa_enable_private_segment 0
		.amdhsa_system_sgpr_workgroup_id_x 1
		.amdhsa_system_sgpr_workgroup_id_y 0
		.amdhsa_system_sgpr_workgroup_id_z 0
		.amdhsa_system_sgpr_workgroup_info 0
		.amdhsa_system_vgpr_workitem_id 0
		.amdhsa_next_free_vgpr 1
		.amdhsa_next_free_sgpr 1
		.amdhsa_reserve_vcc 0
		.amdhsa_float_round_mode_32 0
		.amdhsa_float_round_mode_16_64 0
		.amdhsa_float_denorm_mode_32 3
		.amdhsa_float_denorm_mode_16_64 3
		.amdhsa_dx10_clamp 1
		.amdhsa_ieee_mode 1
		.amdhsa_fp16_overflow 0
		.amdhsa_workgroup_processor_mode 1
		.amdhsa_memory_ordered 1
		.amdhsa_forward_progress 0
		.amdhsa_shared_vgpr_count 0
		.amdhsa_exception_fp_ieee_invalid_op 0
		.amdhsa_exception_fp_denorm_src 0
		.amdhsa_exception_fp_ieee_div_zero 0
		.amdhsa_exception_fp_ieee_overflow 0
		.amdhsa_exception_fp_ieee_underflow 0
		.amdhsa_exception_fp_ieee_inexact 0
		.amdhsa_exception_int_div_zero 0
	.end_amdhsa_kernel
	.section	.text._ZN7rocprim17ROCPRIM_400000_NS6detail17trampoline_kernelINS0_14default_configENS1_25transform_config_selectorIdLb0EEEZNS1_14transform_implILb0ES3_S5_NS0_18transform_iteratorINS0_17counting_iteratorImlEEZNS1_24adjacent_difference_implIS3_Lb1ELb0EPdN6thrust23THRUST_200600_302600_NS16discard_iteratorINSD_11use_defaultEEENSD_5minusIdEEEE10hipError_tPvRmT2_T3_mT4_P12ihipStream_tbEUlmE_dEESB_NS0_8identityIvEEEESJ_SM_SN_mSO_SQ_bEUlT_E_NS1_11comp_targetILNS1_3genE4ELNS1_11target_archE910ELNS1_3gpuE8ELNS1_3repE0EEENS1_30default_config_static_selectorELNS0_4arch9wavefront6targetE0EEEvT1_,"axG",@progbits,_ZN7rocprim17ROCPRIM_400000_NS6detail17trampoline_kernelINS0_14default_configENS1_25transform_config_selectorIdLb0EEEZNS1_14transform_implILb0ES3_S5_NS0_18transform_iteratorINS0_17counting_iteratorImlEEZNS1_24adjacent_difference_implIS3_Lb1ELb0EPdN6thrust23THRUST_200600_302600_NS16discard_iteratorINSD_11use_defaultEEENSD_5minusIdEEEE10hipError_tPvRmT2_T3_mT4_P12ihipStream_tbEUlmE_dEESB_NS0_8identityIvEEEESJ_SM_SN_mSO_SQ_bEUlT_E_NS1_11comp_targetILNS1_3genE4ELNS1_11target_archE910ELNS1_3gpuE8ELNS1_3repE0EEENS1_30default_config_static_selectorELNS0_4arch9wavefront6targetE0EEEvT1_,comdat
.Lfunc_end775:
	.size	_ZN7rocprim17ROCPRIM_400000_NS6detail17trampoline_kernelINS0_14default_configENS1_25transform_config_selectorIdLb0EEEZNS1_14transform_implILb0ES3_S5_NS0_18transform_iteratorINS0_17counting_iteratorImlEEZNS1_24adjacent_difference_implIS3_Lb1ELb0EPdN6thrust23THRUST_200600_302600_NS16discard_iteratorINSD_11use_defaultEEENSD_5minusIdEEEE10hipError_tPvRmT2_T3_mT4_P12ihipStream_tbEUlmE_dEESB_NS0_8identityIvEEEESJ_SM_SN_mSO_SQ_bEUlT_E_NS1_11comp_targetILNS1_3genE4ELNS1_11target_archE910ELNS1_3gpuE8ELNS1_3repE0EEENS1_30default_config_static_selectorELNS0_4arch9wavefront6targetE0EEEvT1_, .Lfunc_end775-_ZN7rocprim17ROCPRIM_400000_NS6detail17trampoline_kernelINS0_14default_configENS1_25transform_config_selectorIdLb0EEEZNS1_14transform_implILb0ES3_S5_NS0_18transform_iteratorINS0_17counting_iteratorImlEEZNS1_24adjacent_difference_implIS3_Lb1ELb0EPdN6thrust23THRUST_200600_302600_NS16discard_iteratorINSD_11use_defaultEEENSD_5minusIdEEEE10hipError_tPvRmT2_T3_mT4_P12ihipStream_tbEUlmE_dEESB_NS0_8identityIvEEEESJ_SM_SN_mSO_SQ_bEUlT_E_NS1_11comp_targetILNS1_3genE4ELNS1_11target_archE910ELNS1_3gpuE8ELNS1_3repE0EEENS1_30default_config_static_selectorELNS0_4arch9wavefront6targetE0EEEvT1_
                                        ; -- End function
	.section	.AMDGPU.csdata,"",@progbits
; Kernel info:
; codeLenInByte = 0
; NumSgprs: 0
; NumVgprs: 0
; ScratchSize: 0
; MemoryBound: 0
; FloatMode: 240
; IeeeMode: 1
; LDSByteSize: 0 bytes/workgroup (compile time only)
; SGPRBlocks: 0
; VGPRBlocks: 0
; NumSGPRsForWavesPerEU: 1
; NumVGPRsForWavesPerEU: 1
; Occupancy: 16
; WaveLimiterHint : 0
; COMPUTE_PGM_RSRC2:SCRATCH_EN: 0
; COMPUTE_PGM_RSRC2:USER_SGPR: 15
; COMPUTE_PGM_RSRC2:TRAP_HANDLER: 0
; COMPUTE_PGM_RSRC2:TGID_X_EN: 1
; COMPUTE_PGM_RSRC2:TGID_Y_EN: 0
; COMPUTE_PGM_RSRC2:TGID_Z_EN: 0
; COMPUTE_PGM_RSRC2:TIDIG_COMP_CNT: 0
	.section	.text._ZN7rocprim17ROCPRIM_400000_NS6detail17trampoline_kernelINS0_14default_configENS1_25transform_config_selectorIdLb0EEEZNS1_14transform_implILb0ES3_S5_NS0_18transform_iteratorINS0_17counting_iteratorImlEEZNS1_24adjacent_difference_implIS3_Lb1ELb0EPdN6thrust23THRUST_200600_302600_NS16discard_iteratorINSD_11use_defaultEEENSD_5minusIdEEEE10hipError_tPvRmT2_T3_mT4_P12ihipStream_tbEUlmE_dEESB_NS0_8identityIvEEEESJ_SM_SN_mSO_SQ_bEUlT_E_NS1_11comp_targetILNS1_3genE3ELNS1_11target_archE908ELNS1_3gpuE7ELNS1_3repE0EEENS1_30default_config_static_selectorELNS0_4arch9wavefront6targetE0EEEvT1_,"axG",@progbits,_ZN7rocprim17ROCPRIM_400000_NS6detail17trampoline_kernelINS0_14default_configENS1_25transform_config_selectorIdLb0EEEZNS1_14transform_implILb0ES3_S5_NS0_18transform_iteratorINS0_17counting_iteratorImlEEZNS1_24adjacent_difference_implIS3_Lb1ELb0EPdN6thrust23THRUST_200600_302600_NS16discard_iteratorINSD_11use_defaultEEENSD_5minusIdEEEE10hipError_tPvRmT2_T3_mT4_P12ihipStream_tbEUlmE_dEESB_NS0_8identityIvEEEESJ_SM_SN_mSO_SQ_bEUlT_E_NS1_11comp_targetILNS1_3genE3ELNS1_11target_archE908ELNS1_3gpuE7ELNS1_3repE0EEENS1_30default_config_static_selectorELNS0_4arch9wavefront6targetE0EEEvT1_,comdat
	.protected	_ZN7rocprim17ROCPRIM_400000_NS6detail17trampoline_kernelINS0_14default_configENS1_25transform_config_selectorIdLb0EEEZNS1_14transform_implILb0ES3_S5_NS0_18transform_iteratorINS0_17counting_iteratorImlEEZNS1_24adjacent_difference_implIS3_Lb1ELb0EPdN6thrust23THRUST_200600_302600_NS16discard_iteratorINSD_11use_defaultEEENSD_5minusIdEEEE10hipError_tPvRmT2_T3_mT4_P12ihipStream_tbEUlmE_dEESB_NS0_8identityIvEEEESJ_SM_SN_mSO_SQ_bEUlT_E_NS1_11comp_targetILNS1_3genE3ELNS1_11target_archE908ELNS1_3gpuE7ELNS1_3repE0EEENS1_30default_config_static_selectorELNS0_4arch9wavefront6targetE0EEEvT1_ ; -- Begin function _ZN7rocprim17ROCPRIM_400000_NS6detail17trampoline_kernelINS0_14default_configENS1_25transform_config_selectorIdLb0EEEZNS1_14transform_implILb0ES3_S5_NS0_18transform_iteratorINS0_17counting_iteratorImlEEZNS1_24adjacent_difference_implIS3_Lb1ELb0EPdN6thrust23THRUST_200600_302600_NS16discard_iteratorINSD_11use_defaultEEENSD_5minusIdEEEE10hipError_tPvRmT2_T3_mT4_P12ihipStream_tbEUlmE_dEESB_NS0_8identityIvEEEESJ_SM_SN_mSO_SQ_bEUlT_E_NS1_11comp_targetILNS1_3genE3ELNS1_11target_archE908ELNS1_3gpuE7ELNS1_3repE0EEENS1_30default_config_static_selectorELNS0_4arch9wavefront6targetE0EEEvT1_
	.globl	_ZN7rocprim17ROCPRIM_400000_NS6detail17trampoline_kernelINS0_14default_configENS1_25transform_config_selectorIdLb0EEEZNS1_14transform_implILb0ES3_S5_NS0_18transform_iteratorINS0_17counting_iteratorImlEEZNS1_24adjacent_difference_implIS3_Lb1ELb0EPdN6thrust23THRUST_200600_302600_NS16discard_iteratorINSD_11use_defaultEEENSD_5minusIdEEEE10hipError_tPvRmT2_T3_mT4_P12ihipStream_tbEUlmE_dEESB_NS0_8identityIvEEEESJ_SM_SN_mSO_SQ_bEUlT_E_NS1_11comp_targetILNS1_3genE3ELNS1_11target_archE908ELNS1_3gpuE7ELNS1_3repE0EEENS1_30default_config_static_selectorELNS0_4arch9wavefront6targetE0EEEvT1_
	.p2align	8
	.type	_ZN7rocprim17ROCPRIM_400000_NS6detail17trampoline_kernelINS0_14default_configENS1_25transform_config_selectorIdLb0EEEZNS1_14transform_implILb0ES3_S5_NS0_18transform_iteratorINS0_17counting_iteratorImlEEZNS1_24adjacent_difference_implIS3_Lb1ELb0EPdN6thrust23THRUST_200600_302600_NS16discard_iteratorINSD_11use_defaultEEENSD_5minusIdEEEE10hipError_tPvRmT2_T3_mT4_P12ihipStream_tbEUlmE_dEESB_NS0_8identityIvEEEESJ_SM_SN_mSO_SQ_bEUlT_E_NS1_11comp_targetILNS1_3genE3ELNS1_11target_archE908ELNS1_3gpuE7ELNS1_3repE0EEENS1_30default_config_static_selectorELNS0_4arch9wavefront6targetE0EEEvT1_,@function
_ZN7rocprim17ROCPRIM_400000_NS6detail17trampoline_kernelINS0_14default_configENS1_25transform_config_selectorIdLb0EEEZNS1_14transform_implILb0ES3_S5_NS0_18transform_iteratorINS0_17counting_iteratorImlEEZNS1_24adjacent_difference_implIS3_Lb1ELb0EPdN6thrust23THRUST_200600_302600_NS16discard_iteratorINSD_11use_defaultEEENSD_5minusIdEEEE10hipError_tPvRmT2_T3_mT4_P12ihipStream_tbEUlmE_dEESB_NS0_8identityIvEEEESJ_SM_SN_mSO_SQ_bEUlT_E_NS1_11comp_targetILNS1_3genE3ELNS1_11target_archE908ELNS1_3gpuE7ELNS1_3repE0EEENS1_30default_config_static_selectorELNS0_4arch9wavefront6targetE0EEEvT1_: ; @_ZN7rocprim17ROCPRIM_400000_NS6detail17trampoline_kernelINS0_14default_configENS1_25transform_config_selectorIdLb0EEEZNS1_14transform_implILb0ES3_S5_NS0_18transform_iteratorINS0_17counting_iteratorImlEEZNS1_24adjacent_difference_implIS3_Lb1ELb0EPdN6thrust23THRUST_200600_302600_NS16discard_iteratorINSD_11use_defaultEEENSD_5minusIdEEEE10hipError_tPvRmT2_T3_mT4_P12ihipStream_tbEUlmE_dEESB_NS0_8identityIvEEEESJ_SM_SN_mSO_SQ_bEUlT_E_NS1_11comp_targetILNS1_3genE3ELNS1_11target_archE908ELNS1_3gpuE7ELNS1_3repE0EEENS1_30default_config_static_selectorELNS0_4arch9wavefront6targetE0EEEvT1_
; %bb.0:
	.section	.rodata,"a",@progbits
	.p2align	6, 0x0
	.amdhsa_kernel _ZN7rocprim17ROCPRIM_400000_NS6detail17trampoline_kernelINS0_14default_configENS1_25transform_config_selectorIdLb0EEEZNS1_14transform_implILb0ES3_S5_NS0_18transform_iteratorINS0_17counting_iteratorImlEEZNS1_24adjacent_difference_implIS3_Lb1ELb0EPdN6thrust23THRUST_200600_302600_NS16discard_iteratorINSD_11use_defaultEEENSD_5minusIdEEEE10hipError_tPvRmT2_T3_mT4_P12ihipStream_tbEUlmE_dEESB_NS0_8identityIvEEEESJ_SM_SN_mSO_SQ_bEUlT_E_NS1_11comp_targetILNS1_3genE3ELNS1_11target_archE908ELNS1_3gpuE7ELNS1_3repE0EEENS1_30default_config_static_selectorELNS0_4arch9wavefront6targetE0EEEvT1_
		.amdhsa_group_segment_fixed_size 0
		.amdhsa_private_segment_fixed_size 0
		.amdhsa_kernarg_size 56
		.amdhsa_user_sgpr_count 15
		.amdhsa_user_sgpr_dispatch_ptr 0
		.amdhsa_user_sgpr_queue_ptr 0
		.amdhsa_user_sgpr_kernarg_segment_ptr 1
		.amdhsa_user_sgpr_dispatch_id 0
		.amdhsa_user_sgpr_private_segment_size 0
		.amdhsa_wavefront_size32 1
		.amdhsa_uses_dynamic_stack 0
		.amdhsa_enable_private_segment 0
		.amdhsa_system_sgpr_workgroup_id_x 1
		.amdhsa_system_sgpr_workgroup_id_y 0
		.amdhsa_system_sgpr_workgroup_id_z 0
		.amdhsa_system_sgpr_workgroup_info 0
		.amdhsa_system_vgpr_workitem_id 0
		.amdhsa_next_free_vgpr 1
		.amdhsa_next_free_sgpr 1
		.amdhsa_reserve_vcc 0
		.amdhsa_float_round_mode_32 0
		.amdhsa_float_round_mode_16_64 0
		.amdhsa_float_denorm_mode_32 3
		.amdhsa_float_denorm_mode_16_64 3
		.amdhsa_dx10_clamp 1
		.amdhsa_ieee_mode 1
		.amdhsa_fp16_overflow 0
		.amdhsa_workgroup_processor_mode 1
		.amdhsa_memory_ordered 1
		.amdhsa_forward_progress 0
		.amdhsa_shared_vgpr_count 0
		.amdhsa_exception_fp_ieee_invalid_op 0
		.amdhsa_exception_fp_denorm_src 0
		.amdhsa_exception_fp_ieee_div_zero 0
		.amdhsa_exception_fp_ieee_overflow 0
		.amdhsa_exception_fp_ieee_underflow 0
		.amdhsa_exception_fp_ieee_inexact 0
		.amdhsa_exception_int_div_zero 0
	.end_amdhsa_kernel
	.section	.text._ZN7rocprim17ROCPRIM_400000_NS6detail17trampoline_kernelINS0_14default_configENS1_25transform_config_selectorIdLb0EEEZNS1_14transform_implILb0ES3_S5_NS0_18transform_iteratorINS0_17counting_iteratorImlEEZNS1_24adjacent_difference_implIS3_Lb1ELb0EPdN6thrust23THRUST_200600_302600_NS16discard_iteratorINSD_11use_defaultEEENSD_5minusIdEEEE10hipError_tPvRmT2_T3_mT4_P12ihipStream_tbEUlmE_dEESB_NS0_8identityIvEEEESJ_SM_SN_mSO_SQ_bEUlT_E_NS1_11comp_targetILNS1_3genE3ELNS1_11target_archE908ELNS1_3gpuE7ELNS1_3repE0EEENS1_30default_config_static_selectorELNS0_4arch9wavefront6targetE0EEEvT1_,"axG",@progbits,_ZN7rocprim17ROCPRIM_400000_NS6detail17trampoline_kernelINS0_14default_configENS1_25transform_config_selectorIdLb0EEEZNS1_14transform_implILb0ES3_S5_NS0_18transform_iteratorINS0_17counting_iteratorImlEEZNS1_24adjacent_difference_implIS3_Lb1ELb0EPdN6thrust23THRUST_200600_302600_NS16discard_iteratorINSD_11use_defaultEEENSD_5minusIdEEEE10hipError_tPvRmT2_T3_mT4_P12ihipStream_tbEUlmE_dEESB_NS0_8identityIvEEEESJ_SM_SN_mSO_SQ_bEUlT_E_NS1_11comp_targetILNS1_3genE3ELNS1_11target_archE908ELNS1_3gpuE7ELNS1_3repE0EEENS1_30default_config_static_selectorELNS0_4arch9wavefront6targetE0EEEvT1_,comdat
.Lfunc_end776:
	.size	_ZN7rocprim17ROCPRIM_400000_NS6detail17trampoline_kernelINS0_14default_configENS1_25transform_config_selectorIdLb0EEEZNS1_14transform_implILb0ES3_S5_NS0_18transform_iteratorINS0_17counting_iteratorImlEEZNS1_24adjacent_difference_implIS3_Lb1ELb0EPdN6thrust23THRUST_200600_302600_NS16discard_iteratorINSD_11use_defaultEEENSD_5minusIdEEEE10hipError_tPvRmT2_T3_mT4_P12ihipStream_tbEUlmE_dEESB_NS0_8identityIvEEEESJ_SM_SN_mSO_SQ_bEUlT_E_NS1_11comp_targetILNS1_3genE3ELNS1_11target_archE908ELNS1_3gpuE7ELNS1_3repE0EEENS1_30default_config_static_selectorELNS0_4arch9wavefront6targetE0EEEvT1_, .Lfunc_end776-_ZN7rocprim17ROCPRIM_400000_NS6detail17trampoline_kernelINS0_14default_configENS1_25transform_config_selectorIdLb0EEEZNS1_14transform_implILb0ES3_S5_NS0_18transform_iteratorINS0_17counting_iteratorImlEEZNS1_24adjacent_difference_implIS3_Lb1ELb0EPdN6thrust23THRUST_200600_302600_NS16discard_iteratorINSD_11use_defaultEEENSD_5minusIdEEEE10hipError_tPvRmT2_T3_mT4_P12ihipStream_tbEUlmE_dEESB_NS0_8identityIvEEEESJ_SM_SN_mSO_SQ_bEUlT_E_NS1_11comp_targetILNS1_3genE3ELNS1_11target_archE908ELNS1_3gpuE7ELNS1_3repE0EEENS1_30default_config_static_selectorELNS0_4arch9wavefront6targetE0EEEvT1_
                                        ; -- End function
	.section	.AMDGPU.csdata,"",@progbits
; Kernel info:
; codeLenInByte = 0
; NumSgprs: 0
; NumVgprs: 0
; ScratchSize: 0
; MemoryBound: 0
; FloatMode: 240
; IeeeMode: 1
; LDSByteSize: 0 bytes/workgroup (compile time only)
; SGPRBlocks: 0
; VGPRBlocks: 0
; NumSGPRsForWavesPerEU: 1
; NumVGPRsForWavesPerEU: 1
; Occupancy: 16
; WaveLimiterHint : 0
; COMPUTE_PGM_RSRC2:SCRATCH_EN: 0
; COMPUTE_PGM_RSRC2:USER_SGPR: 15
; COMPUTE_PGM_RSRC2:TRAP_HANDLER: 0
; COMPUTE_PGM_RSRC2:TGID_X_EN: 1
; COMPUTE_PGM_RSRC2:TGID_Y_EN: 0
; COMPUTE_PGM_RSRC2:TGID_Z_EN: 0
; COMPUTE_PGM_RSRC2:TIDIG_COMP_CNT: 0
	.section	.text._ZN7rocprim17ROCPRIM_400000_NS6detail17trampoline_kernelINS0_14default_configENS1_25transform_config_selectorIdLb0EEEZNS1_14transform_implILb0ES3_S5_NS0_18transform_iteratorINS0_17counting_iteratorImlEEZNS1_24adjacent_difference_implIS3_Lb1ELb0EPdN6thrust23THRUST_200600_302600_NS16discard_iteratorINSD_11use_defaultEEENSD_5minusIdEEEE10hipError_tPvRmT2_T3_mT4_P12ihipStream_tbEUlmE_dEESB_NS0_8identityIvEEEESJ_SM_SN_mSO_SQ_bEUlT_E_NS1_11comp_targetILNS1_3genE2ELNS1_11target_archE906ELNS1_3gpuE6ELNS1_3repE0EEENS1_30default_config_static_selectorELNS0_4arch9wavefront6targetE0EEEvT1_,"axG",@progbits,_ZN7rocprim17ROCPRIM_400000_NS6detail17trampoline_kernelINS0_14default_configENS1_25transform_config_selectorIdLb0EEEZNS1_14transform_implILb0ES3_S5_NS0_18transform_iteratorINS0_17counting_iteratorImlEEZNS1_24adjacent_difference_implIS3_Lb1ELb0EPdN6thrust23THRUST_200600_302600_NS16discard_iteratorINSD_11use_defaultEEENSD_5minusIdEEEE10hipError_tPvRmT2_T3_mT4_P12ihipStream_tbEUlmE_dEESB_NS0_8identityIvEEEESJ_SM_SN_mSO_SQ_bEUlT_E_NS1_11comp_targetILNS1_3genE2ELNS1_11target_archE906ELNS1_3gpuE6ELNS1_3repE0EEENS1_30default_config_static_selectorELNS0_4arch9wavefront6targetE0EEEvT1_,comdat
	.protected	_ZN7rocprim17ROCPRIM_400000_NS6detail17trampoline_kernelINS0_14default_configENS1_25transform_config_selectorIdLb0EEEZNS1_14transform_implILb0ES3_S5_NS0_18transform_iteratorINS0_17counting_iteratorImlEEZNS1_24adjacent_difference_implIS3_Lb1ELb0EPdN6thrust23THRUST_200600_302600_NS16discard_iteratorINSD_11use_defaultEEENSD_5minusIdEEEE10hipError_tPvRmT2_T3_mT4_P12ihipStream_tbEUlmE_dEESB_NS0_8identityIvEEEESJ_SM_SN_mSO_SQ_bEUlT_E_NS1_11comp_targetILNS1_3genE2ELNS1_11target_archE906ELNS1_3gpuE6ELNS1_3repE0EEENS1_30default_config_static_selectorELNS0_4arch9wavefront6targetE0EEEvT1_ ; -- Begin function _ZN7rocprim17ROCPRIM_400000_NS6detail17trampoline_kernelINS0_14default_configENS1_25transform_config_selectorIdLb0EEEZNS1_14transform_implILb0ES3_S5_NS0_18transform_iteratorINS0_17counting_iteratorImlEEZNS1_24adjacent_difference_implIS3_Lb1ELb0EPdN6thrust23THRUST_200600_302600_NS16discard_iteratorINSD_11use_defaultEEENSD_5minusIdEEEE10hipError_tPvRmT2_T3_mT4_P12ihipStream_tbEUlmE_dEESB_NS0_8identityIvEEEESJ_SM_SN_mSO_SQ_bEUlT_E_NS1_11comp_targetILNS1_3genE2ELNS1_11target_archE906ELNS1_3gpuE6ELNS1_3repE0EEENS1_30default_config_static_selectorELNS0_4arch9wavefront6targetE0EEEvT1_
	.globl	_ZN7rocprim17ROCPRIM_400000_NS6detail17trampoline_kernelINS0_14default_configENS1_25transform_config_selectorIdLb0EEEZNS1_14transform_implILb0ES3_S5_NS0_18transform_iteratorINS0_17counting_iteratorImlEEZNS1_24adjacent_difference_implIS3_Lb1ELb0EPdN6thrust23THRUST_200600_302600_NS16discard_iteratorINSD_11use_defaultEEENSD_5minusIdEEEE10hipError_tPvRmT2_T3_mT4_P12ihipStream_tbEUlmE_dEESB_NS0_8identityIvEEEESJ_SM_SN_mSO_SQ_bEUlT_E_NS1_11comp_targetILNS1_3genE2ELNS1_11target_archE906ELNS1_3gpuE6ELNS1_3repE0EEENS1_30default_config_static_selectorELNS0_4arch9wavefront6targetE0EEEvT1_
	.p2align	8
	.type	_ZN7rocprim17ROCPRIM_400000_NS6detail17trampoline_kernelINS0_14default_configENS1_25transform_config_selectorIdLb0EEEZNS1_14transform_implILb0ES3_S5_NS0_18transform_iteratorINS0_17counting_iteratorImlEEZNS1_24adjacent_difference_implIS3_Lb1ELb0EPdN6thrust23THRUST_200600_302600_NS16discard_iteratorINSD_11use_defaultEEENSD_5minusIdEEEE10hipError_tPvRmT2_T3_mT4_P12ihipStream_tbEUlmE_dEESB_NS0_8identityIvEEEESJ_SM_SN_mSO_SQ_bEUlT_E_NS1_11comp_targetILNS1_3genE2ELNS1_11target_archE906ELNS1_3gpuE6ELNS1_3repE0EEENS1_30default_config_static_selectorELNS0_4arch9wavefront6targetE0EEEvT1_,@function
_ZN7rocprim17ROCPRIM_400000_NS6detail17trampoline_kernelINS0_14default_configENS1_25transform_config_selectorIdLb0EEEZNS1_14transform_implILb0ES3_S5_NS0_18transform_iteratorINS0_17counting_iteratorImlEEZNS1_24adjacent_difference_implIS3_Lb1ELb0EPdN6thrust23THRUST_200600_302600_NS16discard_iteratorINSD_11use_defaultEEENSD_5minusIdEEEE10hipError_tPvRmT2_T3_mT4_P12ihipStream_tbEUlmE_dEESB_NS0_8identityIvEEEESJ_SM_SN_mSO_SQ_bEUlT_E_NS1_11comp_targetILNS1_3genE2ELNS1_11target_archE906ELNS1_3gpuE6ELNS1_3repE0EEENS1_30default_config_static_selectorELNS0_4arch9wavefront6targetE0EEEvT1_: ; @_ZN7rocprim17ROCPRIM_400000_NS6detail17trampoline_kernelINS0_14default_configENS1_25transform_config_selectorIdLb0EEEZNS1_14transform_implILb0ES3_S5_NS0_18transform_iteratorINS0_17counting_iteratorImlEEZNS1_24adjacent_difference_implIS3_Lb1ELb0EPdN6thrust23THRUST_200600_302600_NS16discard_iteratorINSD_11use_defaultEEENSD_5minusIdEEEE10hipError_tPvRmT2_T3_mT4_P12ihipStream_tbEUlmE_dEESB_NS0_8identityIvEEEESJ_SM_SN_mSO_SQ_bEUlT_E_NS1_11comp_targetILNS1_3genE2ELNS1_11target_archE906ELNS1_3gpuE6ELNS1_3repE0EEENS1_30default_config_static_selectorELNS0_4arch9wavefront6targetE0EEEvT1_
; %bb.0:
	.section	.rodata,"a",@progbits
	.p2align	6, 0x0
	.amdhsa_kernel _ZN7rocprim17ROCPRIM_400000_NS6detail17trampoline_kernelINS0_14default_configENS1_25transform_config_selectorIdLb0EEEZNS1_14transform_implILb0ES3_S5_NS0_18transform_iteratorINS0_17counting_iteratorImlEEZNS1_24adjacent_difference_implIS3_Lb1ELb0EPdN6thrust23THRUST_200600_302600_NS16discard_iteratorINSD_11use_defaultEEENSD_5minusIdEEEE10hipError_tPvRmT2_T3_mT4_P12ihipStream_tbEUlmE_dEESB_NS0_8identityIvEEEESJ_SM_SN_mSO_SQ_bEUlT_E_NS1_11comp_targetILNS1_3genE2ELNS1_11target_archE906ELNS1_3gpuE6ELNS1_3repE0EEENS1_30default_config_static_selectorELNS0_4arch9wavefront6targetE0EEEvT1_
		.amdhsa_group_segment_fixed_size 0
		.amdhsa_private_segment_fixed_size 0
		.amdhsa_kernarg_size 56
		.amdhsa_user_sgpr_count 15
		.amdhsa_user_sgpr_dispatch_ptr 0
		.amdhsa_user_sgpr_queue_ptr 0
		.amdhsa_user_sgpr_kernarg_segment_ptr 1
		.amdhsa_user_sgpr_dispatch_id 0
		.amdhsa_user_sgpr_private_segment_size 0
		.amdhsa_wavefront_size32 1
		.amdhsa_uses_dynamic_stack 0
		.amdhsa_enable_private_segment 0
		.amdhsa_system_sgpr_workgroup_id_x 1
		.amdhsa_system_sgpr_workgroup_id_y 0
		.amdhsa_system_sgpr_workgroup_id_z 0
		.amdhsa_system_sgpr_workgroup_info 0
		.amdhsa_system_vgpr_workitem_id 0
		.amdhsa_next_free_vgpr 1
		.amdhsa_next_free_sgpr 1
		.amdhsa_reserve_vcc 0
		.amdhsa_float_round_mode_32 0
		.amdhsa_float_round_mode_16_64 0
		.amdhsa_float_denorm_mode_32 3
		.amdhsa_float_denorm_mode_16_64 3
		.amdhsa_dx10_clamp 1
		.amdhsa_ieee_mode 1
		.amdhsa_fp16_overflow 0
		.amdhsa_workgroup_processor_mode 1
		.amdhsa_memory_ordered 1
		.amdhsa_forward_progress 0
		.amdhsa_shared_vgpr_count 0
		.amdhsa_exception_fp_ieee_invalid_op 0
		.amdhsa_exception_fp_denorm_src 0
		.amdhsa_exception_fp_ieee_div_zero 0
		.amdhsa_exception_fp_ieee_overflow 0
		.amdhsa_exception_fp_ieee_underflow 0
		.amdhsa_exception_fp_ieee_inexact 0
		.amdhsa_exception_int_div_zero 0
	.end_amdhsa_kernel
	.section	.text._ZN7rocprim17ROCPRIM_400000_NS6detail17trampoline_kernelINS0_14default_configENS1_25transform_config_selectorIdLb0EEEZNS1_14transform_implILb0ES3_S5_NS0_18transform_iteratorINS0_17counting_iteratorImlEEZNS1_24adjacent_difference_implIS3_Lb1ELb0EPdN6thrust23THRUST_200600_302600_NS16discard_iteratorINSD_11use_defaultEEENSD_5minusIdEEEE10hipError_tPvRmT2_T3_mT4_P12ihipStream_tbEUlmE_dEESB_NS0_8identityIvEEEESJ_SM_SN_mSO_SQ_bEUlT_E_NS1_11comp_targetILNS1_3genE2ELNS1_11target_archE906ELNS1_3gpuE6ELNS1_3repE0EEENS1_30default_config_static_selectorELNS0_4arch9wavefront6targetE0EEEvT1_,"axG",@progbits,_ZN7rocprim17ROCPRIM_400000_NS6detail17trampoline_kernelINS0_14default_configENS1_25transform_config_selectorIdLb0EEEZNS1_14transform_implILb0ES3_S5_NS0_18transform_iteratorINS0_17counting_iteratorImlEEZNS1_24adjacent_difference_implIS3_Lb1ELb0EPdN6thrust23THRUST_200600_302600_NS16discard_iteratorINSD_11use_defaultEEENSD_5minusIdEEEE10hipError_tPvRmT2_T3_mT4_P12ihipStream_tbEUlmE_dEESB_NS0_8identityIvEEEESJ_SM_SN_mSO_SQ_bEUlT_E_NS1_11comp_targetILNS1_3genE2ELNS1_11target_archE906ELNS1_3gpuE6ELNS1_3repE0EEENS1_30default_config_static_selectorELNS0_4arch9wavefront6targetE0EEEvT1_,comdat
.Lfunc_end777:
	.size	_ZN7rocprim17ROCPRIM_400000_NS6detail17trampoline_kernelINS0_14default_configENS1_25transform_config_selectorIdLb0EEEZNS1_14transform_implILb0ES3_S5_NS0_18transform_iteratorINS0_17counting_iteratorImlEEZNS1_24adjacent_difference_implIS3_Lb1ELb0EPdN6thrust23THRUST_200600_302600_NS16discard_iteratorINSD_11use_defaultEEENSD_5minusIdEEEE10hipError_tPvRmT2_T3_mT4_P12ihipStream_tbEUlmE_dEESB_NS0_8identityIvEEEESJ_SM_SN_mSO_SQ_bEUlT_E_NS1_11comp_targetILNS1_3genE2ELNS1_11target_archE906ELNS1_3gpuE6ELNS1_3repE0EEENS1_30default_config_static_selectorELNS0_4arch9wavefront6targetE0EEEvT1_, .Lfunc_end777-_ZN7rocprim17ROCPRIM_400000_NS6detail17trampoline_kernelINS0_14default_configENS1_25transform_config_selectorIdLb0EEEZNS1_14transform_implILb0ES3_S5_NS0_18transform_iteratorINS0_17counting_iteratorImlEEZNS1_24adjacent_difference_implIS3_Lb1ELb0EPdN6thrust23THRUST_200600_302600_NS16discard_iteratorINSD_11use_defaultEEENSD_5minusIdEEEE10hipError_tPvRmT2_T3_mT4_P12ihipStream_tbEUlmE_dEESB_NS0_8identityIvEEEESJ_SM_SN_mSO_SQ_bEUlT_E_NS1_11comp_targetILNS1_3genE2ELNS1_11target_archE906ELNS1_3gpuE6ELNS1_3repE0EEENS1_30default_config_static_selectorELNS0_4arch9wavefront6targetE0EEEvT1_
                                        ; -- End function
	.section	.AMDGPU.csdata,"",@progbits
; Kernel info:
; codeLenInByte = 0
; NumSgprs: 0
; NumVgprs: 0
; ScratchSize: 0
; MemoryBound: 0
; FloatMode: 240
; IeeeMode: 1
; LDSByteSize: 0 bytes/workgroup (compile time only)
; SGPRBlocks: 0
; VGPRBlocks: 0
; NumSGPRsForWavesPerEU: 1
; NumVGPRsForWavesPerEU: 1
; Occupancy: 16
; WaveLimiterHint : 0
; COMPUTE_PGM_RSRC2:SCRATCH_EN: 0
; COMPUTE_PGM_RSRC2:USER_SGPR: 15
; COMPUTE_PGM_RSRC2:TRAP_HANDLER: 0
; COMPUTE_PGM_RSRC2:TGID_X_EN: 1
; COMPUTE_PGM_RSRC2:TGID_Y_EN: 0
; COMPUTE_PGM_RSRC2:TGID_Z_EN: 0
; COMPUTE_PGM_RSRC2:TIDIG_COMP_CNT: 0
	.section	.text._ZN7rocprim17ROCPRIM_400000_NS6detail17trampoline_kernelINS0_14default_configENS1_25transform_config_selectorIdLb0EEEZNS1_14transform_implILb0ES3_S5_NS0_18transform_iteratorINS0_17counting_iteratorImlEEZNS1_24adjacent_difference_implIS3_Lb1ELb0EPdN6thrust23THRUST_200600_302600_NS16discard_iteratorINSD_11use_defaultEEENSD_5minusIdEEEE10hipError_tPvRmT2_T3_mT4_P12ihipStream_tbEUlmE_dEESB_NS0_8identityIvEEEESJ_SM_SN_mSO_SQ_bEUlT_E_NS1_11comp_targetILNS1_3genE10ELNS1_11target_archE1201ELNS1_3gpuE5ELNS1_3repE0EEENS1_30default_config_static_selectorELNS0_4arch9wavefront6targetE0EEEvT1_,"axG",@progbits,_ZN7rocprim17ROCPRIM_400000_NS6detail17trampoline_kernelINS0_14default_configENS1_25transform_config_selectorIdLb0EEEZNS1_14transform_implILb0ES3_S5_NS0_18transform_iteratorINS0_17counting_iteratorImlEEZNS1_24adjacent_difference_implIS3_Lb1ELb0EPdN6thrust23THRUST_200600_302600_NS16discard_iteratorINSD_11use_defaultEEENSD_5minusIdEEEE10hipError_tPvRmT2_T3_mT4_P12ihipStream_tbEUlmE_dEESB_NS0_8identityIvEEEESJ_SM_SN_mSO_SQ_bEUlT_E_NS1_11comp_targetILNS1_3genE10ELNS1_11target_archE1201ELNS1_3gpuE5ELNS1_3repE0EEENS1_30default_config_static_selectorELNS0_4arch9wavefront6targetE0EEEvT1_,comdat
	.protected	_ZN7rocprim17ROCPRIM_400000_NS6detail17trampoline_kernelINS0_14default_configENS1_25transform_config_selectorIdLb0EEEZNS1_14transform_implILb0ES3_S5_NS0_18transform_iteratorINS0_17counting_iteratorImlEEZNS1_24adjacent_difference_implIS3_Lb1ELb0EPdN6thrust23THRUST_200600_302600_NS16discard_iteratorINSD_11use_defaultEEENSD_5minusIdEEEE10hipError_tPvRmT2_T3_mT4_P12ihipStream_tbEUlmE_dEESB_NS0_8identityIvEEEESJ_SM_SN_mSO_SQ_bEUlT_E_NS1_11comp_targetILNS1_3genE10ELNS1_11target_archE1201ELNS1_3gpuE5ELNS1_3repE0EEENS1_30default_config_static_selectorELNS0_4arch9wavefront6targetE0EEEvT1_ ; -- Begin function _ZN7rocprim17ROCPRIM_400000_NS6detail17trampoline_kernelINS0_14default_configENS1_25transform_config_selectorIdLb0EEEZNS1_14transform_implILb0ES3_S5_NS0_18transform_iteratorINS0_17counting_iteratorImlEEZNS1_24adjacent_difference_implIS3_Lb1ELb0EPdN6thrust23THRUST_200600_302600_NS16discard_iteratorINSD_11use_defaultEEENSD_5minusIdEEEE10hipError_tPvRmT2_T3_mT4_P12ihipStream_tbEUlmE_dEESB_NS0_8identityIvEEEESJ_SM_SN_mSO_SQ_bEUlT_E_NS1_11comp_targetILNS1_3genE10ELNS1_11target_archE1201ELNS1_3gpuE5ELNS1_3repE0EEENS1_30default_config_static_selectorELNS0_4arch9wavefront6targetE0EEEvT1_
	.globl	_ZN7rocprim17ROCPRIM_400000_NS6detail17trampoline_kernelINS0_14default_configENS1_25transform_config_selectorIdLb0EEEZNS1_14transform_implILb0ES3_S5_NS0_18transform_iteratorINS0_17counting_iteratorImlEEZNS1_24adjacent_difference_implIS3_Lb1ELb0EPdN6thrust23THRUST_200600_302600_NS16discard_iteratorINSD_11use_defaultEEENSD_5minusIdEEEE10hipError_tPvRmT2_T3_mT4_P12ihipStream_tbEUlmE_dEESB_NS0_8identityIvEEEESJ_SM_SN_mSO_SQ_bEUlT_E_NS1_11comp_targetILNS1_3genE10ELNS1_11target_archE1201ELNS1_3gpuE5ELNS1_3repE0EEENS1_30default_config_static_selectorELNS0_4arch9wavefront6targetE0EEEvT1_
	.p2align	8
	.type	_ZN7rocprim17ROCPRIM_400000_NS6detail17trampoline_kernelINS0_14default_configENS1_25transform_config_selectorIdLb0EEEZNS1_14transform_implILb0ES3_S5_NS0_18transform_iteratorINS0_17counting_iteratorImlEEZNS1_24adjacent_difference_implIS3_Lb1ELb0EPdN6thrust23THRUST_200600_302600_NS16discard_iteratorINSD_11use_defaultEEENSD_5minusIdEEEE10hipError_tPvRmT2_T3_mT4_P12ihipStream_tbEUlmE_dEESB_NS0_8identityIvEEEESJ_SM_SN_mSO_SQ_bEUlT_E_NS1_11comp_targetILNS1_3genE10ELNS1_11target_archE1201ELNS1_3gpuE5ELNS1_3repE0EEENS1_30default_config_static_selectorELNS0_4arch9wavefront6targetE0EEEvT1_,@function
_ZN7rocprim17ROCPRIM_400000_NS6detail17trampoline_kernelINS0_14default_configENS1_25transform_config_selectorIdLb0EEEZNS1_14transform_implILb0ES3_S5_NS0_18transform_iteratorINS0_17counting_iteratorImlEEZNS1_24adjacent_difference_implIS3_Lb1ELb0EPdN6thrust23THRUST_200600_302600_NS16discard_iteratorINSD_11use_defaultEEENSD_5minusIdEEEE10hipError_tPvRmT2_T3_mT4_P12ihipStream_tbEUlmE_dEESB_NS0_8identityIvEEEESJ_SM_SN_mSO_SQ_bEUlT_E_NS1_11comp_targetILNS1_3genE10ELNS1_11target_archE1201ELNS1_3gpuE5ELNS1_3repE0EEENS1_30default_config_static_selectorELNS0_4arch9wavefront6targetE0EEEvT1_: ; @_ZN7rocprim17ROCPRIM_400000_NS6detail17trampoline_kernelINS0_14default_configENS1_25transform_config_selectorIdLb0EEEZNS1_14transform_implILb0ES3_S5_NS0_18transform_iteratorINS0_17counting_iteratorImlEEZNS1_24adjacent_difference_implIS3_Lb1ELb0EPdN6thrust23THRUST_200600_302600_NS16discard_iteratorINSD_11use_defaultEEENSD_5minusIdEEEE10hipError_tPvRmT2_T3_mT4_P12ihipStream_tbEUlmE_dEESB_NS0_8identityIvEEEESJ_SM_SN_mSO_SQ_bEUlT_E_NS1_11comp_targetILNS1_3genE10ELNS1_11target_archE1201ELNS1_3gpuE5ELNS1_3repE0EEENS1_30default_config_static_selectorELNS0_4arch9wavefront6targetE0EEEvT1_
; %bb.0:
	.section	.rodata,"a",@progbits
	.p2align	6, 0x0
	.amdhsa_kernel _ZN7rocprim17ROCPRIM_400000_NS6detail17trampoline_kernelINS0_14default_configENS1_25transform_config_selectorIdLb0EEEZNS1_14transform_implILb0ES3_S5_NS0_18transform_iteratorINS0_17counting_iteratorImlEEZNS1_24adjacent_difference_implIS3_Lb1ELb0EPdN6thrust23THRUST_200600_302600_NS16discard_iteratorINSD_11use_defaultEEENSD_5minusIdEEEE10hipError_tPvRmT2_T3_mT4_P12ihipStream_tbEUlmE_dEESB_NS0_8identityIvEEEESJ_SM_SN_mSO_SQ_bEUlT_E_NS1_11comp_targetILNS1_3genE10ELNS1_11target_archE1201ELNS1_3gpuE5ELNS1_3repE0EEENS1_30default_config_static_selectorELNS0_4arch9wavefront6targetE0EEEvT1_
		.amdhsa_group_segment_fixed_size 0
		.amdhsa_private_segment_fixed_size 0
		.amdhsa_kernarg_size 56
		.amdhsa_user_sgpr_count 15
		.amdhsa_user_sgpr_dispatch_ptr 0
		.amdhsa_user_sgpr_queue_ptr 0
		.amdhsa_user_sgpr_kernarg_segment_ptr 1
		.amdhsa_user_sgpr_dispatch_id 0
		.amdhsa_user_sgpr_private_segment_size 0
		.amdhsa_wavefront_size32 1
		.amdhsa_uses_dynamic_stack 0
		.amdhsa_enable_private_segment 0
		.amdhsa_system_sgpr_workgroup_id_x 1
		.amdhsa_system_sgpr_workgroup_id_y 0
		.amdhsa_system_sgpr_workgroup_id_z 0
		.amdhsa_system_sgpr_workgroup_info 0
		.amdhsa_system_vgpr_workitem_id 0
		.amdhsa_next_free_vgpr 1
		.amdhsa_next_free_sgpr 1
		.amdhsa_reserve_vcc 0
		.amdhsa_float_round_mode_32 0
		.amdhsa_float_round_mode_16_64 0
		.amdhsa_float_denorm_mode_32 3
		.amdhsa_float_denorm_mode_16_64 3
		.amdhsa_dx10_clamp 1
		.amdhsa_ieee_mode 1
		.amdhsa_fp16_overflow 0
		.amdhsa_workgroup_processor_mode 1
		.amdhsa_memory_ordered 1
		.amdhsa_forward_progress 0
		.amdhsa_shared_vgpr_count 0
		.amdhsa_exception_fp_ieee_invalid_op 0
		.amdhsa_exception_fp_denorm_src 0
		.amdhsa_exception_fp_ieee_div_zero 0
		.amdhsa_exception_fp_ieee_overflow 0
		.amdhsa_exception_fp_ieee_underflow 0
		.amdhsa_exception_fp_ieee_inexact 0
		.amdhsa_exception_int_div_zero 0
	.end_amdhsa_kernel
	.section	.text._ZN7rocprim17ROCPRIM_400000_NS6detail17trampoline_kernelINS0_14default_configENS1_25transform_config_selectorIdLb0EEEZNS1_14transform_implILb0ES3_S5_NS0_18transform_iteratorINS0_17counting_iteratorImlEEZNS1_24adjacent_difference_implIS3_Lb1ELb0EPdN6thrust23THRUST_200600_302600_NS16discard_iteratorINSD_11use_defaultEEENSD_5minusIdEEEE10hipError_tPvRmT2_T3_mT4_P12ihipStream_tbEUlmE_dEESB_NS0_8identityIvEEEESJ_SM_SN_mSO_SQ_bEUlT_E_NS1_11comp_targetILNS1_3genE10ELNS1_11target_archE1201ELNS1_3gpuE5ELNS1_3repE0EEENS1_30default_config_static_selectorELNS0_4arch9wavefront6targetE0EEEvT1_,"axG",@progbits,_ZN7rocprim17ROCPRIM_400000_NS6detail17trampoline_kernelINS0_14default_configENS1_25transform_config_selectorIdLb0EEEZNS1_14transform_implILb0ES3_S5_NS0_18transform_iteratorINS0_17counting_iteratorImlEEZNS1_24adjacent_difference_implIS3_Lb1ELb0EPdN6thrust23THRUST_200600_302600_NS16discard_iteratorINSD_11use_defaultEEENSD_5minusIdEEEE10hipError_tPvRmT2_T3_mT4_P12ihipStream_tbEUlmE_dEESB_NS0_8identityIvEEEESJ_SM_SN_mSO_SQ_bEUlT_E_NS1_11comp_targetILNS1_3genE10ELNS1_11target_archE1201ELNS1_3gpuE5ELNS1_3repE0EEENS1_30default_config_static_selectorELNS0_4arch9wavefront6targetE0EEEvT1_,comdat
.Lfunc_end778:
	.size	_ZN7rocprim17ROCPRIM_400000_NS6detail17trampoline_kernelINS0_14default_configENS1_25transform_config_selectorIdLb0EEEZNS1_14transform_implILb0ES3_S5_NS0_18transform_iteratorINS0_17counting_iteratorImlEEZNS1_24adjacent_difference_implIS3_Lb1ELb0EPdN6thrust23THRUST_200600_302600_NS16discard_iteratorINSD_11use_defaultEEENSD_5minusIdEEEE10hipError_tPvRmT2_T3_mT4_P12ihipStream_tbEUlmE_dEESB_NS0_8identityIvEEEESJ_SM_SN_mSO_SQ_bEUlT_E_NS1_11comp_targetILNS1_3genE10ELNS1_11target_archE1201ELNS1_3gpuE5ELNS1_3repE0EEENS1_30default_config_static_selectorELNS0_4arch9wavefront6targetE0EEEvT1_, .Lfunc_end778-_ZN7rocprim17ROCPRIM_400000_NS6detail17trampoline_kernelINS0_14default_configENS1_25transform_config_selectorIdLb0EEEZNS1_14transform_implILb0ES3_S5_NS0_18transform_iteratorINS0_17counting_iteratorImlEEZNS1_24adjacent_difference_implIS3_Lb1ELb0EPdN6thrust23THRUST_200600_302600_NS16discard_iteratorINSD_11use_defaultEEENSD_5minusIdEEEE10hipError_tPvRmT2_T3_mT4_P12ihipStream_tbEUlmE_dEESB_NS0_8identityIvEEEESJ_SM_SN_mSO_SQ_bEUlT_E_NS1_11comp_targetILNS1_3genE10ELNS1_11target_archE1201ELNS1_3gpuE5ELNS1_3repE0EEENS1_30default_config_static_selectorELNS0_4arch9wavefront6targetE0EEEvT1_
                                        ; -- End function
	.section	.AMDGPU.csdata,"",@progbits
; Kernel info:
; codeLenInByte = 0
; NumSgprs: 0
; NumVgprs: 0
; ScratchSize: 0
; MemoryBound: 0
; FloatMode: 240
; IeeeMode: 1
; LDSByteSize: 0 bytes/workgroup (compile time only)
; SGPRBlocks: 0
; VGPRBlocks: 0
; NumSGPRsForWavesPerEU: 1
; NumVGPRsForWavesPerEU: 1
; Occupancy: 16
; WaveLimiterHint : 0
; COMPUTE_PGM_RSRC2:SCRATCH_EN: 0
; COMPUTE_PGM_RSRC2:USER_SGPR: 15
; COMPUTE_PGM_RSRC2:TRAP_HANDLER: 0
; COMPUTE_PGM_RSRC2:TGID_X_EN: 1
; COMPUTE_PGM_RSRC2:TGID_Y_EN: 0
; COMPUTE_PGM_RSRC2:TGID_Z_EN: 0
; COMPUTE_PGM_RSRC2:TIDIG_COMP_CNT: 0
	.section	.text._ZN7rocprim17ROCPRIM_400000_NS6detail17trampoline_kernelINS0_14default_configENS1_25transform_config_selectorIdLb0EEEZNS1_14transform_implILb0ES3_S5_NS0_18transform_iteratorINS0_17counting_iteratorImlEEZNS1_24adjacent_difference_implIS3_Lb1ELb0EPdN6thrust23THRUST_200600_302600_NS16discard_iteratorINSD_11use_defaultEEENSD_5minusIdEEEE10hipError_tPvRmT2_T3_mT4_P12ihipStream_tbEUlmE_dEESB_NS0_8identityIvEEEESJ_SM_SN_mSO_SQ_bEUlT_E_NS1_11comp_targetILNS1_3genE10ELNS1_11target_archE1200ELNS1_3gpuE4ELNS1_3repE0EEENS1_30default_config_static_selectorELNS0_4arch9wavefront6targetE0EEEvT1_,"axG",@progbits,_ZN7rocprim17ROCPRIM_400000_NS6detail17trampoline_kernelINS0_14default_configENS1_25transform_config_selectorIdLb0EEEZNS1_14transform_implILb0ES3_S5_NS0_18transform_iteratorINS0_17counting_iteratorImlEEZNS1_24adjacent_difference_implIS3_Lb1ELb0EPdN6thrust23THRUST_200600_302600_NS16discard_iteratorINSD_11use_defaultEEENSD_5minusIdEEEE10hipError_tPvRmT2_T3_mT4_P12ihipStream_tbEUlmE_dEESB_NS0_8identityIvEEEESJ_SM_SN_mSO_SQ_bEUlT_E_NS1_11comp_targetILNS1_3genE10ELNS1_11target_archE1200ELNS1_3gpuE4ELNS1_3repE0EEENS1_30default_config_static_selectorELNS0_4arch9wavefront6targetE0EEEvT1_,comdat
	.protected	_ZN7rocprim17ROCPRIM_400000_NS6detail17trampoline_kernelINS0_14default_configENS1_25transform_config_selectorIdLb0EEEZNS1_14transform_implILb0ES3_S5_NS0_18transform_iteratorINS0_17counting_iteratorImlEEZNS1_24adjacent_difference_implIS3_Lb1ELb0EPdN6thrust23THRUST_200600_302600_NS16discard_iteratorINSD_11use_defaultEEENSD_5minusIdEEEE10hipError_tPvRmT2_T3_mT4_P12ihipStream_tbEUlmE_dEESB_NS0_8identityIvEEEESJ_SM_SN_mSO_SQ_bEUlT_E_NS1_11comp_targetILNS1_3genE10ELNS1_11target_archE1200ELNS1_3gpuE4ELNS1_3repE0EEENS1_30default_config_static_selectorELNS0_4arch9wavefront6targetE0EEEvT1_ ; -- Begin function _ZN7rocprim17ROCPRIM_400000_NS6detail17trampoline_kernelINS0_14default_configENS1_25transform_config_selectorIdLb0EEEZNS1_14transform_implILb0ES3_S5_NS0_18transform_iteratorINS0_17counting_iteratorImlEEZNS1_24adjacent_difference_implIS3_Lb1ELb0EPdN6thrust23THRUST_200600_302600_NS16discard_iteratorINSD_11use_defaultEEENSD_5minusIdEEEE10hipError_tPvRmT2_T3_mT4_P12ihipStream_tbEUlmE_dEESB_NS0_8identityIvEEEESJ_SM_SN_mSO_SQ_bEUlT_E_NS1_11comp_targetILNS1_3genE10ELNS1_11target_archE1200ELNS1_3gpuE4ELNS1_3repE0EEENS1_30default_config_static_selectorELNS0_4arch9wavefront6targetE0EEEvT1_
	.globl	_ZN7rocprim17ROCPRIM_400000_NS6detail17trampoline_kernelINS0_14default_configENS1_25transform_config_selectorIdLb0EEEZNS1_14transform_implILb0ES3_S5_NS0_18transform_iteratorINS0_17counting_iteratorImlEEZNS1_24adjacent_difference_implIS3_Lb1ELb0EPdN6thrust23THRUST_200600_302600_NS16discard_iteratorINSD_11use_defaultEEENSD_5minusIdEEEE10hipError_tPvRmT2_T3_mT4_P12ihipStream_tbEUlmE_dEESB_NS0_8identityIvEEEESJ_SM_SN_mSO_SQ_bEUlT_E_NS1_11comp_targetILNS1_3genE10ELNS1_11target_archE1200ELNS1_3gpuE4ELNS1_3repE0EEENS1_30default_config_static_selectorELNS0_4arch9wavefront6targetE0EEEvT1_
	.p2align	8
	.type	_ZN7rocprim17ROCPRIM_400000_NS6detail17trampoline_kernelINS0_14default_configENS1_25transform_config_selectorIdLb0EEEZNS1_14transform_implILb0ES3_S5_NS0_18transform_iteratorINS0_17counting_iteratorImlEEZNS1_24adjacent_difference_implIS3_Lb1ELb0EPdN6thrust23THRUST_200600_302600_NS16discard_iteratorINSD_11use_defaultEEENSD_5minusIdEEEE10hipError_tPvRmT2_T3_mT4_P12ihipStream_tbEUlmE_dEESB_NS0_8identityIvEEEESJ_SM_SN_mSO_SQ_bEUlT_E_NS1_11comp_targetILNS1_3genE10ELNS1_11target_archE1200ELNS1_3gpuE4ELNS1_3repE0EEENS1_30default_config_static_selectorELNS0_4arch9wavefront6targetE0EEEvT1_,@function
_ZN7rocprim17ROCPRIM_400000_NS6detail17trampoline_kernelINS0_14default_configENS1_25transform_config_selectorIdLb0EEEZNS1_14transform_implILb0ES3_S5_NS0_18transform_iteratorINS0_17counting_iteratorImlEEZNS1_24adjacent_difference_implIS3_Lb1ELb0EPdN6thrust23THRUST_200600_302600_NS16discard_iteratorINSD_11use_defaultEEENSD_5minusIdEEEE10hipError_tPvRmT2_T3_mT4_P12ihipStream_tbEUlmE_dEESB_NS0_8identityIvEEEESJ_SM_SN_mSO_SQ_bEUlT_E_NS1_11comp_targetILNS1_3genE10ELNS1_11target_archE1200ELNS1_3gpuE4ELNS1_3repE0EEENS1_30default_config_static_selectorELNS0_4arch9wavefront6targetE0EEEvT1_: ; @_ZN7rocprim17ROCPRIM_400000_NS6detail17trampoline_kernelINS0_14default_configENS1_25transform_config_selectorIdLb0EEEZNS1_14transform_implILb0ES3_S5_NS0_18transform_iteratorINS0_17counting_iteratorImlEEZNS1_24adjacent_difference_implIS3_Lb1ELb0EPdN6thrust23THRUST_200600_302600_NS16discard_iteratorINSD_11use_defaultEEENSD_5minusIdEEEE10hipError_tPvRmT2_T3_mT4_P12ihipStream_tbEUlmE_dEESB_NS0_8identityIvEEEESJ_SM_SN_mSO_SQ_bEUlT_E_NS1_11comp_targetILNS1_3genE10ELNS1_11target_archE1200ELNS1_3gpuE4ELNS1_3repE0EEENS1_30default_config_static_selectorELNS0_4arch9wavefront6targetE0EEEvT1_
; %bb.0:
	.section	.rodata,"a",@progbits
	.p2align	6, 0x0
	.amdhsa_kernel _ZN7rocprim17ROCPRIM_400000_NS6detail17trampoline_kernelINS0_14default_configENS1_25transform_config_selectorIdLb0EEEZNS1_14transform_implILb0ES3_S5_NS0_18transform_iteratorINS0_17counting_iteratorImlEEZNS1_24adjacent_difference_implIS3_Lb1ELb0EPdN6thrust23THRUST_200600_302600_NS16discard_iteratorINSD_11use_defaultEEENSD_5minusIdEEEE10hipError_tPvRmT2_T3_mT4_P12ihipStream_tbEUlmE_dEESB_NS0_8identityIvEEEESJ_SM_SN_mSO_SQ_bEUlT_E_NS1_11comp_targetILNS1_3genE10ELNS1_11target_archE1200ELNS1_3gpuE4ELNS1_3repE0EEENS1_30default_config_static_selectorELNS0_4arch9wavefront6targetE0EEEvT1_
		.amdhsa_group_segment_fixed_size 0
		.amdhsa_private_segment_fixed_size 0
		.amdhsa_kernarg_size 56
		.amdhsa_user_sgpr_count 15
		.amdhsa_user_sgpr_dispatch_ptr 0
		.amdhsa_user_sgpr_queue_ptr 0
		.amdhsa_user_sgpr_kernarg_segment_ptr 1
		.amdhsa_user_sgpr_dispatch_id 0
		.amdhsa_user_sgpr_private_segment_size 0
		.amdhsa_wavefront_size32 1
		.amdhsa_uses_dynamic_stack 0
		.amdhsa_enable_private_segment 0
		.amdhsa_system_sgpr_workgroup_id_x 1
		.amdhsa_system_sgpr_workgroup_id_y 0
		.amdhsa_system_sgpr_workgroup_id_z 0
		.amdhsa_system_sgpr_workgroup_info 0
		.amdhsa_system_vgpr_workitem_id 0
		.amdhsa_next_free_vgpr 1
		.amdhsa_next_free_sgpr 1
		.amdhsa_reserve_vcc 0
		.amdhsa_float_round_mode_32 0
		.amdhsa_float_round_mode_16_64 0
		.amdhsa_float_denorm_mode_32 3
		.amdhsa_float_denorm_mode_16_64 3
		.amdhsa_dx10_clamp 1
		.amdhsa_ieee_mode 1
		.amdhsa_fp16_overflow 0
		.amdhsa_workgroup_processor_mode 1
		.amdhsa_memory_ordered 1
		.amdhsa_forward_progress 0
		.amdhsa_shared_vgpr_count 0
		.amdhsa_exception_fp_ieee_invalid_op 0
		.amdhsa_exception_fp_denorm_src 0
		.amdhsa_exception_fp_ieee_div_zero 0
		.amdhsa_exception_fp_ieee_overflow 0
		.amdhsa_exception_fp_ieee_underflow 0
		.amdhsa_exception_fp_ieee_inexact 0
		.amdhsa_exception_int_div_zero 0
	.end_amdhsa_kernel
	.section	.text._ZN7rocprim17ROCPRIM_400000_NS6detail17trampoline_kernelINS0_14default_configENS1_25transform_config_selectorIdLb0EEEZNS1_14transform_implILb0ES3_S5_NS0_18transform_iteratorINS0_17counting_iteratorImlEEZNS1_24adjacent_difference_implIS3_Lb1ELb0EPdN6thrust23THRUST_200600_302600_NS16discard_iteratorINSD_11use_defaultEEENSD_5minusIdEEEE10hipError_tPvRmT2_T3_mT4_P12ihipStream_tbEUlmE_dEESB_NS0_8identityIvEEEESJ_SM_SN_mSO_SQ_bEUlT_E_NS1_11comp_targetILNS1_3genE10ELNS1_11target_archE1200ELNS1_3gpuE4ELNS1_3repE0EEENS1_30default_config_static_selectorELNS0_4arch9wavefront6targetE0EEEvT1_,"axG",@progbits,_ZN7rocprim17ROCPRIM_400000_NS6detail17trampoline_kernelINS0_14default_configENS1_25transform_config_selectorIdLb0EEEZNS1_14transform_implILb0ES3_S5_NS0_18transform_iteratorINS0_17counting_iteratorImlEEZNS1_24adjacent_difference_implIS3_Lb1ELb0EPdN6thrust23THRUST_200600_302600_NS16discard_iteratorINSD_11use_defaultEEENSD_5minusIdEEEE10hipError_tPvRmT2_T3_mT4_P12ihipStream_tbEUlmE_dEESB_NS0_8identityIvEEEESJ_SM_SN_mSO_SQ_bEUlT_E_NS1_11comp_targetILNS1_3genE10ELNS1_11target_archE1200ELNS1_3gpuE4ELNS1_3repE0EEENS1_30default_config_static_selectorELNS0_4arch9wavefront6targetE0EEEvT1_,comdat
.Lfunc_end779:
	.size	_ZN7rocprim17ROCPRIM_400000_NS6detail17trampoline_kernelINS0_14default_configENS1_25transform_config_selectorIdLb0EEEZNS1_14transform_implILb0ES3_S5_NS0_18transform_iteratorINS0_17counting_iteratorImlEEZNS1_24adjacent_difference_implIS3_Lb1ELb0EPdN6thrust23THRUST_200600_302600_NS16discard_iteratorINSD_11use_defaultEEENSD_5minusIdEEEE10hipError_tPvRmT2_T3_mT4_P12ihipStream_tbEUlmE_dEESB_NS0_8identityIvEEEESJ_SM_SN_mSO_SQ_bEUlT_E_NS1_11comp_targetILNS1_3genE10ELNS1_11target_archE1200ELNS1_3gpuE4ELNS1_3repE0EEENS1_30default_config_static_selectorELNS0_4arch9wavefront6targetE0EEEvT1_, .Lfunc_end779-_ZN7rocprim17ROCPRIM_400000_NS6detail17trampoline_kernelINS0_14default_configENS1_25transform_config_selectorIdLb0EEEZNS1_14transform_implILb0ES3_S5_NS0_18transform_iteratorINS0_17counting_iteratorImlEEZNS1_24adjacent_difference_implIS3_Lb1ELb0EPdN6thrust23THRUST_200600_302600_NS16discard_iteratorINSD_11use_defaultEEENSD_5minusIdEEEE10hipError_tPvRmT2_T3_mT4_P12ihipStream_tbEUlmE_dEESB_NS0_8identityIvEEEESJ_SM_SN_mSO_SQ_bEUlT_E_NS1_11comp_targetILNS1_3genE10ELNS1_11target_archE1200ELNS1_3gpuE4ELNS1_3repE0EEENS1_30default_config_static_selectorELNS0_4arch9wavefront6targetE0EEEvT1_
                                        ; -- End function
	.section	.AMDGPU.csdata,"",@progbits
; Kernel info:
; codeLenInByte = 0
; NumSgprs: 0
; NumVgprs: 0
; ScratchSize: 0
; MemoryBound: 0
; FloatMode: 240
; IeeeMode: 1
; LDSByteSize: 0 bytes/workgroup (compile time only)
; SGPRBlocks: 0
; VGPRBlocks: 0
; NumSGPRsForWavesPerEU: 1
; NumVGPRsForWavesPerEU: 1
; Occupancy: 16
; WaveLimiterHint : 0
; COMPUTE_PGM_RSRC2:SCRATCH_EN: 0
; COMPUTE_PGM_RSRC2:USER_SGPR: 15
; COMPUTE_PGM_RSRC2:TRAP_HANDLER: 0
; COMPUTE_PGM_RSRC2:TGID_X_EN: 1
; COMPUTE_PGM_RSRC2:TGID_Y_EN: 0
; COMPUTE_PGM_RSRC2:TGID_Z_EN: 0
; COMPUTE_PGM_RSRC2:TIDIG_COMP_CNT: 0
	.section	.text._ZN7rocprim17ROCPRIM_400000_NS6detail17trampoline_kernelINS0_14default_configENS1_25transform_config_selectorIdLb0EEEZNS1_14transform_implILb0ES3_S5_NS0_18transform_iteratorINS0_17counting_iteratorImlEEZNS1_24adjacent_difference_implIS3_Lb1ELb0EPdN6thrust23THRUST_200600_302600_NS16discard_iteratorINSD_11use_defaultEEENSD_5minusIdEEEE10hipError_tPvRmT2_T3_mT4_P12ihipStream_tbEUlmE_dEESB_NS0_8identityIvEEEESJ_SM_SN_mSO_SQ_bEUlT_E_NS1_11comp_targetILNS1_3genE9ELNS1_11target_archE1100ELNS1_3gpuE3ELNS1_3repE0EEENS1_30default_config_static_selectorELNS0_4arch9wavefront6targetE0EEEvT1_,"axG",@progbits,_ZN7rocprim17ROCPRIM_400000_NS6detail17trampoline_kernelINS0_14default_configENS1_25transform_config_selectorIdLb0EEEZNS1_14transform_implILb0ES3_S5_NS0_18transform_iteratorINS0_17counting_iteratorImlEEZNS1_24adjacent_difference_implIS3_Lb1ELb0EPdN6thrust23THRUST_200600_302600_NS16discard_iteratorINSD_11use_defaultEEENSD_5minusIdEEEE10hipError_tPvRmT2_T3_mT4_P12ihipStream_tbEUlmE_dEESB_NS0_8identityIvEEEESJ_SM_SN_mSO_SQ_bEUlT_E_NS1_11comp_targetILNS1_3genE9ELNS1_11target_archE1100ELNS1_3gpuE3ELNS1_3repE0EEENS1_30default_config_static_selectorELNS0_4arch9wavefront6targetE0EEEvT1_,comdat
	.protected	_ZN7rocprim17ROCPRIM_400000_NS6detail17trampoline_kernelINS0_14default_configENS1_25transform_config_selectorIdLb0EEEZNS1_14transform_implILb0ES3_S5_NS0_18transform_iteratorINS0_17counting_iteratorImlEEZNS1_24adjacent_difference_implIS3_Lb1ELb0EPdN6thrust23THRUST_200600_302600_NS16discard_iteratorINSD_11use_defaultEEENSD_5minusIdEEEE10hipError_tPvRmT2_T3_mT4_P12ihipStream_tbEUlmE_dEESB_NS0_8identityIvEEEESJ_SM_SN_mSO_SQ_bEUlT_E_NS1_11comp_targetILNS1_3genE9ELNS1_11target_archE1100ELNS1_3gpuE3ELNS1_3repE0EEENS1_30default_config_static_selectorELNS0_4arch9wavefront6targetE0EEEvT1_ ; -- Begin function _ZN7rocprim17ROCPRIM_400000_NS6detail17trampoline_kernelINS0_14default_configENS1_25transform_config_selectorIdLb0EEEZNS1_14transform_implILb0ES3_S5_NS0_18transform_iteratorINS0_17counting_iteratorImlEEZNS1_24adjacent_difference_implIS3_Lb1ELb0EPdN6thrust23THRUST_200600_302600_NS16discard_iteratorINSD_11use_defaultEEENSD_5minusIdEEEE10hipError_tPvRmT2_T3_mT4_P12ihipStream_tbEUlmE_dEESB_NS0_8identityIvEEEESJ_SM_SN_mSO_SQ_bEUlT_E_NS1_11comp_targetILNS1_3genE9ELNS1_11target_archE1100ELNS1_3gpuE3ELNS1_3repE0EEENS1_30default_config_static_selectorELNS0_4arch9wavefront6targetE0EEEvT1_
	.globl	_ZN7rocprim17ROCPRIM_400000_NS6detail17trampoline_kernelINS0_14default_configENS1_25transform_config_selectorIdLb0EEEZNS1_14transform_implILb0ES3_S5_NS0_18transform_iteratorINS0_17counting_iteratorImlEEZNS1_24adjacent_difference_implIS3_Lb1ELb0EPdN6thrust23THRUST_200600_302600_NS16discard_iteratorINSD_11use_defaultEEENSD_5minusIdEEEE10hipError_tPvRmT2_T3_mT4_P12ihipStream_tbEUlmE_dEESB_NS0_8identityIvEEEESJ_SM_SN_mSO_SQ_bEUlT_E_NS1_11comp_targetILNS1_3genE9ELNS1_11target_archE1100ELNS1_3gpuE3ELNS1_3repE0EEENS1_30default_config_static_selectorELNS0_4arch9wavefront6targetE0EEEvT1_
	.p2align	8
	.type	_ZN7rocprim17ROCPRIM_400000_NS6detail17trampoline_kernelINS0_14default_configENS1_25transform_config_selectorIdLb0EEEZNS1_14transform_implILb0ES3_S5_NS0_18transform_iteratorINS0_17counting_iteratorImlEEZNS1_24adjacent_difference_implIS3_Lb1ELb0EPdN6thrust23THRUST_200600_302600_NS16discard_iteratorINSD_11use_defaultEEENSD_5minusIdEEEE10hipError_tPvRmT2_T3_mT4_P12ihipStream_tbEUlmE_dEESB_NS0_8identityIvEEEESJ_SM_SN_mSO_SQ_bEUlT_E_NS1_11comp_targetILNS1_3genE9ELNS1_11target_archE1100ELNS1_3gpuE3ELNS1_3repE0EEENS1_30default_config_static_selectorELNS0_4arch9wavefront6targetE0EEEvT1_,@function
_ZN7rocprim17ROCPRIM_400000_NS6detail17trampoline_kernelINS0_14default_configENS1_25transform_config_selectorIdLb0EEEZNS1_14transform_implILb0ES3_S5_NS0_18transform_iteratorINS0_17counting_iteratorImlEEZNS1_24adjacent_difference_implIS3_Lb1ELb0EPdN6thrust23THRUST_200600_302600_NS16discard_iteratorINSD_11use_defaultEEENSD_5minusIdEEEE10hipError_tPvRmT2_T3_mT4_P12ihipStream_tbEUlmE_dEESB_NS0_8identityIvEEEESJ_SM_SN_mSO_SQ_bEUlT_E_NS1_11comp_targetILNS1_3genE9ELNS1_11target_archE1100ELNS1_3gpuE3ELNS1_3repE0EEENS1_30default_config_static_selectorELNS0_4arch9wavefront6targetE0EEEvT1_: ; @_ZN7rocprim17ROCPRIM_400000_NS6detail17trampoline_kernelINS0_14default_configENS1_25transform_config_selectorIdLb0EEEZNS1_14transform_implILb0ES3_S5_NS0_18transform_iteratorINS0_17counting_iteratorImlEEZNS1_24adjacent_difference_implIS3_Lb1ELb0EPdN6thrust23THRUST_200600_302600_NS16discard_iteratorINSD_11use_defaultEEENSD_5minusIdEEEE10hipError_tPvRmT2_T3_mT4_P12ihipStream_tbEUlmE_dEESB_NS0_8identityIvEEEESJ_SM_SN_mSO_SQ_bEUlT_E_NS1_11comp_targetILNS1_3genE9ELNS1_11target_archE1100ELNS1_3gpuE3ELNS1_3repE0EEENS1_30default_config_static_selectorELNS0_4arch9wavefront6targetE0EEEvT1_
; %bb.0:
	s_clause 0x4
	s_load_b128 s[4:7], s[0:1], 0x0
	s_load_b64 s[2:3], s[0:1], 0x18
	s_load_b64 s[12:13], s[0:1], 0x28
	s_load_b32 s11, s[0:1], 0x38
	s_load_b32 s8, s[0:1], 0x10
	s_waitcnt lgkmcnt(0)
	s_add_u32 s9, s2, s4
	s_addc_u32 s10, s3, s5
	s_lshl_b64 s[2:3], s[2:3], 3
	s_delay_alu instid0(SALU_CYCLE_1)
	s_add_u32 s4, s12, s2
	s_addc_u32 s5, s13, s3
	s_add_i32 s11, s11, -1
	s_lshl_b32 s2, s15, 9
	s_mov_b32 s3, 0
	s_cmp_lg_u32 s15, s11
	s_mov_b32 s11, -1
	s_cbranch_scc0 .LBB780_2
; %bb.1:
	s_add_u32 s11, s9, s2
	s_addc_u32 s12, s10, 0
	v_add_co_u32 v3, s11, s11, v0
	s_delay_alu instid0(VALU_DEP_1) | instskip(SKIP_1) | instid1(VALU_DEP_2)
	v_add_co_ci_u32_e64 v5, null, s12, 0, s11
	s_lshl_b64 s[12:13], s[2:3], 3
	v_mad_u64_u32 v[1:2], null, v3, s8, 0
	s_add_u32 s12, s4, s12
	s_addc_u32 s13, s5, s13
	s_mov_b32 s11, s3
	s_delay_alu instid0(VALU_DEP_1) | instskip(NEXT) | instid1(VALU_DEP_1)
	v_mad_u64_u32 v[3:4], null, v5, s8, v[2:3]
	v_dual_mov_b32 v2, v3 :: v_dual_lshlrev_b32 v3, 3, v0
	s_delay_alu instid0(VALU_DEP_1) | instskip(NEXT) | instid1(VALU_DEP_1)
	v_lshlrev_b64 v[1:2], 3, v[1:2]
	v_add_co_u32 v1, vcc_lo, s6, v1
	s_delay_alu instid0(VALU_DEP_2)
	v_add_co_ci_u32_e32 v2, vcc_lo, s7, v2, vcc_lo
	global_load_b64 v[1:2], v[1:2], off
	s_waitcnt vmcnt(0)
	global_store_b64 v3, v[1:2], s[12:13]
.LBB780_2:
	s_and_not1_b32 vcc_lo, exec_lo, s11
	s_cbranch_vccnz .LBB780_7
; %bb.3:
	s_load_b32 s0, s[0:1], 0x20
                                        ; implicit-def: $vgpr1_vgpr2
	s_waitcnt lgkmcnt(0)
	s_sub_i32 s0, s0, s2
	s_delay_alu instid0(SALU_CYCLE_1)
	v_cmp_gt_u32_e32 vcc_lo, s0, v0
	s_and_saveexec_b32 s1, vcc_lo
	s_cbranch_execz .LBB780_5
; %bb.4:
	s_add_u32 s0, s9, s2
	s_addc_u32 s9, s10, 0
	v_add_co_u32 v3, s0, s0, v0
	s_delay_alu instid0(VALU_DEP_1) | instskip(NEXT) | instid1(VALU_DEP_2)
	v_add_co_ci_u32_e64 v5, null, s9, 0, s0
	v_mad_u64_u32 v[1:2], null, v3, s8, 0
	s_delay_alu instid0(VALU_DEP_1) | instskip(NEXT) | instid1(VALU_DEP_1)
	v_mad_u64_u32 v[3:4], null, v5, s8, v[2:3]
	v_mov_b32_e32 v2, v3
	s_delay_alu instid0(VALU_DEP_1) | instskip(NEXT) | instid1(VALU_DEP_1)
	v_lshlrev_b64 v[1:2], 3, v[1:2]
	v_add_co_u32 v1, s0, s6, v1
	s_delay_alu instid0(VALU_DEP_1)
	v_add_co_ci_u32_e64 v2, s0, s7, v2, s0
	global_load_b64 v[1:2], v[1:2], off
.LBB780_5:
	s_or_b32 exec_lo, exec_lo, s1
	s_and_saveexec_b32 s0, vcc_lo
	s_cbranch_execz .LBB780_7
; %bb.6:
	s_lshl_b64 s[0:1], s[2:3], 3
	v_lshlrev_b32_e32 v0, 3, v0
	s_add_u32 s0, s4, s0
	s_addc_u32 s1, s5, s1
	s_waitcnt vmcnt(0)
	global_store_b64 v0, v[1:2], s[0:1]
.LBB780_7:
	s_nop 0
	s_sendmsg sendmsg(MSG_DEALLOC_VGPRS)
	s_endpgm
	.section	.rodata,"a",@progbits
	.p2align	6, 0x0
	.amdhsa_kernel _ZN7rocprim17ROCPRIM_400000_NS6detail17trampoline_kernelINS0_14default_configENS1_25transform_config_selectorIdLb0EEEZNS1_14transform_implILb0ES3_S5_NS0_18transform_iteratorINS0_17counting_iteratorImlEEZNS1_24adjacent_difference_implIS3_Lb1ELb0EPdN6thrust23THRUST_200600_302600_NS16discard_iteratorINSD_11use_defaultEEENSD_5minusIdEEEE10hipError_tPvRmT2_T3_mT4_P12ihipStream_tbEUlmE_dEESB_NS0_8identityIvEEEESJ_SM_SN_mSO_SQ_bEUlT_E_NS1_11comp_targetILNS1_3genE9ELNS1_11target_archE1100ELNS1_3gpuE3ELNS1_3repE0EEENS1_30default_config_static_selectorELNS0_4arch9wavefront6targetE0EEEvT1_
		.amdhsa_group_segment_fixed_size 0
		.amdhsa_private_segment_fixed_size 0
		.amdhsa_kernarg_size 312
		.amdhsa_user_sgpr_count 15
		.amdhsa_user_sgpr_dispatch_ptr 0
		.amdhsa_user_sgpr_queue_ptr 0
		.amdhsa_user_sgpr_kernarg_segment_ptr 1
		.amdhsa_user_sgpr_dispatch_id 0
		.amdhsa_user_sgpr_private_segment_size 0
		.amdhsa_wavefront_size32 1
		.amdhsa_uses_dynamic_stack 0
		.amdhsa_enable_private_segment 0
		.amdhsa_system_sgpr_workgroup_id_x 1
		.amdhsa_system_sgpr_workgroup_id_y 0
		.amdhsa_system_sgpr_workgroup_id_z 0
		.amdhsa_system_sgpr_workgroup_info 0
		.amdhsa_system_vgpr_workitem_id 0
		.amdhsa_next_free_vgpr 6
		.amdhsa_next_free_sgpr 16
		.amdhsa_reserve_vcc 1
		.amdhsa_float_round_mode_32 0
		.amdhsa_float_round_mode_16_64 0
		.amdhsa_float_denorm_mode_32 3
		.amdhsa_float_denorm_mode_16_64 3
		.amdhsa_dx10_clamp 1
		.amdhsa_ieee_mode 1
		.amdhsa_fp16_overflow 0
		.amdhsa_workgroup_processor_mode 1
		.amdhsa_memory_ordered 1
		.amdhsa_forward_progress 0
		.amdhsa_shared_vgpr_count 0
		.amdhsa_exception_fp_ieee_invalid_op 0
		.amdhsa_exception_fp_denorm_src 0
		.amdhsa_exception_fp_ieee_div_zero 0
		.amdhsa_exception_fp_ieee_overflow 0
		.amdhsa_exception_fp_ieee_underflow 0
		.amdhsa_exception_fp_ieee_inexact 0
		.amdhsa_exception_int_div_zero 0
	.end_amdhsa_kernel
	.section	.text._ZN7rocprim17ROCPRIM_400000_NS6detail17trampoline_kernelINS0_14default_configENS1_25transform_config_selectorIdLb0EEEZNS1_14transform_implILb0ES3_S5_NS0_18transform_iteratorINS0_17counting_iteratorImlEEZNS1_24adjacent_difference_implIS3_Lb1ELb0EPdN6thrust23THRUST_200600_302600_NS16discard_iteratorINSD_11use_defaultEEENSD_5minusIdEEEE10hipError_tPvRmT2_T3_mT4_P12ihipStream_tbEUlmE_dEESB_NS0_8identityIvEEEESJ_SM_SN_mSO_SQ_bEUlT_E_NS1_11comp_targetILNS1_3genE9ELNS1_11target_archE1100ELNS1_3gpuE3ELNS1_3repE0EEENS1_30default_config_static_selectorELNS0_4arch9wavefront6targetE0EEEvT1_,"axG",@progbits,_ZN7rocprim17ROCPRIM_400000_NS6detail17trampoline_kernelINS0_14default_configENS1_25transform_config_selectorIdLb0EEEZNS1_14transform_implILb0ES3_S5_NS0_18transform_iteratorINS0_17counting_iteratorImlEEZNS1_24adjacent_difference_implIS3_Lb1ELb0EPdN6thrust23THRUST_200600_302600_NS16discard_iteratorINSD_11use_defaultEEENSD_5minusIdEEEE10hipError_tPvRmT2_T3_mT4_P12ihipStream_tbEUlmE_dEESB_NS0_8identityIvEEEESJ_SM_SN_mSO_SQ_bEUlT_E_NS1_11comp_targetILNS1_3genE9ELNS1_11target_archE1100ELNS1_3gpuE3ELNS1_3repE0EEENS1_30default_config_static_selectorELNS0_4arch9wavefront6targetE0EEEvT1_,comdat
.Lfunc_end780:
	.size	_ZN7rocprim17ROCPRIM_400000_NS6detail17trampoline_kernelINS0_14default_configENS1_25transform_config_selectorIdLb0EEEZNS1_14transform_implILb0ES3_S5_NS0_18transform_iteratorINS0_17counting_iteratorImlEEZNS1_24adjacent_difference_implIS3_Lb1ELb0EPdN6thrust23THRUST_200600_302600_NS16discard_iteratorINSD_11use_defaultEEENSD_5minusIdEEEE10hipError_tPvRmT2_T3_mT4_P12ihipStream_tbEUlmE_dEESB_NS0_8identityIvEEEESJ_SM_SN_mSO_SQ_bEUlT_E_NS1_11comp_targetILNS1_3genE9ELNS1_11target_archE1100ELNS1_3gpuE3ELNS1_3repE0EEENS1_30default_config_static_selectorELNS0_4arch9wavefront6targetE0EEEvT1_, .Lfunc_end780-_ZN7rocprim17ROCPRIM_400000_NS6detail17trampoline_kernelINS0_14default_configENS1_25transform_config_selectorIdLb0EEEZNS1_14transform_implILb0ES3_S5_NS0_18transform_iteratorINS0_17counting_iteratorImlEEZNS1_24adjacent_difference_implIS3_Lb1ELb0EPdN6thrust23THRUST_200600_302600_NS16discard_iteratorINSD_11use_defaultEEENSD_5minusIdEEEE10hipError_tPvRmT2_T3_mT4_P12ihipStream_tbEUlmE_dEESB_NS0_8identityIvEEEESJ_SM_SN_mSO_SQ_bEUlT_E_NS1_11comp_targetILNS1_3genE9ELNS1_11target_archE1100ELNS1_3gpuE3ELNS1_3repE0EEENS1_30default_config_static_selectorELNS0_4arch9wavefront6targetE0EEEvT1_
                                        ; -- End function
	.section	.AMDGPU.csdata,"",@progbits
; Kernel info:
; codeLenInByte = 400
; NumSgprs: 18
; NumVgprs: 6
; ScratchSize: 0
; MemoryBound: 0
; FloatMode: 240
; IeeeMode: 1
; LDSByteSize: 0 bytes/workgroup (compile time only)
; SGPRBlocks: 2
; VGPRBlocks: 0
; NumSGPRsForWavesPerEU: 18
; NumVGPRsForWavesPerEU: 6
; Occupancy: 16
; WaveLimiterHint : 0
; COMPUTE_PGM_RSRC2:SCRATCH_EN: 0
; COMPUTE_PGM_RSRC2:USER_SGPR: 15
; COMPUTE_PGM_RSRC2:TRAP_HANDLER: 0
; COMPUTE_PGM_RSRC2:TGID_X_EN: 1
; COMPUTE_PGM_RSRC2:TGID_Y_EN: 0
; COMPUTE_PGM_RSRC2:TGID_Z_EN: 0
; COMPUTE_PGM_RSRC2:TIDIG_COMP_CNT: 0
	.section	.text._ZN7rocprim17ROCPRIM_400000_NS6detail17trampoline_kernelINS0_14default_configENS1_25transform_config_selectorIdLb0EEEZNS1_14transform_implILb0ES3_S5_NS0_18transform_iteratorINS0_17counting_iteratorImlEEZNS1_24adjacent_difference_implIS3_Lb1ELb0EPdN6thrust23THRUST_200600_302600_NS16discard_iteratorINSD_11use_defaultEEENSD_5minusIdEEEE10hipError_tPvRmT2_T3_mT4_P12ihipStream_tbEUlmE_dEESB_NS0_8identityIvEEEESJ_SM_SN_mSO_SQ_bEUlT_E_NS1_11comp_targetILNS1_3genE8ELNS1_11target_archE1030ELNS1_3gpuE2ELNS1_3repE0EEENS1_30default_config_static_selectorELNS0_4arch9wavefront6targetE0EEEvT1_,"axG",@progbits,_ZN7rocprim17ROCPRIM_400000_NS6detail17trampoline_kernelINS0_14default_configENS1_25transform_config_selectorIdLb0EEEZNS1_14transform_implILb0ES3_S5_NS0_18transform_iteratorINS0_17counting_iteratorImlEEZNS1_24adjacent_difference_implIS3_Lb1ELb0EPdN6thrust23THRUST_200600_302600_NS16discard_iteratorINSD_11use_defaultEEENSD_5minusIdEEEE10hipError_tPvRmT2_T3_mT4_P12ihipStream_tbEUlmE_dEESB_NS0_8identityIvEEEESJ_SM_SN_mSO_SQ_bEUlT_E_NS1_11comp_targetILNS1_3genE8ELNS1_11target_archE1030ELNS1_3gpuE2ELNS1_3repE0EEENS1_30default_config_static_selectorELNS0_4arch9wavefront6targetE0EEEvT1_,comdat
	.protected	_ZN7rocprim17ROCPRIM_400000_NS6detail17trampoline_kernelINS0_14default_configENS1_25transform_config_selectorIdLb0EEEZNS1_14transform_implILb0ES3_S5_NS0_18transform_iteratorINS0_17counting_iteratorImlEEZNS1_24adjacent_difference_implIS3_Lb1ELb0EPdN6thrust23THRUST_200600_302600_NS16discard_iteratorINSD_11use_defaultEEENSD_5minusIdEEEE10hipError_tPvRmT2_T3_mT4_P12ihipStream_tbEUlmE_dEESB_NS0_8identityIvEEEESJ_SM_SN_mSO_SQ_bEUlT_E_NS1_11comp_targetILNS1_3genE8ELNS1_11target_archE1030ELNS1_3gpuE2ELNS1_3repE0EEENS1_30default_config_static_selectorELNS0_4arch9wavefront6targetE0EEEvT1_ ; -- Begin function _ZN7rocprim17ROCPRIM_400000_NS6detail17trampoline_kernelINS0_14default_configENS1_25transform_config_selectorIdLb0EEEZNS1_14transform_implILb0ES3_S5_NS0_18transform_iteratorINS0_17counting_iteratorImlEEZNS1_24adjacent_difference_implIS3_Lb1ELb0EPdN6thrust23THRUST_200600_302600_NS16discard_iteratorINSD_11use_defaultEEENSD_5minusIdEEEE10hipError_tPvRmT2_T3_mT4_P12ihipStream_tbEUlmE_dEESB_NS0_8identityIvEEEESJ_SM_SN_mSO_SQ_bEUlT_E_NS1_11comp_targetILNS1_3genE8ELNS1_11target_archE1030ELNS1_3gpuE2ELNS1_3repE0EEENS1_30default_config_static_selectorELNS0_4arch9wavefront6targetE0EEEvT1_
	.globl	_ZN7rocprim17ROCPRIM_400000_NS6detail17trampoline_kernelINS0_14default_configENS1_25transform_config_selectorIdLb0EEEZNS1_14transform_implILb0ES3_S5_NS0_18transform_iteratorINS0_17counting_iteratorImlEEZNS1_24adjacent_difference_implIS3_Lb1ELb0EPdN6thrust23THRUST_200600_302600_NS16discard_iteratorINSD_11use_defaultEEENSD_5minusIdEEEE10hipError_tPvRmT2_T3_mT4_P12ihipStream_tbEUlmE_dEESB_NS0_8identityIvEEEESJ_SM_SN_mSO_SQ_bEUlT_E_NS1_11comp_targetILNS1_3genE8ELNS1_11target_archE1030ELNS1_3gpuE2ELNS1_3repE0EEENS1_30default_config_static_selectorELNS0_4arch9wavefront6targetE0EEEvT1_
	.p2align	8
	.type	_ZN7rocprim17ROCPRIM_400000_NS6detail17trampoline_kernelINS0_14default_configENS1_25transform_config_selectorIdLb0EEEZNS1_14transform_implILb0ES3_S5_NS0_18transform_iteratorINS0_17counting_iteratorImlEEZNS1_24adjacent_difference_implIS3_Lb1ELb0EPdN6thrust23THRUST_200600_302600_NS16discard_iteratorINSD_11use_defaultEEENSD_5minusIdEEEE10hipError_tPvRmT2_T3_mT4_P12ihipStream_tbEUlmE_dEESB_NS0_8identityIvEEEESJ_SM_SN_mSO_SQ_bEUlT_E_NS1_11comp_targetILNS1_3genE8ELNS1_11target_archE1030ELNS1_3gpuE2ELNS1_3repE0EEENS1_30default_config_static_selectorELNS0_4arch9wavefront6targetE0EEEvT1_,@function
_ZN7rocprim17ROCPRIM_400000_NS6detail17trampoline_kernelINS0_14default_configENS1_25transform_config_selectorIdLb0EEEZNS1_14transform_implILb0ES3_S5_NS0_18transform_iteratorINS0_17counting_iteratorImlEEZNS1_24adjacent_difference_implIS3_Lb1ELb0EPdN6thrust23THRUST_200600_302600_NS16discard_iteratorINSD_11use_defaultEEENSD_5minusIdEEEE10hipError_tPvRmT2_T3_mT4_P12ihipStream_tbEUlmE_dEESB_NS0_8identityIvEEEESJ_SM_SN_mSO_SQ_bEUlT_E_NS1_11comp_targetILNS1_3genE8ELNS1_11target_archE1030ELNS1_3gpuE2ELNS1_3repE0EEENS1_30default_config_static_selectorELNS0_4arch9wavefront6targetE0EEEvT1_: ; @_ZN7rocprim17ROCPRIM_400000_NS6detail17trampoline_kernelINS0_14default_configENS1_25transform_config_selectorIdLb0EEEZNS1_14transform_implILb0ES3_S5_NS0_18transform_iteratorINS0_17counting_iteratorImlEEZNS1_24adjacent_difference_implIS3_Lb1ELb0EPdN6thrust23THRUST_200600_302600_NS16discard_iteratorINSD_11use_defaultEEENSD_5minusIdEEEE10hipError_tPvRmT2_T3_mT4_P12ihipStream_tbEUlmE_dEESB_NS0_8identityIvEEEESJ_SM_SN_mSO_SQ_bEUlT_E_NS1_11comp_targetILNS1_3genE8ELNS1_11target_archE1030ELNS1_3gpuE2ELNS1_3repE0EEENS1_30default_config_static_selectorELNS0_4arch9wavefront6targetE0EEEvT1_
; %bb.0:
	.section	.rodata,"a",@progbits
	.p2align	6, 0x0
	.amdhsa_kernel _ZN7rocprim17ROCPRIM_400000_NS6detail17trampoline_kernelINS0_14default_configENS1_25transform_config_selectorIdLb0EEEZNS1_14transform_implILb0ES3_S5_NS0_18transform_iteratorINS0_17counting_iteratorImlEEZNS1_24adjacent_difference_implIS3_Lb1ELb0EPdN6thrust23THRUST_200600_302600_NS16discard_iteratorINSD_11use_defaultEEENSD_5minusIdEEEE10hipError_tPvRmT2_T3_mT4_P12ihipStream_tbEUlmE_dEESB_NS0_8identityIvEEEESJ_SM_SN_mSO_SQ_bEUlT_E_NS1_11comp_targetILNS1_3genE8ELNS1_11target_archE1030ELNS1_3gpuE2ELNS1_3repE0EEENS1_30default_config_static_selectorELNS0_4arch9wavefront6targetE0EEEvT1_
		.amdhsa_group_segment_fixed_size 0
		.amdhsa_private_segment_fixed_size 0
		.amdhsa_kernarg_size 56
		.amdhsa_user_sgpr_count 15
		.amdhsa_user_sgpr_dispatch_ptr 0
		.amdhsa_user_sgpr_queue_ptr 0
		.amdhsa_user_sgpr_kernarg_segment_ptr 1
		.amdhsa_user_sgpr_dispatch_id 0
		.amdhsa_user_sgpr_private_segment_size 0
		.amdhsa_wavefront_size32 1
		.amdhsa_uses_dynamic_stack 0
		.amdhsa_enable_private_segment 0
		.amdhsa_system_sgpr_workgroup_id_x 1
		.amdhsa_system_sgpr_workgroup_id_y 0
		.amdhsa_system_sgpr_workgroup_id_z 0
		.amdhsa_system_sgpr_workgroup_info 0
		.amdhsa_system_vgpr_workitem_id 0
		.amdhsa_next_free_vgpr 1
		.amdhsa_next_free_sgpr 1
		.amdhsa_reserve_vcc 0
		.amdhsa_float_round_mode_32 0
		.amdhsa_float_round_mode_16_64 0
		.amdhsa_float_denorm_mode_32 3
		.amdhsa_float_denorm_mode_16_64 3
		.amdhsa_dx10_clamp 1
		.amdhsa_ieee_mode 1
		.amdhsa_fp16_overflow 0
		.amdhsa_workgroup_processor_mode 1
		.amdhsa_memory_ordered 1
		.amdhsa_forward_progress 0
		.amdhsa_shared_vgpr_count 0
		.amdhsa_exception_fp_ieee_invalid_op 0
		.amdhsa_exception_fp_denorm_src 0
		.amdhsa_exception_fp_ieee_div_zero 0
		.amdhsa_exception_fp_ieee_overflow 0
		.amdhsa_exception_fp_ieee_underflow 0
		.amdhsa_exception_fp_ieee_inexact 0
		.amdhsa_exception_int_div_zero 0
	.end_amdhsa_kernel
	.section	.text._ZN7rocprim17ROCPRIM_400000_NS6detail17trampoline_kernelINS0_14default_configENS1_25transform_config_selectorIdLb0EEEZNS1_14transform_implILb0ES3_S5_NS0_18transform_iteratorINS0_17counting_iteratorImlEEZNS1_24adjacent_difference_implIS3_Lb1ELb0EPdN6thrust23THRUST_200600_302600_NS16discard_iteratorINSD_11use_defaultEEENSD_5minusIdEEEE10hipError_tPvRmT2_T3_mT4_P12ihipStream_tbEUlmE_dEESB_NS0_8identityIvEEEESJ_SM_SN_mSO_SQ_bEUlT_E_NS1_11comp_targetILNS1_3genE8ELNS1_11target_archE1030ELNS1_3gpuE2ELNS1_3repE0EEENS1_30default_config_static_selectorELNS0_4arch9wavefront6targetE0EEEvT1_,"axG",@progbits,_ZN7rocprim17ROCPRIM_400000_NS6detail17trampoline_kernelINS0_14default_configENS1_25transform_config_selectorIdLb0EEEZNS1_14transform_implILb0ES3_S5_NS0_18transform_iteratorINS0_17counting_iteratorImlEEZNS1_24adjacent_difference_implIS3_Lb1ELb0EPdN6thrust23THRUST_200600_302600_NS16discard_iteratorINSD_11use_defaultEEENSD_5minusIdEEEE10hipError_tPvRmT2_T3_mT4_P12ihipStream_tbEUlmE_dEESB_NS0_8identityIvEEEESJ_SM_SN_mSO_SQ_bEUlT_E_NS1_11comp_targetILNS1_3genE8ELNS1_11target_archE1030ELNS1_3gpuE2ELNS1_3repE0EEENS1_30default_config_static_selectorELNS0_4arch9wavefront6targetE0EEEvT1_,comdat
.Lfunc_end781:
	.size	_ZN7rocprim17ROCPRIM_400000_NS6detail17trampoline_kernelINS0_14default_configENS1_25transform_config_selectorIdLb0EEEZNS1_14transform_implILb0ES3_S5_NS0_18transform_iteratorINS0_17counting_iteratorImlEEZNS1_24adjacent_difference_implIS3_Lb1ELb0EPdN6thrust23THRUST_200600_302600_NS16discard_iteratorINSD_11use_defaultEEENSD_5minusIdEEEE10hipError_tPvRmT2_T3_mT4_P12ihipStream_tbEUlmE_dEESB_NS0_8identityIvEEEESJ_SM_SN_mSO_SQ_bEUlT_E_NS1_11comp_targetILNS1_3genE8ELNS1_11target_archE1030ELNS1_3gpuE2ELNS1_3repE0EEENS1_30default_config_static_selectorELNS0_4arch9wavefront6targetE0EEEvT1_, .Lfunc_end781-_ZN7rocprim17ROCPRIM_400000_NS6detail17trampoline_kernelINS0_14default_configENS1_25transform_config_selectorIdLb0EEEZNS1_14transform_implILb0ES3_S5_NS0_18transform_iteratorINS0_17counting_iteratorImlEEZNS1_24adjacent_difference_implIS3_Lb1ELb0EPdN6thrust23THRUST_200600_302600_NS16discard_iteratorINSD_11use_defaultEEENSD_5minusIdEEEE10hipError_tPvRmT2_T3_mT4_P12ihipStream_tbEUlmE_dEESB_NS0_8identityIvEEEESJ_SM_SN_mSO_SQ_bEUlT_E_NS1_11comp_targetILNS1_3genE8ELNS1_11target_archE1030ELNS1_3gpuE2ELNS1_3repE0EEENS1_30default_config_static_selectorELNS0_4arch9wavefront6targetE0EEEvT1_
                                        ; -- End function
	.section	.AMDGPU.csdata,"",@progbits
; Kernel info:
; codeLenInByte = 0
; NumSgprs: 0
; NumVgprs: 0
; ScratchSize: 0
; MemoryBound: 0
; FloatMode: 240
; IeeeMode: 1
; LDSByteSize: 0 bytes/workgroup (compile time only)
; SGPRBlocks: 0
; VGPRBlocks: 0
; NumSGPRsForWavesPerEU: 1
; NumVGPRsForWavesPerEU: 1
; Occupancy: 16
; WaveLimiterHint : 0
; COMPUTE_PGM_RSRC2:SCRATCH_EN: 0
; COMPUTE_PGM_RSRC2:USER_SGPR: 15
; COMPUTE_PGM_RSRC2:TRAP_HANDLER: 0
; COMPUTE_PGM_RSRC2:TGID_X_EN: 1
; COMPUTE_PGM_RSRC2:TGID_Y_EN: 0
; COMPUTE_PGM_RSRC2:TGID_Z_EN: 0
; COMPUTE_PGM_RSRC2:TIDIG_COMP_CNT: 0
	.section	.text._ZN7rocprim17ROCPRIM_400000_NS6detail17trampoline_kernelINS0_14default_configENS1_35adjacent_difference_config_selectorILb1EdEEZNS1_24adjacent_difference_implIS3_Lb1ELb0EPdN6thrust23THRUST_200600_302600_NS16discard_iteratorINS9_11use_defaultEEENS9_5minusIdEEEE10hipError_tPvRmT2_T3_mT4_P12ihipStream_tbEUlT_E_NS1_11comp_targetILNS1_3genE0ELNS1_11target_archE4294967295ELNS1_3gpuE0ELNS1_3repE0EEENS1_30default_config_static_selectorELNS0_4arch9wavefront6targetE0EEEvT1_,"axG",@progbits,_ZN7rocprim17ROCPRIM_400000_NS6detail17trampoline_kernelINS0_14default_configENS1_35adjacent_difference_config_selectorILb1EdEEZNS1_24adjacent_difference_implIS3_Lb1ELb0EPdN6thrust23THRUST_200600_302600_NS16discard_iteratorINS9_11use_defaultEEENS9_5minusIdEEEE10hipError_tPvRmT2_T3_mT4_P12ihipStream_tbEUlT_E_NS1_11comp_targetILNS1_3genE0ELNS1_11target_archE4294967295ELNS1_3gpuE0ELNS1_3repE0EEENS1_30default_config_static_selectorELNS0_4arch9wavefront6targetE0EEEvT1_,comdat
	.protected	_ZN7rocprim17ROCPRIM_400000_NS6detail17trampoline_kernelINS0_14default_configENS1_35adjacent_difference_config_selectorILb1EdEEZNS1_24adjacent_difference_implIS3_Lb1ELb0EPdN6thrust23THRUST_200600_302600_NS16discard_iteratorINS9_11use_defaultEEENS9_5minusIdEEEE10hipError_tPvRmT2_T3_mT4_P12ihipStream_tbEUlT_E_NS1_11comp_targetILNS1_3genE0ELNS1_11target_archE4294967295ELNS1_3gpuE0ELNS1_3repE0EEENS1_30default_config_static_selectorELNS0_4arch9wavefront6targetE0EEEvT1_ ; -- Begin function _ZN7rocprim17ROCPRIM_400000_NS6detail17trampoline_kernelINS0_14default_configENS1_35adjacent_difference_config_selectorILb1EdEEZNS1_24adjacent_difference_implIS3_Lb1ELb0EPdN6thrust23THRUST_200600_302600_NS16discard_iteratorINS9_11use_defaultEEENS9_5minusIdEEEE10hipError_tPvRmT2_T3_mT4_P12ihipStream_tbEUlT_E_NS1_11comp_targetILNS1_3genE0ELNS1_11target_archE4294967295ELNS1_3gpuE0ELNS1_3repE0EEENS1_30default_config_static_selectorELNS0_4arch9wavefront6targetE0EEEvT1_
	.globl	_ZN7rocprim17ROCPRIM_400000_NS6detail17trampoline_kernelINS0_14default_configENS1_35adjacent_difference_config_selectorILb1EdEEZNS1_24adjacent_difference_implIS3_Lb1ELb0EPdN6thrust23THRUST_200600_302600_NS16discard_iteratorINS9_11use_defaultEEENS9_5minusIdEEEE10hipError_tPvRmT2_T3_mT4_P12ihipStream_tbEUlT_E_NS1_11comp_targetILNS1_3genE0ELNS1_11target_archE4294967295ELNS1_3gpuE0ELNS1_3repE0EEENS1_30default_config_static_selectorELNS0_4arch9wavefront6targetE0EEEvT1_
	.p2align	8
	.type	_ZN7rocprim17ROCPRIM_400000_NS6detail17trampoline_kernelINS0_14default_configENS1_35adjacent_difference_config_selectorILb1EdEEZNS1_24adjacent_difference_implIS3_Lb1ELb0EPdN6thrust23THRUST_200600_302600_NS16discard_iteratorINS9_11use_defaultEEENS9_5minusIdEEEE10hipError_tPvRmT2_T3_mT4_P12ihipStream_tbEUlT_E_NS1_11comp_targetILNS1_3genE0ELNS1_11target_archE4294967295ELNS1_3gpuE0ELNS1_3repE0EEENS1_30default_config_static_selectorELNS0_4arch9wavefront6targetE0EEEvT1_,@function
_ZN7rocprim17ROCPRIM_400000_NS6detail17trampoline_kernelINS0_14default_configENS1_35adjacent_difference_config_selectorILb1EdEEZNS1_24adjacent_difference_implIS3_Lb1ELb0EPdN6thrust23THRUST_200600_302600_NS16discard_iteratorINS9_11use_defaultEEENS9_5minusIdEEEE10hipError_tPvRmT2_T3_mT4_P12ihipStream_tbEUlT_E_NS1_11comp_targetILNS1_3genE0ELNS1_11target_archE4294967295ELNS1_3gpuE0ELNS1_3repE0EEENS1_30default_config_static_selectorELNS0_4arch9wavefront6targetE0EEEvT1_: ; @_ZN7rocprim17ROCPRIM_400000_NS6detail17trampoline_kernelINS0_14default_configENS1_35adjacent_difference_config_selectorILb1EdEEZNS1_24adjacent_difference_implIS3_Lb1ELb0EPdN6thrust23THRUST_200600_302600_NS16discard_iteratorINS9_11use_defaultEEENS9_5minusIdEEEE10hipError_tPvRmT2_T3_mT4_P12ihipStream_tbEUlT_E_NS1_11comp_targetILNS1_3genE0ELNS1_11target_archE4294967295ELNS1_3gpuE0ELNS1_3repE0EEENS1_30default_config_static_selectorELNS0_4arch9wavefront6targetE0EEEvT1_
; %bb.0:
	.section	.rodata,"a",@progbits
	.p2align	6, 0x0
	.amdhsa_kernel _ZN7rocprim17ROCPRIM_400000_NS6detail17trampoline_kernelINS0_14default_configENS1_35adjacent_difference_config_selectorILb1EdEEZNS1_24adjacent_difference_implIS3_Lb1ELb0EPdN6thrust23THRUST_200600_302600_NS16discard_iteratorINS9_11use_defaultEEENS9_5minusIdEEEE10hipError_tPvRmT2_T3_mT4_P12ihipStream_tbEUlT_E_NS1_11comp_targetILNS1_3genE0ELNS1_11target_archE4294967295ELNS1_3gpuE0ELNS1_3repE0EEENS1_30default_config_static_selectorELNS0_4arch9wavefront6targetE0EEEvT1_
		.amdhsa_group_segment_fixed_size 0
		.amdhsa_private_segment_fixed_size 0
		.amdhsa_kernarg_size 64
		.amdhsa_user_sgpr_count 15
		.amdhsa_user_sgpr_dispatch_ptr 0
		.amdhsa_user_sgpr_queue_ptr 0
		.amdhsa_user_sgpr_kernarg_segment_ptr 1
		.amdhsa_user_sgpr_dispatch_id 0
		.amdhsa_user_sgpr_private_segment_size 0
		.amdhsa_wavefront_size32 1
		.amdhsa_uses_dynamic_stack 0
		.amdhsa_enable_private_segment 0
		.amdhsa_system_sgpr_workgroup_id_x 1
		.amdhsa_system_sgpr_workgroup_id_y 0
		.amdhsa_system_sgpr_workgroup_id_z 0
		.amdhsa_system_sgpr_workgroup_info 0
		.amdhsa_system_vgpr_workitem_id 0
		.amdhsa_next_free_vgpr 1
		.amdhsa_next_free_sgpr 1
		.amdhsa_reserve_vcc 0
		.amdhsa_float_round_mode_32 0
		.amdhsa_float_round_mode_16_64 0
		.amdhsa_float_denorm_mode_32 3
		.amdhsa_float_denorm_mode_16_64 3
		.amdhsa_dx10_clamp 1
		.amdhsa_ieee_mode 1
		.amdhsa_fp16_overflow 0
		.amdhsa_workgroup_processor_mode 1
		.amdhsa_memory_ordered 1
		.amdhsa_forward_progress 0
		.amdhsa_shared_vgpr_count 0
		.amdhsa_exception_fp_ieee_invalid_op 0
		.amdhsa_exception_fp_denorm_src 0
		.amdhsa_exception_fp_ieee_div_zero 0
		.amdhsa_exception_fp_ieee_overflow 0
		.amdhsa_exception_fp_ieee_underflow 0
		.amdhsa_exception_fp_ieee_inexact 0
		.amdhsa_exception_int_div_zero 0
	.end_amdhsa_kernel
	.section	.text._ZN7rocprim17ROCPRIM_400000_NS6detail17trampoline_kernelINS0_14default_configENS1_35adjacent_difference_config_selectorILb1EdEEZNS1_24adjacent_difference_implIS3_Lb1ELb0EPdN6thrust23THRUST_200600_302600_NS16discard_iteratorINS9_11use_defaultEEENS9_5minusIdEEEE10hipError_tPvRmT2_T3_mT4_P12ihipStream_tbEUlT_E_NS1_11comp_targetILNS1_3genE0ELNS1_11target_archE4294967295ELNS1_3gpuE0ELNS1_3repE0EEENS1_30default_config_static_selectorELNS0_4arch9wavefront6targetE0EEEvT1_,"axG",@progbits,_ZN7rocprim17ROCPRIM_400000_NS6detail17trampoline_kernelINS0_14default_configENS1_35adjacent_difference_config_selectorILb1EdEEZNS1_24adjacent_difference_implIS3_Lb1ELb0EPdN6thrust23THRUST_200600_302600_NS16discard_iteratorINS9_11use_defaultEEENS9_5minusIdEEEE10hipError_tPvRmT2_T3_mT4_P12ihipStream_tbEUlT_E_NS1_11comp_targetILNS1_3genE0ELNS1_11target_archE4294967295ELNS1_3gpuE0ELNS1_3repE0EEENS1_30default_config_static_selectorELNS0_4arch9wavefront6targetE0EEEvT1_,comdat
.Lfunc_end782:
	.size	_ZN7rocprim17ROCPRIM_400000_NS6detail17trampoline_kernelINS0_14default_configENS1_35adjacent_difference_config_selectorILb1EdEEZNS1_24adjacent_difference_implIS3_Lb1ELb0EPdN6thrust23THRUST_200600_302600_NS16discard_iteratorINS9_11use_defaultEEENS9_5minusIdEEEE10hipError_tPvRmT2_T3_mT4_P12ihipStream_tbEUlT_E_NS1_11comp_targetILNS1_3genE0ELNS1_11target_archE4294967295ELNS1_3gpuE0ELNS1_3repE0EEENS1_30default_config_static_selectorELNS0_4arch9wavefront6targetE0EEEvT1_, .Lfunc_end782-_ZN7rocprim17ROCPRIM_400000_NS6detail17trampoline_kernelINS0_14default_configENS1_35adjacent_difference_config_selectorILb1EdEEZNS1_24adjacent_difference_implIS3_Lb1ELb0EPdN6thrust23THRUST_200600_302600_NS16discard_iteratorINS9_11use_defaultEEENS9_5minusIdEEEE10hipError_tPvRmT2_T3_mT4_P12ihipStream_tbEUlT_E_NS1_11comp_targetILNS1_3genE0ELNS1_11target_archE4294967295ELNS1_3gpuE0ELNS1_3repE0EEENS1_30default_config_static_selectorELNS0_4arch9wavefront6targetE0EEEvT1_
                                        ; -- End function
	.section	.AMDGPU.csdata,"",@progbits
; Kernel info:
; codeLenInByte = 0
; NumSgprs: 0
; NumVgprs: 0
; ScratchSize: 0
; MemoryBound: 0
; FloatMode: 240
; IeeeMode: 1
; LDSByteSize: 0 bytes/workgroup (compile time only)
; SGPRBlocks: 0
; VGPRBlocks: 0
; NumSGPRsForWavesPerEU: 1
; NumVGPRsForWavesPerEU: 1
; Occupancy: 16
; WaveLimiterHint : 0
; COMPUTE_PGM_RSRC2:SCRATCH_EN: 0
; COMPUTE_PGM_RSRC2:USER_SGPR: 15
; COMPUTE_PGM_RSRC2:TRAP_HANDLER: 0
; COMPUTE_PGM_RSRC2:TGID_X_EN: 1
; COMPUTE_PGM_RSRC2:TGID_Y_EN: 0
; COMPUTE_PGM_RSRC2:TGID_Z_EN: 0
; COMPUTE_PGM_RSRC2:TIDIG_COMP_CNT: 0
	.section	.text._ZN7rocprim17ROCPRIM_400000_NS6detail17trampoline_kernelINS0_14default_configENS1_35adjacent_difference_config_selectorILb1EdEEZNS1_24adjacent_difference_implIS3_Lb1ELb0EPdN6thrust23THRUST_200600_302600_NS16discard_iteratorINS9_11use_defaultEEENS9_5minusIdEEEE10hipError_tPvRmT2_T3_mT4_P12ihipStream_tbEUlT_E_NS1_11comp_targetILNS1_3genE10ELNS1_11target_archE1201ELNS1_3gpuE5ELNS1_3repE0EEENS1_30default_config_static_selectorELNS0_4arch9wavefront6targetE0EEEvT1_,"axG",@progbits,_ZN7rocprim17ROCPRIM_400000_NS6detail17trampoline_kernelINS0_14default_configENS1_35adjacent_difference_config_selectorILb1EdEEZNS1_24adjacent_difference_implIS3_Lb1ELb0EPdN6thrust23THRUST_200600_302600_NS16discard_iteratorINS9_11use_defaultEEENS9_5minusIdEEEE10hipError_tPvRmT2_T3_mT4_P12ihipStream_tbEUlT_E_NS1_11comp_targetILNS1_3genE10ELNS1_11target_archE1201ELNS1_3gpuE5ELNS1_3repE0EEENS1_30default_config_static_selectorELNS0_4arch9wavefront6targetE0EEEvT1_,comdat
	.protected	_ZN7rocprim17ROCPRIM_400000_NS6detail17trampoline_kernelINS0_14default_configENS1_35adjacent_difference_config_selectorILb1EdEEZNS1_24adjacent_difference_implIS3_Lb1ELb0EPdN6thrust23THRUST_200600_302600_NS16discard_iteratorINS9_11use_defaultEEENS9_5minusIdEEEE10hipError_tPvRmT2_T3_mT4_P12ihipStream_tbEUlT_E_NS1_11comp_targetILNS1_3genE10ELNS1_11target_archE1201ELNS1_3gpuE5ELNS1_3repE0EEENS1_30default_config_static_selectorELNS0_4arch9wavefront6targetE0EEEvT1_ ; -- Begin function _ZN7rocprim17ROCPRIM_400000_NS6detail17trampoline_kernelINS0_14default_configENS1_35adjacent_difference_config_selectorILb1EdEEZNS1_24adjacent_difference_implIS3_Lb1ELb0EPdN6thrust23THRUST_200600_302600_NS16discard_iteratorINS9_11use_defaultEEENS9_5minusIdEEEE10hipError_tPvRmT2_T3_mT4_P12ihipStream_tbEUlT_E_NS1_11comp_targetILNS1_3genE10ELNS1_11target_archE1201ELNS1_3gpuE5ELNS1_3repE0EEENS1_30default_config_static_selectorELNS0_4arch9wavefront6targetE0EEEvT1_
	.globl	_ZN7rocprim17ROCPRIM_400000_NS6detail17trampoline_kernelINS0_14default_configENS1_35adjacent_difference_config_selectorILb1EdEEZNS1_24adjacent_difference_implIS3_Lb1ELb0EPdN6thrust23THRUST_200600_302600_NS16discard_iteratorINS9_11use_defaultEEENS9_5minusIdEEEE10hipError_tPvRmT2_T3_mT4_P12ihipStream_tbEUlT_E_NS1_11comp_targetILNS1_3genE10ELNS1_11target_archE1201ELNS1_3gpuE5ELNS1_3repE0EEENS1_30default_config_static_selectorELNS0_4arch9wavefront6targetE0EEEvT1_
	.p2align	8
	.type	_ZN7rocprim17ROCPRIM_400000_NS6detail17trampoline_kernelINS0_14default_configENS1_35adjacent_difference_config_selectorILb1EdEEZNS1_24adjacent_difference_implIS3_Lb1ELb0EPdN6thrust23THRUST_200600_302600_NS16discard_iteratorINS9_11use_defaultEEENS9_5minusIdEEEE10hipError_tPvRmT2_T3_mT4_P12ihipStream_tbEUlT_E_NS1_11comp_targetILNS1_3genE10ELNS1_11target_archE1201ELNS1_3gpuE5ELNS1_3repE0EEENS1_30default_config_static_selectorELNS0_4arch9wavefront6targetE0EEEvT1_,@function
_ZN7rocprim17ROCPRIM_400000_NS6detail17trampoline_kernelINS0_14default_configENS1_35adjacent_difference_config_selectorILb1EdEEZNS1_24adjacent_difference_implIS3_Lb1ELb0EPdN6thrust23THRUST_200600_302600_NS16discard_iteratorINS9_11use_defaultEEENS9_5minusIdEEEE10hipError_tPvRmT2_T3_mT4_P12ihipStream_tbEUlT_E_NS1_11comp_targetILNS1_3genE10ELNS1_11target_archE1201ELNS1_3gpuE5ELNS1_3repE0EEENS1_30default_config_static_selectorELNS0_4arch9wavefront6targetE0EEEvT1_: ; @_ZN7rocprim17ROCPRIM_400000_NS6detail17trampoline_kernelINS0_14default_configENS1_35adjacent_difference_config_selectorILb1EdEEZNS1_24adjacent_difference_implIS3_Lb1ELb0EPdN6thrust23THRUST_200600_302600_NS16discard_iteratorINS9_11use_defaultEEENS9_5minusIdEEEE10hipError_tPvRmT2_T3_mT4_P12ihipStream_tbEUlT_E_NS1_11comp_targetILNS1_3genE10ELNS1_11target_archE1201ELNS1_3gpuE5ELNS1_3repE0EEENS1_30default_config_static_selectorELNS0_4arch9wavefront6targetE0EEEvT1_
; %bb.0:
	.section	.rodata,"a",@progbits
	.p2align	6, 0x0
	.amdhsa_kernel _ZN7rocprim17ROCPRIM_400000_NS6detail17trampoline_kernelINS0_14default_configENS1_35adjacent_difference_config_selectorILb1EdEEZNS1_24adjacent_difference_implIS3_Lb1ELb0EPdN6thrust23THRUST_200600_302600_NS16discard_iteratorINS9_11use_defaultEEENS9_5minusIdEEEE10hipError_tPvRmT2_T3_mT4_P12ihipStream_tbEUlT_E_NS1_11comp_targetILNS1_3genE10ELNS1_11target_archE1201ELNS1_3gpuE5ELNS1_3repE0EEENS1_30default_config_static_selectorELNS0_4arch9wavefront6targetE0EEEvT1_
		.amdhsa_group_segment_fixed_size 0
		.amdhsa_private_segment_fixed_size 0
		.amdhsa_kernarg_size 64
		.amdhsa_user_sgpr_count 15
		.amdhsa_user_sgpr_dispatch_ptr 0
		.amdhsa_user_sgpr_queue_ptr 0
		.amdhsa_user_sgpr_kernarg_segment_ptr 1
		.amdhsa_user_sgpr_dispatch_id 0
		.amdhsa_user_sgpr_private_segment_size 0
		.amdhsa_wavefront_size32 1
		.amdhsa_uses_dynamic_stack 0
		.amdhsa_enable_private_segment 0
		.amdhsa_system_sgpr_workgroup_id_x 1
		.amdhsa_system_sgpr_workgroup_id_y 0
		.amdhsa_system_sgpr_workgroup_id_z 0
		.amdhsa_system_sgpr_workgroup_info 0
		.amdhsa_system_vgpr_workitem_id 0
		.amdhsa_next_free_vgpr 1
		.amdhsa_next_free_sgpr 1
		.amdhsa_reserve_vcc 0
		.amdhsa_float_round_mode_32 0
		.amdhsa_float_round_mode_16_64 0
		.amdhsa_float_denorm_mode_32 3
		.amdhsa_float_denorm_mode_16_64 3
		.amdhsa_dx10_clamp 1
		.amdhsa_ieee_mode 1
		.amdhsa_fp16_overflow 0
		.amdhsa_workgroup_processor_mode 1
		.amdhsa_memory_ordered 1
		.amdhsa_forward_progress 0
		.amdhsa_shared_vgpr_count 0
		.amdhsa_exception_fp_ieee_invalid_op 0
		.amdhsa_exception_fp_denorm_src 0
		.amdhsa_exception_fp_ieee_div_zero 0
		.amdhsa_exception_fp_ieee_overflow 0
		.amdhsa_exception_fp_ieee_underflow 0
		.amdhsa_exception_fp_ieee_inexact 0
		.amdhsa_exception_int_div_zero 0
	.end_amdhsa_kernel
	.section	.text._ZN7rocprim17ROCPRIM_400000_NS6detail17trampoline_kernelINS0_14default_configENS1_35adjacent_difference_config_selectorILb1EdEEZNS1_24adjacent_difference_implIS3_Lb1ELb0EPdN6thrust23THRUST_200600_302600_NS16discard_iteratorINS9_11use_defaultEEENS9_5minusIdEEEE10hipError_tPvRmT2_T3_mT4_P12ihipStream_tbEUlT_E_NS1_11comp_targetILNS1_3genE10ELNS1_11target_archE1201ELNS1_3gpuE5ELNS1_3repE0EEENS1_30default_config_static_selectorELNS0_4arch9wavefront6targetE0EEEvT1_,"axG",@progbits,_ZN7rocprim17ROCPRIM_400000_NS6detail17trampoline_kernelINS0_14default_configENS1_35adjacent_difference_config_selectorILb1EdEEZNS1_24adjacent_difference_implIS3_Lb1ELb0EPdN6thrust23THRUST_200600_302600_NS16discard_iteratorINS9_11use_defaultEEENS9_5minusIdEEEE10hipError_tPvRmT2_T3_mT4_P12ihipStream_tbEUlT_E_NS1_11comp_targetILNS1_3genE10ELNS1_11target_archE1201ELNS1_3gpuE5ELNS1_3repE0EEENS1_30default_config_static_selectorELNS0_4arch9wavefront6targetE0EEEvT1_,comdat
.Lfunc_end783:
	.size	_ZN7rocprim17ROCPRIM_400000_NS6detail17trampoline_kernelINS0_14default_configENS1_35adjacent_difference_config_selectorILb1EdEEZNS1_24adjacent_difference_implIS3_Lb1ELb0EPdN6thrust23THRUST_200600_302600_NS16discard_iteratorINS9_11use_defaultEEENS9_5minusIdEEEE10hipError_tPvRmT2_T3_mT4_P12ihipStream_tbEUlT_E_NS1_11comp_targetILNS1_3genE10ELNS1_11target_archE1201ELNS1_3gpuE5ELNS1_3repE0EEENS1_30default_config_static_selectorELNS0_4arch9wavefront6targetE0EEEvT1_, .Lfunc_end783-_ZN7rocprim17ROCPRIM_400000_NS6detail17trampoline_kernelINS0_14default_configENS1_35adjacent_difference_config_selectorILb1EdEEZNS1_24adjacent_difference_implIS3_Lb1ELb0EPdN6thrust23THRUST_200600_302600_NS16discard_iteratorINS9_11use_defaultEEENS9_5minusIdEEEE10hipError_tPvRmT2_T3_mT4_P12ihipStream_tbEUlT_E_NS1_11comp_targetILNS1_3genE10ELNS1_11target_archE1201ELNS1_3gpuE5ELNS1_3repE0EEENS1_30default_config_static_selectorELNS0_4arch9wavefront6targetE0EEEvT1_
                                        ; -- End function
	.section	.AMDGPU.csdata,"",@progbits
; Kernel info:
; codeLenInByte = 0
; NumSgprs: 0
; NumVgprs: 0
; ScratchSize: 0
; MemoryBound: 0
; FloatMode: 240
; IeeeMode: 1
; LDSByteSize: 0 bytes/workgroup (compile time only)
; SGPRBlocks: 0
; VGPRBlocks: 0
; NumSGPRsForWavesPerEU: 1
; NumVGPRsForWavesPerEU: 1
; Occupancy: 16
; WaveLimiterHint : 0
; COMPUTE_PGM_RSRC2:SCRATCH_EN: 0
; COMPUTE_PGM_RSRC2:USER_SGPR: 15
; COMPUTE_PGM_RSRC2:TRAP_HANDLER: 0
; COMPUTE_PGM_RSRC2:TGID_X_EN: 1
; COMPUTE_PGM_RSRC2:TGID_Y_EN: 0
; COMPUTE_PGM_RSRC2:TGID_Z_EN: 0
; COMPUTE_PGM_RSRC2:TIDIG_COMP_CNT: 0
	.section	.text._ZN7rocprim17ROCPRIM_400000_NS6detail17trampoline_kernelINS0_14default_configENS1_35adjacent_difference_config_selectorILb1EdEEZNS1_24adjacent_difference_implIS3_Lb1ELb0EPdN6thrust23THRUST_200600_302600_NS16discard_iteratorINS9_11use_defaultEEENS9_5minusIdEEEE10hipError_tPvRmT2_T3_mT4_P12ihipStream_tbEUlT_E_NS1_11comp_targetILNS1_3genE5ELNS1_11target_archE942ELNS1_3gpuE9ELNS1_3repE0EEENS1_30default_config_static_selectorELNS0_4arch9wavefront6targetE0EEEvT1_,"axG",@progbits,_ZN7rocprim17ROCPRIM_400000_NS6detail17trampoline_kernelINS0_14default_configENS1_35adjacent_difference_config_selectorILb1EdEEZNS1_24adjacent_difference_implIS3_Lb1ELb0EPdN6thrust23THRUST_200600_302600_NS16discard_iteratorINS9_11use_defaultEEENS9_5minusIdEEEE10hipError_tPvRmT2_T3_mT4_P12ihipStream_tbEUlT_E_NS1_11comp_targetILNS1_3genE5ELNS1_11target_archE942ELNS1_3gpuE9ELNS1_3repE0EEENS1_30default_config_static_selectorELNS0_4arch9wavefront6targetE0EEEvT1_,comdat
	.protected	_ZN7rocprim17ROCPRIM_400000_NS6detail17trampoline_kernelINS0_14default_configENS1_35adjacent_difference_config_selectorILb1EdEEZNS1_24adjacent_difference_implIS3_Lb1ELb0EPdN6thrust23THRUST_200600_302600_NS16discard_iteratorINS9_11use_defaultEEENS9_5minusIdEEEE10hipError_tPvRmT2_T3_mT4_P12ihipStream_tbEUlT_E_NS1_11comp_targetILNS1_3genE5ELNS1_11target_archE942ELNS1_3gpuE9ELNS1_3repE0EEENS1_30default_config_static_selectorELNS0_4arch9wavefront6targetE0EEEvT1_ ; -- Begin function _ZN7rocprim17ROCPRIM_400000_NS6detail17trampoline_kernelINS0_14default_configENS1_35adjacent_difference_config_selectorILb1EdEEZNS1_24adjacent_difference_implIS3_Lb1ELb0EPdN6thrust23THRUST_200600_302600_NS16discard_iteratorINS9_11use_defaultEEENS9_5minusIdEEEE10hipError_tPvRmT2_T3_mT4_P12ihipStream_tbEUlT_E_NS1_11comp_targetILNS1_3genE5ELNS1_11target_archE942ELNS1_3gpuE9ELNS1_3repE0EEENS1_30default_config_static_selectorELNS0_4arch9wavefront6targetE0EEEvT1_
	.globl	_ZN7rocprim17ROCPRIM_400000_NS6detail17trampoline_kernelINS0_14default_configENS1_35adjacent_difference_config_selectorILb1EdEEZNS1_24adjacent_difference_implIS3_Lb1ELb0EPdN6thrust23THRUST_200600_302600_NS16discard_iteratorINS9_11use_defaultEEENS9_5minusIdEEEE10hipError_tPvRmT2_T3_mT4_P12ihipStream_tbEUlT_E_NS1_11comp_targetILNS1_3genE5ELNS1_11target_archE942ELNS1_3gpuE9ELNS1_3repE0EEENS1_30default_config_static_selectorELNS0_4arch9wavefront6targetE0EEEvT1_
	.p2align	8
	.type	_ZN7rocprim17ROCPRIM_400000_NS6detail17trampoline_kernelINS0_14default_configENS1_35adjacent_difference_config_selectorILb1EdEEZNS1_24adjacent_difference_implIS3_Lb1ELb0EPdN6thrust23THRUST_200600_302600_NS16discard_iteratorINS9_11use_defaultEEENS9_5minusIdEEEE10hipError_tPvRmT2_T3_mT4_P12ihipStream_tbEUlT_E_NS1_11comp_targetILNS1_3genE5ELNS1_11target_archE942ELNS1_3gpuE9ELNS1_3repE0EEENS1_30default_config_static_selectorELNS0_4arch9wavefront6targetE0EEEvT1_,@function
_ZN7rocprim17ROCPRIM_400000_NS6detail17trampoline_kernelINS0_14default_configENS1_35adjacent_difference_config_selectorILb1EdEEZNS1_24adjacent_difference_implIS3_Lb1ELb0EPdN6thrust23THRUST_200600_302600_NS16discard_iteratorINS9_11use_defaultEEENS9_5minusIdEEEE10hipError_tPvRmT2_T3_mT4_P12ihipStream_tbEUlT_E_NS1_11comp_targetILNS1_3genE5ELNS1_11target_archE942ELNS1_3gpuE9ELNS1_3repE0EEENS1_30default_config_static_selectorELNS0_4arch9wavefront6targetE0EEEvT1_: ; @_ZN7rocprim17ROCPRIM_400000_NS6detail17trampoline_kernelINS0_14default_configENS1_35adjacent_difference_config_selectorILb1EdEEZNS1_24adjacent_difference_implIS3_Lb1ELb0EPdN6thrust23THRUST_200600_302600_NS16discard_iteratorINS9_11use_defaultEEENS9_5minusIdEEEE10hipError_tPvRmT2_T3_mT4_P12ihipStream_tbEUlT_E_NS1_11comp_targetILNS1_3genE5ELNS1_11target_archE942ELNS1_3gpuE9ELNS1_3repE0EEENS1_30default_config_static_selectorELNS0_4arch9wavefront6targetE0EEEvT1_
; %bb.0:
	.section	.rodata,"a",@progbits
	.p2align	6, 0x0
	.amdhsa_kernel _ZN7rocprim17ROCPRIM_400000_NS6detail17trampoline_kernelINS0_14default_configENS1_35adjacent_difference_config_selectorILb1EdEEZNS1_24adjacent_difference_implIS3_Lb1ELb0EPdN6thrust23THRUST_200600_302600_NS16discard_iteratorINS9_11use_defaultEEENS9_5minusIdEEEE10hipError_tPvRmT2_T3_mT4_P12ihipStream_tbEUlT_E_NS1_11comp_targetILNS1_3genE5ELNS1_11target_archE942ELNS1_3gpuE9ELNS1_3repE0EEENS1_30default_config_static_selectorELNS0_4arch9wavefront6targetE0EEEvT1_
		.amdhsa_group_segment_fixed_size 0
		.amdhsa_private_segment_fixed_size 0
		.amdhsa_kernarg_size 64
		.amdhsa_user_sgpr_count 15
		.amdhsa_user_sgpr_dispatch_ptr 0
		.amdhsa_user_sgpr_queue_ptr 0
		.amdhsa_user_sgpr_kernarg_segment_ptr 1
		.amdhsa_user_sgpr_dispatch_id 0
		.amdhsa_user_sgpr_private_segment_size 0
		.amdhsa_wavefront_size32 1
		.amdhsa_uses_dynamic_stack 0
		.amdhsa_enable_private_segment 0
		.amdhsa_system_sgpr_workgroup_id_x 1
		.amdhsa_system_sgpr_workgroup_id_y 0
		.amdhsa_system_sgpr_workgroup_id_z 0
		.amdhsa_system_sgpr_workgroup_info 0
		.amdhsa_system_vgpr_workitem_id 0
		.amdhsa_next_free_vgpr 1
		.amdhsa_next_free_sgpr 1
		.amdhsa_reserve_vcc 0
		.amdhsa_float_round_mode_32 0
		.amdhsa_float_round_mode_16_64 0
		.amdhsa_float_denorm_mode_32 3
		.amdhsa_float_denorm_mode_16_64 3
		.amdhsa_dx10_clamp 1
		.amdhsa_ieee_mode 1
		.amdhsa_fp16_overflow 0
		.amdhsa_workgroup_processor_mode 1
		.amdhsa_memory_ordered 1
		.amdhsa_forward_progress 0
		.amdhsa_shared_vgpr_count 0
		.amdhsa_exception_fp_ieee_invalid_op 0
		.amdhsa_exception_fp_denorm_src 0
		.amdhsa_exception_fp_ieee_div_zero 0
		.amdhsa_exception_fp_ieee_overflow 0
		.amdhsa_exception_fp_ieee_underflow 0
		.amdhsa_exception_fp_ieee_inexact 0
		.amdhsa_exception_int_div_zero 0
	.end_amdhsa_kernel
	.section	.text._ZN7rocprim17ROCPRIM_400000_NS6detail17trampoline_kernelINS0_14default_configENS1_35adjacent_difference_config_selectorILb1EdEEZNS1_24adjacent_difference_implIS3_Lb1ELb0EPdN6thrust23THRUST_200600_302600_NS16discard_iteratorINS9_11use_defaultEEENS9_5minusIdEEEE10hipError_tPvRmT2_T3_mT4_P12ihipStream_tbEUlT_E_NS1_11comp_targetILNS1_3genE5ELNS1_11target_archE942ELNS1_3gpuE9ELNS1_3repE0EEENS1_30default_config_static_selectorELNS0_4arch9wavefront6targetE0EEEvT1_,"axG",@progbits,_ZN7rocprim17ROCPRIM_400000_NS6detail17trampoline_kernelINS0_14default_configENS1_35adjacent_difference_config_selectorILb1EdEEZNS1_24adjacent_difference_implIS3_Lb1ELb0EPdN6thrust23THRUST_200600_302600_NS16discard_iteratorINS9_11use_defaultEEENS9_5minusIdEEEE10hipError_tPvRmT2_T3_mT4_P12ihipStream_tbEUlT_E_NS1_11comp_targetILNS1_3genE5ELNS1_11target_archE942ELNS1_3gpuE9ELNS1_3repE0EEENS1_30default_config_static_selectorELNS0_4arch9wavefront6targetE0EEEvT1_,comdat
.Lfunc_end784:
	.size	_ZN7rocprim17ROCPRIM_400000_NS6detail17trampoline_kernelINS0_14default_configENS1_35adjacent_difference_config_selectorILb1EdEEZNS1_24adjacent_difference_implIS3_Lb1ELb0EPdN6thrust23THRUST_200600_302600_NS16discard_iteratorINS9_11use_defaultEEENS9_5minusIdEEEE10hipError_tPvRmT2_T3_mT4_P12ihipStream_tbEUlT_E_NS1_11comp_targetILNS1_3genE5ELNS1_11target_archE942ELNS1_3gpuE9ELNS1_3repE0EEENS1_30default_config_static_selectorELNS0_4arch9wavefront6targetE0EEEvT1_, .Lfunc_end784-_ZN7rocprim17ROCPRIM_400000_NS6detail17trampoline_kernelINS0_14default_configENS1_35adjacent_difference_config_selectorILb1EdEEZNS1_24adjacent_difference_implIS3_Lb1ELb0EPdN6thrust23THRUST_200600_302600_NS16discard_iteratorINS9_11use_defaultEEENS9_5minusIdEEEE10hipError_tPvRmT2_T3_mT4_P12ihipStream_tbEUlT_E_NS1_11comp_targetILNS1_3genE5ELNS1_11target_archE942ELNS1_3gpuE9ELNS1_3repE0EEENS1_30default_config_static_selectorELNS0_4arch9wavefront6targetE0EEEvT1_
                                        ; -- End function
	.section	.AMDGPU.csdata,"",@progbits
; Kernel info:
; codeLenInByte = 0
; NumSgprs: 0
; NumVgprs: 0
; ScratchSize: 0
; MemoryBound: 0
; FloatMode: 240
; IeeeMode: 1
; LDSByteSize: 0 bytes/workgroup (compile time only)
; SGPRBlocks: 0
; VGPRBlocks: 0
; NumSGPRsForWavesPerEU: 1
; NumVGPRsForWavesPerEU: 1
; Occupancy: 16
; WaveLimiterHint : 0
; COMPUTE_PGM_RSRC2:SCRATCH_EN: 0
; COMPUTE_PGM_RSRC2:USER_SGPR: 15
; COMPUTE_PGM_RSRC2:TRAP_HANDLER: 0
; COMPUTE_PGM_RSRC2:TGID_X_EN: 1
; COMPUTE_PGM_RSRC2:TGID_Y_EN: 0
; COMPUTE_PGM_RSRC2:TGID_Z_EN: 0
; COMPUTE_PGM_RSRC2:TIDIG_COMP_CNT: 0
	.section	.text._ZN7rocprim17ROCPRIM_400000_NS6detail17trampoline_kernelINS0_14default_configENS1_35adjacent_difference_config_selectorILb1EdEEZNS1_24adjacent_difference_implIS3_Lb1ELb0EPdN6thrust23THRUST_200600_302600_NS16discard_iteratorINS9_11use_defaultEEENS9_5minusIdEEEE10hipError_tPvRmT2_T3_mT4_P12ihipStream_tbEUlT_E_NS1_11comp_targetILNS1_3genE4ELNS1_11target_archE910ELNS1_3gpuE8ELNS1_3repE0EEENS1_30default_config_static_selectorELNS0_4arch9wavefront6targetE0EEEvT1_,"axG",@progbits,_ZN7rocprim17ROCPRIM_400000_NS6detail17trampoline_kernelINS0_14default_configENS1_35adjacent_difference_config_selectorILb1EdEEZNS1_24adjacent_difference_implIS3_Lb1ELb0EPdN6thrust23THRUST_200600_302600_NS16discard_iteratorINS9_11use_defaultEEENS9_5minusIdEEEE10hipError_tPvRmT2_T3_mT4_P12ihipStream_tbEUlT_E_NS1_11comp_targetILNS1_3genE4ELNS1_11target_archE910ELNS1_3gpuE8ELNS1_3repE0EEENS1_30default_config_static_selectorELNS0_4arch9wavefront6targetE0EEEvT1_,comdat
	.protected	_ZN7rocprim17ROCPRIM_400000_NS6detail17trampoline_kernelINS0_14default_configENS1_35adjacent_difference_config_selectorILb1EdEEZNS1_24adjacent_difference_implIS3_Lb1ELb0EPdN6thrust23THRUST_200600_302600_NS16discard_iteratorINS9_11use_defaultEEENS9_5minusIdEEEE10hipError_tPvRmT2_T3_mT4_P12ihipStream_tbEUlT_E_NS1_11comp_targetILNS1_3genE4ELNS1_11target_archE910ELNS1_3gpuE8ELNS1_3repE0EEENS1_30default_config_static_selectorELNS0_4arch9wavefront6targetE0EEEvT1_ ; -- Begin function _ZN7rocprim17ROCPRIM_400000_NS6detail17trampoline_kernelINS0_14default_configENS1_35adjacent_difference_config_selectorILb1EdEEZNS1_24adjacent_difference_implIS3_Lb1ELb0EPdN6thrust23THRUST_200600_302600_NS16discard_iteratorINS9_11use_defaultEEENS9_5minusIdEEEE10hipError_tPvRmT2_T3_mT4_P12ihipStream_tbEUlT_E_NS1_11comp_targetILNS1_3genE4ELNS1_11target_archE910ELNS1_3gpuE8ELNS1_3repE0EEENS1_30default_config_static_selectorELNS0_4arch9wavefront6targetE0EEEvT1_
	.globl	_ZN7rocprim17ROCPRIM_400000_NS6detail17trampoline_kernelINS0_14default_configENS1_35adjacent_difference_config_selectorILb1EdEEZNS1_24adjacent_difference_implIS3_Lb1ELb0EPdN6thrust23THRUST_200600_302600_NS16discard_iteratorINS9_11use_defaultEEENS9_5minusIdEEEE10hipError_tPvRmT2_T3_mT4_P12ihipStream_tbEUlT_E_NS1_11comp_targetILNS1_3genE4ELNS1_11target_archE910ELNS1_3gpuE8ELNS1_3repE0EEENS1_30default_config_static_selectorELNS0_4arch9wavefront6targetE0EEEvT1_
	.p2align	8
	.type	_ZN7rocprim17ROCPRIM_400000_NS6detail17trampoline_kernelINS0_14default_configENS1_35adjacent_difference_config_selectorILb1EdEEZNS1_24adjacent_difference_implIS3_Lb1ELb0EPdN6thrust23THRUST_200600_302600_NS16discard_iteratorINS9_11use_defaultEEENS9_5minusIdEEEE10hipError_tPvRmT2_T3_mT4_P12ihipStream_tbEUlT_E_NS1_11comp_targetILNS1_3genE4ELNS1_11target_archE910ELNS1_3gpuE8ELNS1_3repE0EEENS1_30default_config_static_selectorELNS0_4arch9wavefront6targetE0EEEvT1_,@function
_ZN7rocprim17ROCPRIM_400000_NS6detail17trampoline_kernelINS0_14default_configENS1_35adjacent_difference_config_selectorILb1EdEEZNS1_24adjacent_difference_implIS3_Lb1ELb0EPdN6thrust23THRUST_200600_302600_NS16discard_iteratorINS9_11use_defaultEEENS9_5minusIdEEEE10hipError_tPvRmT2_T3_mT4_P12ihipStream_tbEUlT_E_NS1_11comp_targetILNS1_3genE4ELNS1_11target_archE910ELNS1_3gpuE8ELNS1_3repE0EEENS1_30default_config_static_selectorELNS0_4arch9wavefront6targetE0EEEvT1_: ; @_ZN7rocprim17ROCPRIM_400000_NS6detail17trampoline_kernelINS0_14default_configENS1_35adjacent_difference_config_selectorILb1EdEEZNS1_24adjacent_difference_implIS3_Lb1ELb0EPdN6thrust23THRUST_200600_302600_NS16discard_iteratorINS9_11use_defaultEEENS9_5minusIdEEEE10hipError_tPvRmT2_T3_mT4_P12ihipStream_tbEUlT_E_NS1_11comp_targetILNS1_3genE4ELNS1_11target_archE910ELNS1_3gpuE8ELNS1_3repE0EEENS1_30default_config_static_selectorELNS0_4arch9wavefront6targetE0EEEvT1_
; %bb.0:
	.section	.rodata,"a",@progbits
	.p2align	6, 0x0
	.amdhsa_kernel _ZN7rocprim17ROCPRIM_400000_NS6detail17trampoline_kernelINS0_14default_configENS1_35adjacent_difference_config_selectorILb1EdEEZNS1_24adjacent_difference_implIS3_Lb1ELb0EPdN6thrust23THRUST_200600_302600_NS16discard_iteratorINS9_11use_defaultEEENS9_5minusIdEEEE10hipError_tPvRmT2_T3_mT4_P12ihipStream_tbEUlT_E_NS1_11comp_targetILNS1_3genE4ELNS1_11target_archE910ELNS1_3gpuE8ELNS1_3repE0EEENS1_30default_config_static_selectorELNS0_4arch9wavefront6targetE0EEEvT1_
		.amdhsa_group_segment_fixed_size 0
		.amdhsa_private_segment_fixed_size 0
		.amdhsa_kernarg_size 64
		.amdhsa_user_sgpr_count 15
		.amdhsa_user_sgpr_dispatch_ptr 0
		.amdhsa_user_sgpr_queue_ptr 0
		.amdhsa_user_sgpr_kernarg_segment_ptr 1
		.amdhsa_user_sgpr_dispatch_id 0
		.amdhsa_user_sgpr_private_segment_size 0
		.amdhsa_wavefront_size32 1
		.amdhsa_uses_dynamic_stack 0
		.amdhsa_enable_private_segment 0
		.amdhsa_system_sgpr_workgroup_id_x 1
		.amdhsa_system_sgpr_workgroup_id_y 0
		.amdhsa_system_sgpr_workgroup_id_z 0
		.amdhsa_system_sgpr_workgroup_info 0
		.amdhsa_system_vgpr_workitem_id 0
		.amdhsa_next_free_vgpr 1
		.amdhsa_next_free_sgpr 1
		.amdhsa_reserve_vcc 0
		.amdhsa_float_round_mode_32 0
		.amdhsa_float_round_mode_16_64 0
		.amdhsa_float_denorm_mode_32 3
		.amdhsa_float_denorm_mode_16_64 3
		.amdhsa_dx10_clamp 1
		.amdhsa_ieee_mode 1
		.amdhsa_fp16_overflow 0
		.amdhsa_workgroup_processor_mode 1
		.amdhsa_memory_ordered 1
		.amdhsa_forward_progress 0
		.amdhsa_shared_vgpr_count 0
		.amdhsa_exception_fp_ieee_invalid_op 0
		.amdhsa_exception_fp_denorm_src 0
		.amdhsa_exception_fp_ieee_div_zero 0
		.amdhsa_exception_fp_ieee_overflow 0
		.amdhsa_exception_fp_ieee_underflow 0
		.amdhsa_exception_fp_ieee_inexact 0
		.amdhsa_exception_int_div_zero 0
	.end_amdhsa_kernel
	.section	.text._ZN7rocprim17ROCPRIM_400000_NS6detail17trampoline_kernelINS0_14default_configENS1_35adjacent_difference_config_selectorILb1EdEEZNS1_24adjacent_difference_implIS3_Lb1ELb0EPdN6thrust23THRUST_200600_302600_NS16discard_iteratorINS9_11use_defaultEEENS9_5minusIdEEEE10hipError_tPvRmT2_T3_mT4_P12ihipStream_tbEUlT_E_NS1_11comp_targetILNS1_3genE4ELNS1_11target_archE910ELNS1_3gpuE8ELNS1_3repE0EEENS1_30default_config_static_selectorELNS0_4arch9wavefront6targetE0EEEvT1_,"axG",@progbits,_ZN7rocprim17ROCPRIM_400000_NS6detail17trampoline_kernelINS0_14default_configENS1_35adjacent_difference_config_selectorILb1EdEEZNS1_24adjacent_difference_implIS3_Lb1ELb0EPdN6thrust23THRUST_200600_302600_NS16discard_iteratorINS9_11use_defaultEEENS9_5minusIdEEEE10hipError_tPvRmT2_T3_mT4_P12ihipStream_tbEUlT_E_NS1_11comp_targetILNS1_3genE4ELNS1_11target_archE910ELNS1_3gpuE8ELNS1_3repE0EEENS1_30default_config_static_selectorELNS0_4arch9wavefront6targetE0EEEvT1_,comdat
.Lfunc_end785:
	.size	_ZN7rocprim17ROCPRIM_400000_NS6detail17trampoline_kernelINS0_14default_configENS1_35adjacent_difference_config_selectorILb1EdEEZNS1_24adjacent_difference_implIS3_Lb1ELb0EPdN6thrust23THRUST_200600_302600_NS16discard_iteratorINS9_11use_defaultEEENS9_5minusIdEEEE10hipError_tPvRmT2_T3_mT4_P12ihipStream_tbEUlT_E_NS1_11comp_targetILNS1_3genE4ELNS1_11target_archE910ELNS1_3gpuE8ELNS1_3repE0EEENS1_30default_config_static_selectorELNS0_4arch9wavefront6targetE0EEEvT1_, .Lfunc_end785-_ZN7rocprim17ROCPRIM_400000_NS6detail17trampoline_kernelINS0_14default_configENS1_35adjacent_difference_config_selectorILb1EdEEZNS1_24adjacent_difference_implIS3_Lb1ELb0EPdN6thrust23THRUST_200600_302600_NS16discard_iteratorINS9_11use_defaultEEENS9_5minusIdEEEE10hipError_tPvRmT2_T3_mT4_P12ihipStream_tbEUlT_E_NS1_11comp_targetILNS1_3genE4ELNS1_11target_archE910ELNS1_3gpuE8ELNS1_3repE0EEENS1_30default_config_static_selectorELNS0_4arch9wavefront6targetE0EEEvT1_
                                        ; -- End function
	.section	.AMDGPU.csdata,"",@progbits
; Kernel info:
; codeLenInByte = 0
; NumSgprs: 0
; NumVgprs: 0
; ScratchSize: 0
; MemoryBound: 0
; FloatMode: 240
; IeeeMode: 1
; LDSByteSize: 0 bytes/workgroup (compile time only)
; SGPRBlocks: 0
; VGPRBlocks: 0
; NumSGPRsForWavesPerEU: 1
; NumVGPRsForWavesPerEU: 1
; Occupancy: 16
; WaveLimiterHint : 0
; COMPUTE_PGM_RSRC2:SCRATCH_EN: 0
; COMPUTE_PGM_RSRC2:USER_SGPR: 15
; COMPUTE_PGM_RSRC2:TRAP_HANDLER: 0
; COMPUTE_PGM_RSRC2:TGID_X_EN: 1
; COMPUTE_PGM_RSRC2:TGID_Y_EN: 0
; COMPUTE_PGM_RSRC2:TGID_Z_EN: 0
; COMPUTE_PGM_RSRC2:TIDIG_COMP_CNT: 0
	.section	.text._ZN7rocprim17ROCPRIM_400000_NS6detail17trampoline_kernelINS0_14default_configENS1_35adjacent_difference_config_selectorILb1EdEEZNS1_24adjacent_difference_implIS3_Lb1ELb0EPdN6thrust23THRUST_200600_302600_NS16discard_iteratorINS9_11use_defaultEEENS9_5minusIdEEEE10hipError_tPvRmT2_T3_mT4_P12ihipStream_tbEUlT_E_NS1_11comp_targetILNS1_3genE3ELNS1_11target_archE908ELNS1_3gpuE7ELNS1_3repE0EEENS1_30default_config_static_selectorELNS0_4arch9wavefront6targetE0EEEvT1_,"axG",@progbits,_ZN7rocprim17ROCPRIM_400000_NS6detail17trampoline_kernelINS0_14default_configENS1_35adjacent_difference_config_selectorILb1EdEEZNS1_24adjacent_difference_implIS3_Lb1ELb0EPdN6thrust23THRUST_200600_302600_NS16discard_iteratorINS9_11use_defaultEEENS9_5minusIdEEEE10hipError_tPvRmT2_T3_mT4_P12ihipStream_tbEUlT_E_NS1_11comp_targetILNS1_3genE3ELNS1_11target_archE908ELNS1_3gpuE7ELNS1_3repE0EEENS1_30default_config_static_selectorELNS0_4arch9wavefront6targetE0EEEvT1_,comdat
	.protected	_ZN7rocprim17ROCPRIM_400000_NS6detail17trampoline_kernelINS0_14default_configENS1_35adjacent_difference_config_selectorILb1EdEEZNS1_24adjacent_difference_implIS3_Lb1ELb0EPdN6thrust23THRUST_200600_302600_NS16discard_iteratorINS9_11use_defaultEEENS9_5minusIdEEEE10hipError_tPvRmT2_T3_mT4_P12ihipStream_tbEUlT_E_NS1_11comp_targetILNS1_3genE3ELNS1_11target_archE908ELNS1_3gpuE7ELNS1_3repE0EEENS1_30default_config_static_selectorELNS0_4arch9wavefront6targetE0EEEvT1_ ; -- Begin function _ZN7rocprim17ROCPRIM_400000_NS6detail17trampoline_kernelINS0_14default_configENS1_35adjacent_difference_config_selectorILb1EdEEZNS1_24adjacent_difference_implIS3_Lb1ELb0EPdN6thrust23THRUST_200600_302600_NS16discard_iteratorINS9_11use_defaultEEENS9_5minusIdEEEE10hipError_tPvRmT2_T3_mT4_P12ihipStream_tbEUlT_E_NS1_11comp_targetILNS1_3genE3ELNS1_11target_archE908ELNS1_3gpuE7ELNS1_3repE0EEENS1_30default_config_static_selectorELNS0_4arch9wavefront6targetE0EEEvT1_
	.globl	_ZN7rocprim17ROCPRIM_400000_NS6detail17trampoline_kernelINS0_14default_configENS1_35adjacent_difference_config_selectorILb1EdEEZNS1_24adjacent_difference_implIS3_Lb1ELb0EPdN6thrust23THRUST_200600_302600_NS16discard_iteratorINS9_11use_defaultEEENS9_5minusIdEEEE10hipError_tPvRmT2_T3_mT4_P12ihipStream_tbEUlT_E_NS1_11comp_targetILNS1_3genE3ELNS1_11target_archE908ELNS1_3gpuE7ELNS1_3repE0EEENS1_30default_config_static_selectorELNS0_4arch9wavefront6targetE0EEEvT1_
	.p2align	8
	.type	_ZN7rocprim17ROCPRIM_400000_NS6detail17trampoline_kernelINS0_14default_configENS1_35adjacent_difference_config_selectorILb1EdEEZNS1_24adjacent_difference_implIS3_Lb1ELb0EPdN6thrust23THRUST_200600_302600_NS16discard_iteratorINS9_11use_defaultEEENS9_5minusIdEEEE10hipError_tPvRmT2_T3_mT4_P12ihipStream_tbEUlT_E_NS1_11comp_targetILNS1_3genE3ELNS1_11target_archE908ELNS1_3gpuE7ELNS1_3repE0EEENS1_30default_config_static_selectorELNS0_4arch9wavefront6targetE0EEEvT1_,@function
_ZN7rocprim17ROCPRIM_400000_NS6detail17trampoline_kernelINS0_14default_configENS1_35adjacent_difference_config_selectorILb1EdEEZNS1_24adjacent_difference_implIS3_Lb1ELb0EPdN6thrust23THRUST_200600_302600_NS16discard_iteratorINS9_11use_defaultEEENS9_5minusIdEEEE10hipError_tPvRmT2_T3_mT4_P12ihipStream_tbEUlT_E_NS1_11comp_targetILNS1_3genE3ELNS1_11target_archE908ELNS1_3gpuE7ELNS1_3repE0EEENS1_30default_config_static_selectorELNS0_4arch9wavefront6targetE0EEEvT1_: ; @_ZN7rocprim17ROCPRIM_400000_NS6detail17trampoline_kernelINS0_14default_configENS1_35adjacent_difference_config_selectorILb1EdEEZNS1_24adjacent_difference_implIS3_Lb1ELb0EPdN6thrust23THRUST_200600_302600_NS16discard_iteratorINS9_11use_defaultEEENS9_5minusIdEEEE10hipError_tPvRmT2_T3_mT4_P12ihipStream_tbEUlT_E_NS1_11comp_targetILNS1_3genE3ELNS1_11target_archE908ELNS1_3gpuE7ELNS1_3repE0EEENS1_30default_config_static_selectorELNS0_4arch9wavefront6targetE0EEEvT1_
; %bb.0:
	.section	.rodata,"a",@progbits
	.p2align	6, 0x0
	.amdhsa_kernel _ZN7rocprim17ROCPRIM_400000_NS6detail17trampoline_kernelINS0_14default_configENS1_35adjacent_difference_config_selectorILb1EdEEZNS1_24adjacent_difference_implIS3_Lb1ELb0EPdN6thrust23THRUST_200600_302600_NS16discard_iteratorINS9_11use_defaultEEENS9_5minusIdEEEE10hipError_tPvRmT2_T3_mT4_P12ihipStream_tbEUlT_E_NS1_11comp_targetILNS1_3genE3ELNS1_11target_archE908ELNS1_3gpuE7ELNS1_3repE0EEENS1_30default_config_static_selectorELNS0_4arch9wavefront6targetE0EEEvT1_
		.amdhsa_group_segment_fixed_size 0
		.amdhsa_private_segment_fixed_size 0
		.amdhsa_kernarg_size 64
		.amdhsa_user_sgpr_count 15
		.amdhsa_user_sgpr_dispatch_ptr 0
		.amdhsa_user_sgpr_queue_ptr 0
		.amdhsa_user_sgpr_kernarg_segment_ptr 1
		.amdhsa_user_sgpr_dispatch_id 0
		.amdhsa_user_sgpr_private_segment_size 0
		.amdhsa_wavefront_size32 1
		.amdhsa_uses_dynamic_stack 0
		.amdhsa_enable_private_segment 0
		.amdhsa_system_sgpr_workgroup_id_x 1
		.amdhsa_system_sgpr_workgroup_id_y 0
		.amdhsa_system_sgpr_workgroup_id_z 0
		.amdhsa_system_sgpr_workgroup_info 0
		.amdhsa_system_vgpr_workitem_id 0
		.amdhsa_next_free_vgpr 1
		.amdhsa_next_free_sgpr 1
		.amdhsa_reserve_vcc 0
		.amdhsa_float_round_mode_32 0
		.amdhsa_float_round_mode_16_64 0
		.amdhsa_float_denorm_mode_32 3
		.amdhsa_float_denorm_mode_16_64 3
		.amdhsa_dx10_clamp 1
		.amdhsa_ieee_mode 1
		.amdhsa_fp16_overflow 0
		.amdhsa_workgroup_processor_mode 1
		.amdhsa_memory_ordered 1
		.amdhsa_forward_progress 0
		.amdhsa_shared_vgpr_count 0
		.amdhsa_exception_fp_ieee_invalid_op 0
		.amdhsa_exception_fp_denorm_src 0
		.amdhsa_exception_fp_ieee_div_zero 0
		.amdhsa_exception_fp_ieee_overflow 0
		.amdhsa_exception_fp_ieee_underflow 0
		.amdhsa_exception_fp_ieee_inexact 0
		.amdhsa_exception_int_div_zero 0
	.end_amdhsa_kernel
	.section	.text._ZN7rocprim17ROCPRIM_400000_NS6detail17trampoline_kernelINS0_14default_configENS1_35adjacent_difference_config_selectorILb1EdEEZNS1_24adjacent_difference_implIS3_Lb1ELb0EPdN6thrust23THRUST_200600_302600_NS16discard_iteratorINS9_11use_defaultEEENS9_5minusIdEEEE10hipError_tPvRmT2_T3_mT4_P12ihipStream_tbEUlT_E_NS1_11comp_targetILNS1_3genE3ELNS1_11target_archE908ELNS1_3gpuE7ELNS1_3repE0EEENS1_30default_config_static_selectorELNS0_4arch9wavefront6targetE0EEEvT1_,"axG",@progbits,_ZN7rocprim17ROCPRIM_400000_NS6detail17trampoline_kernelINS0_14default_configENS1_35adjacent_difference_config_selectorILb1EdEEZNS1_24adjacent_difference_implIS3_Lb1ELb0EPdN6thrust23THRUST_200600_302600_NS16discard_iteratorINS9_11use_defaultEEENS9_5minusIdEEEE10hipError_tPvRmT2_T3_mT4_P12ihipStream_tbEUlT_E_NS1_11comp_targetILNS1_3genE3ELNS1_11target_archE908ELNS1_3gpuE7ELNS1_3repE0EEENS1_30default_config_static_selectorELNS0_4arch9wavefront6targetE0EEEvT1_,comdat
.Lfunc_end786:
	.size	_ZN7rocprim17ROCPRIM_400000_NS6detail17trampoline_kernelINS0_14default_configENS1_35adjacent_difference_config_selectorILb1EdEEZNS1_24adjacent_difference_implIS3_Lb1ELb0EPdN6thrust23THRUST_200600_302600_NS16discard_iteratorINS9_11use_defaultEEENS9_5minusIdEEEE10hipError_tPvRmT2_T3_mT4_P12ihipStream_tbEUlT_E_NS1_11comp_targetILNS1_3genE3ELNS1_11target_archE908ELNS1_3gpuE7ELNS1_3repE0EEENS1_30default_config_static_selectorELNS0_4arch9wavefront6targetE0EEEvT1_, .Lfunc_end786-_ZN7rocprim17ROCPRIM_400000_NS6detail17trampoline_kernelINS0_14default_configENS1_35adjacent_difference_config_selectorILb1EdEEZNS1_24adjacent_difference_implIS3_Lb1ELb0EPdN6thrust23THRUST_200600_302600_NS16discard_iteratorINS9_11use_defaultEEENS9_5minusIdEEEE10hipError_tPvRmT2_T3_mT4_P12ihipStream_tbEUlT_E_NS1_11comp_targetILNS1_3genE3ELNS1_11target_archE908ELNS1_3gpuE7ELNS1_3repE0EEENS1_30default_config_static_selectorELNS0_4arch9wavefront6targetE0EEEvT1_
                                        ; -- End function
	.section	.AMDGPU.csdata,"",@progbits
; Kernel info:
; codeLenInByte = 0
; NumSgprs: 0
; NumVgprs: 0
; ScratchSize: 0
; MemoryBound: 0
; FloatMode: 240
; IeeeMode: 1
; LDSByteSize: 0 bytes/workgroup (compile time only)
; SGPRBlocks: 0
; VGPRBlocks: 0
; NumSGPRsForWavesPerEU: 1
; NumVGPRsForWavesPerEU: 1
; Occupancy: 16
; WaveLimiterHint : 0
; COMPUTE_PGM_RSRC2:SCRATCH_EN: 0
; COMPUTE_PGM_RSRC2:USER_SGPR: 15
; COMPUTE_PGM_RSRC2:TRAP_HANDLER: 0
; COMPUTE_PGM_RSRC2:TGID_X_EN: 1
; COMPUTE_PGM_RSRC2:TGID_Y_EN: 0
; COMPUTE_PGM_RSRC2:TGID_Z_EN: 0
; COMPUTE_PGM_RSRC2:TIDIG_COMP_CNT: 0
	.section	.text._ZN7rocprim17ROCPRIM_400000_NS6detail17trampoline_kernelINS0_14default_configENS1_35adjacent_difference_config_selectorILb1EdEEZNS1_24adjacent_difference_implIS3_Lb1ELb0EPdN6thrust23THRUST_200600_302600_NS16discard_iteratorINS9_11use_defaultEEENS9_5minusIdEEEE10hipError_tPvRmT2_T3_mT4_P12ihipStream_tbEUlT_E_NS1_11comp_targetILNS1_3genE2ELNS1_11target_archE906ELNS1_3gpuE6ELNS1_3repE0EEENS1_30default_config_static_selectorELNS0_4arch9wavefront6targetE0EEEvT1_,"axG",@progbits,_ZN7rocprim17ROCPRIM_400000_NS6detail17trampoline_kernelINS0_14default_configENS1_35adjacent_difference_config_selectorILb1EdEEZNS1_24adjacent_difference_implIS3_Lb1ELb0EPdN6thrust23THRUST_200600_302600_NS16discard_iteratorINS9_11use_defaultEEENS9_5minusIdEEEE10hipError_tPvRmT2_T3_mT4_P12ihipStream_tbEUlT_E_NS1_11comp_targetILNS1_3genE2ELNS1_11target_archE906ELNS1_3gpuE6ELNS1_3repE0EEENS1_30default_config_static_selectorELNS0_4arch9wavefront6targetE0EEEvT1_,comdat
	.protected	_ZN7rocprim17ROCPRIM_400000_NS6detail17trampoline_kernelINS0_14default_configENS1_35adjacent_difference_config_selectorILb1EdEEZNS1_24adjacent_difference_implIS3_Lb1ELb0EPdN6thrust23THRUST_200600_302600_NS16discard_iteratorINS9_11use_defaultEEENS9_5minusIdEEEE10hipError_tPvRmT2_T3_mT4_P12ihipStream_tbEUlT_E_NS1_11comp_targetILNS1_3genE2ELNS1_11target_archE906ELNS1_3gpuE6ELNS1_3repE0EEENS1_30default_config_static_selectorELNS0_4arch9wavefront6targetE0EEEvT1_ ; -- Begin function _ZN7rocprim17ROCPRIM_400000_NS6detail17trampoline_kernelINS0_14default_configENS1_35adjacent_difference_config_selectorILb1EdEEZNS1_24adjacent_difference_implIS3_Lb1ELb0EPdN6thrust23THRUST_200600_302600_NS16discard_iteratorINS9_11use_defaultEEENS9_5minusIdEEEE10hipError_tPvRmT2_T3_mT4_P12ihipStream_tbEUlT_E_NS1_11comp_targetILNS1_3genE2ELNS1_11target_archE906ELNS1_3gpuE6ELNS1_3repE0EEENS1_30default_config_static_selectorELNS0_4arch9wavefront6targetE0EEEvT1_
	.globl	_ZN7rocprim17ROCPRIM_400000_NS6detail17trampoline_kernelINS0_14default_configENS1_35adjacent_difference_config_selectorILb1EdEEZNS1_24adjacent_difference_implIS3_Lb1ELb0EPdN6thrust23THRUST_200600_302600_NS16discard_iteratorINS9_11use_defaultEEENS9_5minusIdEEEE10hipError_tPvRmT2_T3_mT4_P12ihipStream_tbEUlT_E_NS1_11comp_targetILNS1_3genE2ELNS1_11target_archE906ELNS1_3gpuE6ELNS1_3repE0EEENS1_30default_config_static_selectorELNS0_4arch9wavefront6targetE0EEEvT1_
	.p2align	8
	.type	_ZN7rocprim17ROCPRIM_400000_NS6detail17trampoline_kernelINS0_14default_configENS1_35adjacent_difference_config_selectorILb1EdEEZNS1_24adjacent_difference_implIS3_Lb1ELb0EPdN6thrust23THRUST_200600_302600_NS16discard_iteratorINS9_11use_defaultEEENS9_5minusIdEEEE10hipError_tPvRmT2_T3_mT4_P12ihipStream_tbEUlT_E_NS1_11comp_targetILNS1_3genE2ELNS1_11target_archE906ELNS1_3gpuE6ELNS1_3repE0EEENS1_30default_config_static_selectorELNS0_4arch9wavefront6targetE0EEEvT1_,@function
_ZN7rocprim17ROCPRIM_400000_NS6detail17trampoline_kernelINS0_14default_configENS1_35adjacent_difference_config_selectorILb1EdEEZNS1_24adjacent_difference_implIS3_Lb1ELb0EPdN6thrust23THRUST_200600_302600_NS16discard_iteratorINS9_11use_defaultEEENS9_5minusIdEEEE10hipError_tPvRmT2_T3_mT4_P12ihipStream_tbEUlT_E_NS1_11comp_targetILNS1_3genE2ELNS1_11target_archE906ELNS1_3gpuE6ELNS1_3repE0EEENS1_30default_config_static_selectorELNS0_4arch9wavefront6targetE0EEEvT1_: ; @_ZN7rocprim17ROCPRIM_400000_NS6detail17trampoline_kernelINS0_14default_configENS1_35adjacent_difference_config_selectorILb1EdEEZNS1_24adjacent_difference_implIS3_Lb1ELb0EPdN6thrust23THRUST_200600_302600_NS16discard_iteratorINS9_11use_defaultEEENS9_5minusIdEEEE10hipError_tPvRmT2_T3_mT4_P12ihipStream_tbEUlT_E_NS1_11comp_targetILNS1_3genE2ELNS1_11target_archE906ELNS1_3gpuE6ELNS1_3repE0EEENS1_30default_config_static_selectorELNS0_4arch9wavefront6targetE0EEEvT1_
; %bb.0:
	.section	.rodata,"a",@progbits
	.p2align	6, 0x0
	.amdhsa_kernel _ZN7rocprim17ROCPRIM_400000_NS6detail17trampoline_kernelINS0_14default_configENS1_35adjacent_difference_config_selectorILb1EdEEZNS1_24adjacent_difference_implIS3_Lb1ELb0EPdN6thrust23THRUST_200600_302600_NS16discard_iteratorINS9_11use_defaultEEENS9_5minusIdEEEE10hipError_tPvRmT2_T3_mT4_P12ihipStream_tbEUlT_E_NS1_11comp_targetILNS1_3genE2ELNS1_11target_archE906ELNS1_3gpuE6ELNS1_3repE0EEENS1_30default_config_static_selectorELNS0_4arch9wavefront6targetE0EEEvT1_
		.amdhsa_group_segment_fixed_size 0
		.amdhsa_private_segment_fixed_size 0
		.amdhsa_kernarg_size 64
		.amdhsa_user_sgpr_count 15
		.amdhsa_user_sgpr_dispatch_ptr 0
		.amdhsa_user_sgpr_queue_ptr 0
		.amdhsa_user_sgpr_kernarg_segment_ptr 1
		.amdhsa_user_sgpr_dispatch_id 0
		.amdhsa_user_sgpr_private_segment_size 0
		.amdhsa_wavefront_size32 1
		.amdhsa_uses_dynamic_stack 0
		.amdhsa_enable_private_segment 0
		.amdhsa_system_sgpr_workgroup_id_x 1
		.amdhsa_system_sgpr_workgroup_id_y 0
		.amdhsa_system_sgpr_workgroup_id_z 0
		.amdhsa_system_sgpr_workgroup_info 0
		.amdhsa_system_vgpr_workitem_id 0
		.amdhsa_next_free_vgpr 1
		.amdhsa_next_free_sgpr 1
		.amdhsa_reserve_vcc 0
		.amdhsa_float_round_mode_32 0
		.amdhsa_float_round_mode_16_64 0
		.amdhsa_float_denorm_mode_32 3
		.amdhsa_float_denorm_mode_16_64 3
		.amdhsa_dx10_clamp 1
		.amdhsa_ieee_mode 1
		.amdhsa_fp16_overflow 0
		.amdhsa_workgroup_processor_mode 1
		.amdhsa_memory_ordered 1
		.amdhsa_forward_progress 0
		.amdhsa_shared_vgpr_count 0
		.amdhsa_exception_fp_ieee_invalid_op 0
		.amdhsa_exception_fp_denorm_src 0
		.amdhsa_exception_fp_ieee_div_zero 0
		.amdhsa_exception_fp_ieee_overflow 0
		.amdhsa_exception_fp_ieee_underflow 0
		.amdhsa_exception_fp_ieee_inexact 0
		.amdhsa_exception_int_div_zero 0
	.end_amdhsa_kernel
	.section	.text._ZN7rocprim17ROCPRIM_400000_NS6detail17trampoline_kernelINS0_14default_configENS1_35adjacent_difference_config_selectorILb1EdEEZNS1_24adjacent_difference_implIS3_Lb1ELb0EPdN6thrust23THRUST_200600_302600_NS16discard_iteratorINS9_11use_defaultEEENS9_5minusIdEEEE10hipError_tPvRmT2_T3_mT4_P12ihipStream_tbEUlT_E_NS1_11comp_targetILNS1_3genE2ELNS1_11target_archE906ELNS1_3gpuE6ELNS1_3repE0EEENS1_30default_config_static_selectorELNS0_4arch9wavefront6targetE0EEEvT1_,"axG",@progbits,_ZN7rocprim17ROCPRIM_400000_NS6detail17trampoline_kernelINS0_14default_configENS1_35adjacent_difference_config_selectorILb1EdEEZNS1_24adjacent_difference_implIS3_Lb1ELb0EPdN6thrust23THRUST_200600_302600_NS16discard_iteratorINS9_11use_defaultEEENS9_5minusIdEEEE10hipError_tPvRmT2_T3_mT4_P12ihipStream_tbEUlT_E_NS1_11comp_targetILNS1_3genE2ELNS1_11target_archE906ELNS1_3gpuE6ELNS1_3repE0EEENS1_30default_config_static_selectorELNS0_4arch9wavefront6targetE0EEEvT1_,comdat
.Lfunc_end787:
	.size	_ZN7rocprim17ROCPRIM_400000_NS6detail17trampoline_kernelINS0_14default_configENS1_35adjacent_difference_config_selectorILb1EdEEZNS1_24adjacent_difference_implIS3_Lb1ELb0EPdN6thrust23THRUST_200600_302600_NS16discard_iteratorINS9_11use_defaultEEENS9_5minusIdEEEE10hipError_tPvRmT2_T3_mT4_P12ihipStream_tbEUlT_E_NS1_11comp_targetILNS1_3genE2ELNS1_11target_archE906ELNS1_3gpuE6ELNS1_3repE0EEENS1_30default_config_static_selectorELNS0_4arch9wavefront6targetE0EEEvT1_, .Lfunc_end787-_ZN7rocprim17ROCPRIM_400000_NS6detail17trampoline_kernelINS0_14default_configENS1_35adjacent_difference_config_selectorILb1EdEEZNS1_24adjacent_difference_implIS3_Lb1ELb0EPdN6thrust23THRUST_200600_302600_NS16discard_iteratorINS9_11use_defaultEEENS9_5minusIdEEEE10hipError_tPvRmT2_T3_mT4_P12ihipStream_tbEUlT_E_NS1_11comp_targetILNS1_3genE2ELNS1_11target_archE906ELNS1_3gpuE6ELNS1_3repE0EEENS1_30default_config_static_selectorELNS0_4arch9wavefront6targetE0EEEvT1_
                                        ; -- End function
	.section	.AMDGPU.csdata,"",@progbits
; Kernel info:
; codeLenInByte = 0
; NumSgprs: 0
; NumVgprs: 0
; ScratchSize: 0
; MemoryBound: 0
; FloatMode: 240
; IeeeMode: 1
; LDSByteSize: 0 bytes/workgroup (compile time only)
; SGPRBlocks: 0
; VGPRBlocks: 0
; NumSGPRsForWavesPerEU: 1
; NumVGPRsForWavesPerEU: 1
; Occupancy: 16
; WaveLimiterHint : 0
; COMPUTE_PGM_RSRC2:SCRATCH_EN: 0
; COMPUTE_PGM_RSRC2:USER_SGPR: 15
; COMPUTE_PGM_RSRC2:TRAP_HANDLER: 0
; COMPUTE_PGM_RSRC2:TGID_X_EN: 1
; COMPUTE_PGM_RSRC2:TGID_Y_EN: 0
; COMPUTE_PGM_RSRC2:TGID_Z_EN: 0
; COMPUTE_PGM_RSRC2:TIDIG_COMP_CNT: 0
	.section	.text._ZN7rocprim17ROCPRIM_400000_NS6detail17trampoline_kernelINS0_14default_configENS1_35adjacent_difference_config_selectorILb1EdEEZNS1_24adjacent_difference_implIS3_Lb1ELb0EPdN6thrust23THRUST_200600_302600_NS16discard_iteratorINS9_11use_defaultEEENS9_5minusIdEEEE10hipError_tPvRmT2_T3_mT4_P12ihipStream_tbEUlT_E_NS1_11comp_targetILNS1_3genE9ELNS1_11target_archE1100ELNS1_3gpuE3ELNS1_3repE0EEENS1_30default_config_static_selectorELNS0_4arch9wavefront6targetE0EEEvT1_,"axG",@progbits,_ZN7rocprim17ROCPRIM_400000_NS6detail17trampoline_kernelINS0_14default_configENS1_35adjacent_difference_config_selectorILb1EdEEZNS1_24adjacent_difference_implIS3_Lb1ELb0EPdN6thrust23THRUST_200600_302600_NS16discard_iteratorINS9_11use_defaultEEENS9_5minusIdEEEE10hipError_tPvRmT2_T3_mT4_P12ihipStream_tbEUlT_E_NS1_11comp_targetILNS1_3genE9ELNS1_11target_archE1100ELNS1_3gpuE3ELNS1_3repE0EEENS1_30default_config_static_selectorELNS0_4arch9wavefront6targetE0EEEvT1_,comdat
	.protected	_ZN7rocprim17ROCPRIM_400000_NS6detail17trampoline_kernelINS0_14default_configENS1_35adjacent_difference_config_selectorILb1EdEEZNS1_24adjacent_difference_implIS3_Lb1ELb0EPdN6thrust23THRUST_200600_302600_NS16discard_iteratorINS9_11use_defaultEEENS9_5minusIdEEEE10hipError_tPvRmT2_T3_mT4_P12ihipStream_tbEUlT_E_NS1_11comp_targetILNS1_3genE9ELNS1_11target_archE1100ELNS1_3gpuE3ELNS1_3repE0EEENS1_30default_config_static_selectorELNS0_4arch9wavefront6targetE0EEEvT1_ ; -- Begin function _ZN7rocprim17ROCPRIM_400000_NS6detail17trampoline_kernelINS0_14default_configENS1_35adjacent_difference_config_selectorILb1EdEEZNS1_24adjacent_difference_implIS3_Lb1ELb0EPdN6thrust23THRUST_200600_302600_NS16discard_iteratorINS9_11use_defaultEEENS9_5minusIdEEEE10hipError_tPvRmT2_T3_mT4_P12ihipStream_tbEUlT_E_NS1_11comp_targetILNS1_3genE9ELNS1_11target_archE1100ELNS1_3gpuE3ELNS1_3repE0EEENS1_30default_config_static_selectorELNS0_4arch9wavefront6targetE0EEEvT1_
	.globl	_ZN7rocprim17ROCPRIM_400000_NS6detail17trampoline_kernelINS0_14default_configENS1_35adjacent_difference_config_selectorILb1EdEEZNS1_24adjacent_difference_implIS3_Lb1ELb0EPdN6thrust23THRUST_200600_302600_NS16discard_iteratorINS9_11use_defaultEEENS9_5minusIdEEEE10hipError_tPvRmT2_T3_mT4_P12ihipStream_tbEUlT_E_NS1_11comp_targetILNS1_3genE9ELNS1_11target_archE1100ELNS1_3gpuE3ELNS1_3repE0EEENS1_30default_config_static_selectorELNS0_4arch9wavefront6targetE0EEEvT1_
	.p2align	8
	.type	_ZN7rocprim17ROCPRIM_400000_NS6detail17trampoline_kernelINS0_14default_configENS1_35adjacent_difference_config_selectorILb1EdEEZNS1_24adjacent_difference_implIS3_Lb1ELb0EPdN6thrust23THRUST_200600_302600_NS16discard_iteratorINS9_11use_defaultEEENS9_5minusIdEEEE10hipError_tPvRmT2_T3_mT4_P12ihipStream_tbEUlT_E_NS1_11comp_targetILNS1_3genE9ELNS1_11target_archE1100ELNS1_3gpuE3ELNS1_3repE0EEENS1_30default_config_static_selectorELNS0_4arch9wavefront6targetE0EEEvT1_,@function
_ZN7rocprim17ROCPRIM_400000_NS6detail17trampoline_kernelINS0_14default_configENS1_35adjacent_difference_config_selectorILb1EdEEZNS1_24adjacent_difference_implIS3_Lb1ELb0EPdN6thrust23THRUST_200600_302600_NS16discard_iteratorINS9_11use_defaultEEENS9_5minusIdEEEE10hipError_tPvRmT2_T3_mT4_P12ihipStream_tbEUlT_E_NS1_11comp_targetILNS1_3genE9ELNS1_11target_archE1100ELNS1_3gpuE3ELNS1_3repE0EEENS1_30default_config_static_selectorELNS0_4arch9wavefront6targetE0EEEvT1_: ; @_ZN7rocprim17ROCPRIM_400000_NS6detail17trampoline_kernelINS0_14default_configENS1_35adjacent_difference_config_selectorILb1EdEEZNS1_24adjacent_difference_implIS3_Lb1ELb0EPdN6thrust23THRUST_200600_302600_NS16discard_iteratorINS9_11use_defaultEEENS9_5minusIdEEEE10hipError_tPvRmT2_T3_mT4_P12ihipStream_tbEUlT_E_NS1_11comp_targetILNS1_3genE9ELNS1_11target_archE1100ELNS1_3gpuE3ELNS1_3repE0EEENS1_30default_config_static_selectorELNS0_4arch9wavefront6targetE0EEEvT1_
; %bb.0:
	s_clause 0x1
	s_load_b128 s[4:7], s[0:1], 0x0
	s_load_b64 s[8:9], s[0:1], 0x20
	s_mov_b32 s10, s15
	s_waitcnt lgkmcnt(0)
	s_lshl_b64 s[2:3], s[6:7], 3
	s_mov_b32 s6, 0x411a7a30
	s_add_u32 s16, s4, s2
	s_addc_u32 s17, s5, s3
	s_add_u32 s2, 0x76, s6
	s_addc_u32 s3, 0, 0
	v_add_co_u32 v1, s2, 0x20000000, s2
	s_delay_alu instid0(VALU_DEP_1) | instskip(SKIP_1) | instid1(VALU_DEP_1)
	s_cmp_lg_u32 s2, 0
	s_addc_u32 s3, s3, 0x11a7b9
	v_readfirstlane_b32 s2, v1
	s_mul_i32 s4, s3, 0xfffff180
	s_delay_alu instid0(VALU_DEP_1)
	s_mul_hi_u32 s5, s2, 0xfffff180
	s_mul_i32 s6, s2, 0xfffff180
	s_sub_i32 s5, s5, s2
	s_mul_hi_u32 s7, s2, s6
	s_add_i32 s5, s5, s4
	s_mul_hi_u32 s11, s3, s6
	s_mul_i32 s4, s3, s6
	s_mul_hi_u32 s6, s2, s5
	s_mul_i32 s2, s2, s5
	s_mul_hi_u32 s12, s3, s5
	s_add_u32 s2, s7, s2
	s_addc_u32 s6, 0, s6
	s_add_u32 s2, s2, s4
	s_mul_i32 s5, s3, s5
	s_addc_u32 s2, s6, s11
	s_addc_u32 s4, s12, 0
	s_add_u32 s2, s2, s5
	s_addc_u32 s4, 0, s4
	v_add_co_u32 v1, s2, v1, s2
	s_delay_alu instid0(VALU_DEP_1) | instskip(SKIP_1) | instid1(VALU_DEP_1)
	s_cmp_lg_u32 s2, 0
	s_addc_u32 s2, s3, s4
	v_readfirstlane_b32 s3, v1
	s_mul_i32 s5, s8, s2
	s_mul_hi_u32 s4, s8, s2
	s_mul_hi_u32 s6, s9, s2
	s_mul_i32 s2, s9, s2
	s_mul_hi_u32 s7, s8, s3
	s_mul_hi_u32 s11, s9, s3
	s_mul_i32 s3, s9, s3
	s_add_u32 s5, s7, s5
	s_addc_u32 s4, 0, s4
	s_add_u32 s3, s5, s3
	s_addc_u32 s3, s4, s11
	s_addc_u32 s4, s6, 0
	s_add_u32 s2, s3, s2
	s_addc_u32 s3, 0, s4
	s_mul_i32 s5, s2, 0xe80
	s_add_u32 s4, s2, 1
	v_sub_co_u32 v1, s5, s8, s5
	s_mul_hi_u32 s6, s2, 0xe80
	s_addc_u32 s7, s3, 0
	s_mul_i32 s11, s3, 0xe80
	s_delay_alu instid0(VALU_DEP_1)
	v_subrev_co_u32 v2, s12, 0xe80, v1
	s_add_u32 s13, s2, 2
	s_addc_u32 s14, s3, 0
	s_add_i32 s6, s6, s11
	s_cmp_lg_u32 s5, 0
	v_readfirstlane_b32 s5, v2
	s_subb_u32 s6, s9, s6
	s_cmp_lg_u32 s12, 0
	s_subb_u32 s11, s6, 0
	s_delay_alu instid0(VALU_DEP_1) | instskip(SKIP_4) | instid1(SALU_CYCLE_1)
	s_cmpk_gt_u32 s5, 0xe7f
	s_cselect_b32 s5, -1, 0
	s_cmp_eq_u32 s11, 0
	v_readfirstlane_b32 s11, v1
	s_cselect_b32 s5, s5, -1
	s_cmp_lg_u32 s5, 0
	s_cselect_b32 s12, s13, s4
	s_cselect_b32 s13, s14, s7
	s_cmpk_gt_u32 s11, 0xe7f
	s_cselect_b32 s4, -1, 0
	s_cmp_eq_u32 s6, 0
	s_cselect_b32 s4, s4, -1
	s_delay_alu instid0(SALU_CYCLE_1)
	s_cmp_lg_u32 s4, 0
	s_load_b128 s[4:7], s[0:1], 0x30
	s_cselect_b32 s3, s13, s3
	s_cselect_b32 s2, s12, s2
	s_mul_i32 s0, s3, 0xe80
	s_mul_hi_u32 s1, s2, 0xe80
	s_mul_i32 s11, s2, 0xe80
	s_add_i32 s1, s1, s0
	s_sub_u32 s0, s8, s11
	s_subb_u32 s1, s9, s1
	s_mul_i32 s12, s15, 0xe80
	s_cmp_lg_u64 s[0:1], 0
	s_mov_b32 s11, 0
	s_cselect_b32 s0, -1, 0
	s_mov_b32 s1, -1
	v_cndmask_b32_e64 v1, 0, 1, s0
	s_delay_alu instid0(VALU_DEP_1) | instskip(NEXT) | instid1(VALU_DEP_1)
	v_add_co_u32 v115, s0, s2, v1
	v_add_co_ci_u32_e64 v116, null, s3, 0, s0
	s_waitcnt lgkmcnt(0)
	s_add_u32 s2, s6, s15
	s_delay_alu instid0(VALU_DEP_2) | instskip(NEXT) | instid1(VALU_DEP_2)
	v_add_co_u32 v13, vcc_lo, v115, -1
	v_add_co_ci_u32_e32 v14, vcc_lo, -1, v116, vcc_lo
	s_addc_u32 s3, s7, 0
	s_delay_alu instid0(VALU_DEP_1) | instid1(SALU_CYCLE_1)
	v_cmp_ge_u64_e64 s0, s[2:3], v[13:14]
	s_delay_alu instid0(VALU_DEP_1)
	s_and_b32 vcc_lo, exec_lo, s0
	s_cbranch_vccz .LBB788_60
; %bb.1:
	v_mul_lo_u32 v1, 0xfffff180, v13
	s_mov_b32 s13, s11
	s_mov_b32 s1, exec_lo
	s_lshl_b64 s[14:15], s[12:13], 3
	s_delay_alu instid0(SALU_CYCLE_1) | instskip(SKIP_1) | instid1(VALU_DEP_1)
	s_add_u32 s14, s16, s14
	s_addc_u32 s15, s17, s15
	v_add_nc_u32_e32 v59, s8, v1
                                        ; implicit-def: $vgpr1_vgpr2
	s_delay_alu instid0(VALU_DEP_1)
	v_cmpx_lt_u32_e64 v0, v59
	s_cbranch_execz .LBB788_3
; %bb.2:
	v_lshlrev_b32_e32 v1, 3, v0
	global_load_b64 v[1:2], v1, s[14:15]
.LBB788_3:
	s_or_b32 exec_lo, exec_lo, s1
	v_or_b32_e32 v3, 0x80, v0
	s_delay_alu instid0(VALU_DEP_1)
	v_cmp_lt_u32_e32 vcc_lo, v3, v59
                                        ; implicit-def: $vgpr3_vgpr4
	s_and_saveexec_b32 s1, vcc_lo
	s_cbranch_execz .LBB788_5
; %bb.4:
	v_lshlrev_b32_e32 v3, 3, v0
	global_load_b64 v[3:4], v3, s[14:15] offset:1024
.LBB788_5:
	s_or_b32 exec_lo, exec_lo, s1
	v_or_b32_e32 v5, 0x100, v0
	s_delay_alu instid0(VALU_DEP_1)
	v_cmp_lt_u32_e32 vcc_lo, v5, v59
                                        ; implicit-def: $vgpr5_vgpr6
	s_and_saveexec_b32 s1, vcc_lo
	s_cbranch_execz .LBB788_7
; %bb.6:
	v_lshlrev_b32_e32 v5, 3, v0
	global_load_b64 v[5:6], v5, s[14:15] offset:2048
.LBB788_7:
	s_or_b32 exec_lo, exec_lo, s1
	v_or_b32_e32 v7, 0x180, v0
	s_delay_alu instid0(VALU_DEP_1)
	v_cmp_lt_u32_e32 vcc_lo, v7, v59
                                        ; implicit-def: $vgpr7_vgpr8
	s_and_saveexec_b32 s1, vcc_lo
	s_cbranch_execz .LBB788_9
; %bb.8:
	v_lshlrev_b32_e32 v7, 3, v0
	global_load_b64 v[7:8], v7, s[14:15] offset:3072
.LBB788_9:
	s_or_b32 exec_lo, exec_lo, s1
	v_or_b32_e32 v11, 0x200, v0
	s_mov_b32 s1, exec_lo
                                        ; implicit-def: $vgpr9_vgpr10
	s_delay_alu instid0(VALU_DEP_1)
	v_cmpx_lt_u32_e64 v11, v59
	s_cbranch_execz .LBB788_11
; %bb.10:
	v_lshlrev_b32_e32 v9, 3, v11
	global_load_b64 v[9:10], v9, s[14:15]
.LBB788_11:
	s_or_b32 exec_lo, exec_lo, s1
	v_or_b32_e32 v15, 0x280, v0
	s_mov_b32 s1, exec_lo
                                        ; implicit-def: $vgpr11_vgpr12
	s_delay_alu instid0(VALU_DEP_1)
	v_cmpx_lt_u32_e64 v15, v59
	s_cbranch_execz .LBB788_13
; %bb.12:
	v_lshlrev_b32_e32 v11, 3, v15
	global_load_b64 v[11:12], v11, s[14:15]
.LBB788_13:
	s_or_b32 exec_lo, exec_lo, s1
	v_or_b32_e32 v17, 0x300, v0
	s_mov_b32 s1, exec_lo
                                        ; implicit-def: $vgpr15_vgpr16
	s_delay_alu instid0(VALU_DEP_1)
	v_cmpx_lt_u32_e64 v17, v59
	s_cbranch_execz .LBB788_15
; %bb.14:
	v_lshlrev_b32_e32 v15, 3, v17
	global_load_b64 v[15:16], v15, s[14:15]
.LBB788_15:
	s_or_b32 exec_lo, exec_lo, s1
	v_or_b32_e32 v19, 0x380, v0
	s_mov_b32 s1, exec_lo
                                        ; implicit-def: $vgpr17_vgpr18
	s_delay_alu instid0(VALU_DEP_1)
	v_cmpx_lt_u32_e64 v19, v59
	s_cbranch_execz .LBB788_17
; %bb.16:
	v_lshlrev_b32_e32 v17, 3, v19
	global_load_b64 v[17:18], v17, s[14:15]
.LBB788_17:
	s_or_b32 exec_lo, exec_lo, s1
	v_or_b32_e32 v21, 0x400, v0
	s_mov_b32 s1, exec_lo
                                        ; implicit-def: $vgpr19_vgpr20
	s_delay_alu instid0(VALU_DEP_1)
	v_cmpx_lt_u32_e64 v21, v59
	s_cbranch_execz .LBB788_19
; %bb.18:
	v_lshlrev_b32_e32 v19, 3, v21
	global_load_b64 v[19:20], v19, s[14:15]
.LBB788_19:
	s_or_b32 exec_lo, exec_lo, s1
	v_or_b32_e32 v23, 0x480, v0
	s_mov_b32 s1, exec_lo
                                        ; implicit-def: $vgpr21_vgpr22
	s_delay_alu instid0(VALU_DEP_1)
	v_cmpx_lt_u32_e64 v23, v59
	s_cbranch_execz .LBB788_21
; %bb.20:
	v_lshlrev_b32_e32 v21, 3, v23
	global_load_b64 v[21:22], v21, s[14:15]
.LBB788_21:
	s_or_b32 exec_lo, exec_lo, s1
	v_or_b32_e32 v25, 0x500, v0
	s_mov_b32 s1, exec_lo
                                        ; implicit-def: $vgpr23_vgpr24
	s_delay_alu instid0(VALU_DEP_1)
	v_cmpx_lt_u32_e64 v25, v59
	s_cbranch_execz .LBB788_23
; %bb.22:
	v_lshlrev_b32_e32 v23, 3, v25
	global_load_b64 v[23:24], v23, s[14:15]
.LBB788_23:
	s_or_b32 exec_lo, exec_lo, s1
	v_or_b32_e32 v27, 0x580, v0
	s_mov_b32 s1, exec_lo
                                        ; implicit-def: $vgpr25_vgpr26
	s_delay_alu instid0(VALU_DEP_1)
	v_cmpx_lt_u32_e64 v27, v59
	s_cbranch_execz .LBB788_25
; %bb.24:
	v_lshlrev_b32_e32 v25, 3, v27
	global_load_b64 v[25:26], v25, s[14:15]
.LBB788_25:
	s_or_b32 exec_lo, exec_lo, s1
	v_or_b32_e32 v29, 0x600, v0
	s_mov_b32 s1, exec_lo
                                        ; implicit-def: $vgpr27_vgpr28
	s_delay_alu instid0(VALU_DEP_1)
	v_cmpx_lt_u32_e64 v29, v59
	s_cbranch_execz .LBB788_27
; %bb.26:
	v_lshlrev_b32_e32 v27, 3, v29
	global_load_b64 v[27:28], v27, s[14:15]
.LBB788_27:
	s_or_b32 exec_lo, exec_lo, s1
	v_or_b32_e32 v31, 0x680, v0
	s_mov_b32 s1, exec_lo
                                        ; implicit-def: $vgpr29_vgpr30
	s_delay_alu instid0(VALU_DEP_1)
	v_cmpx_lt_u32_e64 v31, v59
	s_cbranch_execz .LBB788_29
; %bb.28:
	v_lshlrev_b32_e32 v29, 3, v31
	global_load_b64 v[29:30], v29, s[14:15]
.LBB788_29:
	s_or_b32 exec_lo, exec_lo, s1
	v_or_b32_e32 v33, 0x700, v0
	s_mov_b32 s1, exec_lo
                                        ; implicit-def: $vgpr31_vgpr32
	s_delay_alu instid0(VALU_DEP_1)
	v_cmpx_lt_u32_e64 v33, v59
	s_cbranch_execz .LBB788_31
; %bb.30:
	v_lshlrev_b32_e32 v31, 3, v33
	global_load_b64 v[31:32], v31, s[14:15]
.LBB788_31:
	s_or_b32 exec_lo, exec_lo, s1
	v_or_b32_e32 v35, 0x780, v0
	s_mov_b32 s1, exec_lo
                                        ; implicit-def: $vgpr33_vgpr34
	s_delay_alu instid0(VALU_DEP_1)
	v_cmpx_lt_u32_e64 v35, v59
	s_cbranch_execz .LBB788_33
; %bb.32:
	v_lshlrev_b32_e32 v33, 3, v35
	global_load_b64 v[33:34], v33, s[14:15]
.LBB788_33:
	s_or_b32 exec_lo, exec_lo, s1
	v_or_b32_e32 v37, 0x800, v0
	s_mov_b32 s1, exec_lo
                                        ; implicit-def: $vgpr35_vgpr36
	s_delay_alu instid0(VALU_DEP_1)
	v_cmpx_lt_u32_e64 v37, v59
	s_cbranch_execz .LBB788_35
; %bb.34:
	v_lshlrev_b32_e32 v35, 3, v37
	global_load_b64 v[35:36], v35, s[14:15]
.LBB788_35:
	s_or_b32 exec_lo, exec_lo, s1
	v_or_b32_e32 v39, 0x880, v0
	s_mov_b32 s1, exec_lo
                                        ; implicit-def: $vgpr37_vgpr38
	s_delay_alu instid0(VALU_DEP_1)
	v_cmpx_lt_u32_e64 v39, v59
	s_cbranch_execz .LBB788_37
; %bb.36:
	v_lshlrev_b32_e32 v37, 3, v39
	global_load_b64 v[37:38], v37, s[14:15]
.LBB788_37:
	s_or_b32 exec_lo, exec_lo, s1
	v_or_b32_e32 v41, 0x900, v0
	s_mov_b32 s1, exec_lo
                                        ; implicit-def: $vgpr39_vgpr40
	s_delay_alu instid0(VALU_DEP_1)
	v_cmpx_lt_u32_e64 v41, v59
	s_cbranch_execz .LBB788_39
; %bb.38:
	v_lshlrev_b32_e32 v39, 3, v41
	global_load_b64 v[39:40], v39, s[14:15]
.LBB788_39:
	s_or_b32 exec_lo, exec_lo, s1
	v_or_b32_e32 v43, 0x980, v0
	s_mov_b32 s1, exec_lo
                                        ; implicit-def: $vgpr41_vgpr42
	s_delay_alu instid0(VALU_DEP_1)
	v_cmpx_lt_u32_e64 v43, v59
	s_cbranch_execz .LBB788_41
; %bb.40:
	v_lshlrev_b32_e32 v41, 3, v43
	global_load_b64 v[41:42], v41, s[14:15]
.LBB788_41:
	s_or_b32 exec_lo, exec_lo, s1
	v_or_b32_e32 v45, 0xa00, v0
	s_mov_b32 s1, exec_lo
                                        ; implicit-def: $vgpr43_vgpr44
	s_delay_alu instid0(VALU_DEP_1)
	v_cmpx_lt_u32_e64 v45, v59
	s_cbranch_execz .LBB788_43
; %bb.42:
	v_lshlrev_b32_e32 v43, 3, v45
	global_load_b64 v[43:44], v43, s[14:15]
.LBB788_43:
	s_or_b32 exec_lo, exec_lo, s1
	v_or_b32_e32 v47, 0xa80, v0
	s_mov_b32 s1, exec_lo
                                        ; implicit-def: $vgpr45_vgpr46
	s_delay_alu instid0(VALU_DEP_1)
	v_cmpx_lt_u32_e64 v47, v59
	s_cbranch_execz .LBB788_45
; %bb.44:
	v_lshlrev_b32_e32 v45, 3, v47
	global_load_b64 v[45:46], v45, s[14:15]
.LBB788_45:
	s_or_b32 exec_lo, exec_lo, s1
	v_or_b32_e32 v49, 0xb00, v0
	s_mov_b32 s1, exec_lo
                                        ; implicit-def: $vgpr47_vgpr48
	s_delay_alu instid0(VALU_DEP_1)
	v_cmpx_lt_u32_e64 v49, v59
	s_cbranch_execz .LBB788_47
; %bb.46:
	v_lshlrev_b32_e32 v47, 3, v49
	global_load_b64 v[47:48], v47, s[14:15]
.LBB788_47:
	s_or_b32 exec_lo, exec_lo, s1
	v_or_b32_e32 v51, 0xb80, v0
	s_mov_b32 s1, exec_lo
                                        ; implicit-def: $vgpr49_vgpr50
	s_delay_alu instid0(VALU_DEP_1)
	v_cmpx_lt_u32_e64 v51, v59
	s_cbranch_execz .LBB788_49
; %bb.48:
	v_lshlrev_b32_e32 v49, 3, v51
	global_load_b64 v[49:50], v49, s[14:15]
.LBB788_49:
	s_or_b32 exec_lo, exec_lo, s1
	v_or_b32_e32 v53, 0xc00, v0
	s_mov_b32 s1, exec_lo
                                        ; implicit-def: $vgpr51_vgpr52
	s_delay_alu instid0(VALU_DEP_1)
	v_cmpx_lt_u32_e64 v53, v59
	s_cbranch_execz .LBB788_51
; %bb.50:
	v_lshlrev_b32_e32 v51, 3, v53
	global_load_b64 v[51:52], v51, s[14:15]
.LBB788_51:
	s_or_b32 exec_lo, exec_lo, s1
	v_or_b32_e32 v55, 0xc80, v0
	s_mov_b32 s1, exec_lo
                                        ; implicit-def: $vgpr53_vgpr54
	s_delay_alu instid0(VALU_DEP_1)
	v_cmpx_lt_u32_e64 v55, v59
	s_cbranch_execz .LBB788_53
; %bb.52:
	v_lshlrev_b32_e32 v53, 3, v55
	global_load_b64 v[53:54], v53, s[14:15]
.LBB788_53:
	s_or_b32 exec_lo, exec_lo, s1
	v_or_b32_e32 v57, 0xd00, v0
	s_mov_b32 s1, exec_lo
                                        ; implicit-def: $vgpr55_vgpr56
	s_delay_alu instid0(VALU_DEP_1)
	v_cmpx_lt_u32_e64 v57, v59
	s_cbranch_execz .LBB788_55
; %bb.54:
	v_lshlrev_b32_e32 v55, 3, v57
	global_load_b64 v[55:56], v55, s[14:15]
.LBB788_55:
	s_or_b32 exec_lo, exec_lo, s1
	v_or_b32_e32 v60, 0xd80, v0
	s_mov_b32 s1, exec_lo
                                        ; implicit-def: $vgpr57_vgpr58
	s_delay_alu instid0(VALU_DEP_1)
	v_cmpx_lt_u32_e64 v60, v59
	s_cbranch_execz .LBB788_57
; %bb.56:
	v_lshlrev_b32_e32 v57, 3, v60
	global_load_b64 v[57:58], v57, s[14:15]
.LBB788_57:
	s_or_b32 exec_lo, exec_lo, s1
	v_or_b32_e32 v61, 0xe00, v0
	s_delay_alu instid0(VALU_DEP_1)
	v_cmp_lt_u32_e32 vcc_lo, v61, v59
                                        ; implicit-def: $vgpr59_vgpr60
	s_and_saveexec_b32 s1, vcc_lo
	s_cbranch_execz .LBB788_59
; %bb.58:
	v_lshlrev_b32_e32 v59, 3, v61
	global_load_b64 v[59:60], v59, s[14:15]
.LBB788_59:
	s_or_b32 exec_lo, exec_lo, s1
	v_lshlrev_b32_e32 v61, 3, v0
	s_mov_b32 s1, 0
	s_waitcnt vmcnt(0)
	ds_store_2addr_stride64_b64 v61, v[1:2], v[3:4] offset1:2
	ds_store_2addr_stride64_b64 v61, v[5:6], v[7:8] offset0:4 offset1:6
	ds_store_2addr_stride64_b64 v61, v[9:10], v[11:12] offset0:8 offset1:10
	;; [unrolled: 1-line block ×13, first 2 shown]
	ds_store_b64 v61, v[59:60] offset:28672
	s_waitcnt lgkmcnt(0)
	s_barrier
.LBB788_60:
	v_lshlrev_b32_e32 v147, 3, v0
	s_and_b32 vcc_lo, exec_lo, s1
	s_cbranch_vccz .LBB788_62
; %bb.61:
	s_mov_b32 s13, 0
	s_delay_alu instid0(SALU_CYCLE_1) | instskip(NEXT) | instid1(SALU_CYCLE_1)
	s_lshl_b64 s[12:13], s[12:13], 3
	s_add_u32 s12, s16, s12
	s_addc_u32 s13, s17, s13
	v_add_co_u32 v51, s1, s12, v147
	s_delay_alu instid0(VALU_DEP_1)
	v_add_co_ci_u32_e64 v52, null, s13, 0, s1
	s_clause 0x3
	global_load_b64 v[1:2], v147, s[12:13]
	global_load_b64 v[3:4], v147, s[12:13] offset:1024
	global_load_b64 v[5:6], v147, s[12:13] offset:2048
	;; [unrolled: 1-line block ×3, first 2 shown]
	v_add_co_u32 v9, vcc_lo, 0x1000, v51
	v_add_co_ci_u32_e32 v10, vcc_lo, 0, v52, vcc_lo
	v_add_co_u32 v11, vcc_lo, v51, 0x2000
	v_add_co_ci_u32_e32 v12, vcc_lo, 0, v52, vcc_lo
	;; [unrolled: 2-line block ×10, first 2 shown]
	s_clause 0x18
	global_load_b64 v[17:18], v[11:12], off offset:-4096
	global_load_b64 v[19:20], v[9:10], off offset:1024
	global_load_b64 v[21:22], v[9:10], off offset:2048
	global_load_b64 v[9:10], v[9:10], off offset:3072
	global_load_b64 v[23:24], v[15:16], off offset:1024
	global_load_b64 v[31:32], v[15:16], off offset:2048
	global_load_b64 v[15:16], v[15:16], off offset:3072
	global_load_b64 v[33:34], v[25:26], off offset:1024
	global_load_b64 v[35:36], v[25:26], off offset:2048
	global_load_b64 v[25:26], v[25:26], off offset:3072
	global_load_b64 v[37:38], v[29:30], off offset:1024
	global_load_b64 v[39:40], v[29:30], off offset:2048
	global_load_b64 v[29:30], v[29:30], off offset:3072
	global_load_b64 v[11:12], v[11:12], off
	global_load_b64 v[45:46], v[27:28], off offset:-4096
	global_load_b64 v[27:28], v[27:28], off
	global_load_b64 v[47:48], v[41:42], off offset:-4096
	global_load_b64 v[41:42], v[41:42], off
	global_load_b64 v[53:54], v[43:44], off offset:1024
	global_load_b64 v[55:56], v[43:44], off offset:2048
	;; [unrolled: 1-line block ×6, first 2 shown]
	global_load_b64 v[51:52], v[51:52], off
	s_waitcnt vmcnt(27)
	ds_store_2addr_stride64_b64 v147, v[1:2], v[3:4] offset1:2
	s_waitcnt vmcnt(25)
	ds_store_2addr_stride64_b64 v147, v[5:6], v[7:8] offset0:4 offset1:6
	s_waitcnt vmcnt(23)
	ds_store_2addr_stride64_b64 v147, v[17:18], v[19:20] offset0:8 offset1:10
	;; [unrolled: 2-line block ×4, first 2 shown]
	ds_store_2addr_stride64_b64 v147, v[31:32], v[15:16] offset0:20 offset1:22
	s_waitcnt vmcnt(10)
	ds_store_2addr_stride64_b64 v147, v[45:46], v[33:34] offset0:24 offset1:26
	ds_store_2addr_stride64_b64 v147, v[35:36], v[25:26] offset0:28 offset1:30
	s_waitcnt vmcnt(9)
	ds_store_2addr_stride64_b64 v147, v[27:28], v[37:38] offset0:32 offset1:34
	ds_store_2addr_stride64_b64 v147, v[39:40], v[29:30] offset0:36 offset1:38
	s_waitcnt vmcnt(6)
	ds_store_2addr_stride64_b64 v147, v[47:48], v[53:54] offset0:40 offset1:42
	s_waitcnt vmcnt(4)
	ds_store_2addr_stride64_b64 v147, v[55:56], v[43:44] offset0:44 offset1:46
	s_waitcnt vmcnt(3)
	ds_store_2addr_stride64_b64 v147, v[41:42], v[57:58] offset0:48 offset1:50
	;; [unrolled: 2-line block ×3, first 2 shown]
	s_waitcnt vmcnt(0)
	ds_store_b64 v147, v[51:52] offset:28672
	s_waitcnt lgkmcnt(0)
	s_barrier
.LBB788_62:
	v_mul_u32_u24_e32 v1, 29, v0
	buffer_gl0_inv
	s_cmp_eq_u64 s[2:3], 0
	v_lshlrev_b32_e32 v15, 3, v1
	ds_load_b64 v[129:130], v15 offset:224
	ds_load_2addr_b64 v[53:56], v15 offset0:26 offset1:27
	ds_load_2addr_b64 v[45:48], v15 offset0:24 offset1:25
	ds_load_2addr_b64 v[1:4], v15 offset1:1
	ds_load_2addr_b64 v[5:8], v15 offset0:2 offset1:3
	ds_load_2addr_b64 v[9:12], v15 offset0:4 offset1:5
	;; [unrolled: 1-line block ×11, first 2 shown]
	s_waitcnt lgkmcnt(0)
	s_barrier
	buffer_gl0_inv
	s_cbranch_scc1 .LBB788_67
; %bb.63:
	s_lshl_b64 s[6:7], s[6:7], 3
	v_cmp_eq_u64_e32 vcc_lo, s[2:3], v[13:14]
	s_add_u32 s1, s4, s6
	s_addc_u32 s6, s5, s7
	s_lshl_b64 s[4:5], s[10:11], 3
	s_delay_alu instid0(SALU_CYCLE_1)
	s_add_u32 s1, s1, s4
	s_addc_u32 s5, s6, s5
	s_add_u32 s4, s1, -8
	s_addc_u32 s5, s5, -1
	s_load_b64 s[4:5], s[4:5], 0x0
	s_cbranch_vccnz .LBB788_68
; %bb.64:
	s_waitcnt lgkmcnt(0)
	v_dual_mov_b32 v14, s5 :: v_dual_mov_b32 v13, s4
	s_mov_b32 s1, 0
	s_mov_b32 s3, exec_lo
	ds_store_b64 v147, v[129:130]
	s_waitcnt lgkmcnt(0)
	s_barrier
	buffer_gl0_inv
	v_cmpx_ne_u32_e32 0, v0
	s_cbranch_execz .LBB788_66
; %bb.65:
	v_add_nc_u32_e32 v13, -8, v147
	ds_load_b64 v[13:14], v13
.LBB788_66:
	s_or_b32 exec_lo, exec_lo, s3
	v_add_f64 v[117:118], v[129:130], -v[55:56]
	v_add_f64 v[15:16], v[55:56], -v[53:54]
	;; [unrolled: 1-line block ×28, first 2 shown]
	s_waitcnt lgkmcnt(0)
	v_add_f64 v[113:114], v[1:2], -v[13:14]
	s_and_b32 vcc_lo, exec_lo, s1
	s_cbranch_vccnz .LBB788_69
	s_branch .LBB788_72
.LBB788_67:
                                        ; implicit-def: $vgpr113_vgpr114
                                        ; implicit-def: $vgpr145_vgpr146
                                        ; implicit-def: $vgpr143_vgpr144
                                        ; implicit-def: $vgpr141_vgpr142
                                        ; implicit-def: $vgpr139_vgpr140
                                        ; implicit-def: $vgpr137_vgpr138
                                        ; implicit-def: $vgpr135_vgpr136
                                        ; implicit-def: $vgpr133_vgpr134
                                        ; implicit-def: $vgpr131_vgpr132
                                        ; implicit-def: $vgpr127_vgpr128
                                        ; implicit-def: $vgpr125_vgpr126
                                        ; implicit-def: $vgpr123_vgpr124
                                        ; implicit-def: $vgpr121_vgpr122
                                        ; implicit-def: $vgpr119_vgpr120
                                        ; implicit-def: $vgpr117_vgpr118
                                        ; implicit-def: $vgpr13_vgpr14_vgpr15_vgpr16
                                        ; implicit-def: $vgpr17_vgpr18_vgpr19_vgpr20
                                        ; implicit-def: $vgpr25_vgpr26_vgpr27_vgpr28
                                        ; implicit-def: $vgpr37_vgpr38_vgpr39_vgpr40
                                        ; implicit-def: $vgpr57_vgpr58_vgpr59_vgpr60
                                        ; implicit-def: $vgpr65_vgpr66_vgpr67_vgpr68
                                        ; implicit-def: $vgpr77_vgpr78_vgpr79_vgpr80
                                        ; implicit-def: $vgpr85_vgpr86_vgpr87_vgpr88
                                        ; implicit-def: $vgpr89_vgpr90_vgpr91_vgpr92
                                        ; implicit-def: $vgpr93_vgpr94_vgpr95_vgpr96
                                        ; implicit-def: $vgpr97_vgpr98_vgpr99_vgpr100
                                        ; implicit-def: $vgpr101_vgpr102_vgpr103_vgpr104
                                        ; implicit-def: $vgpr105_vgpr106_vgpr107_vgpr108
                                        ; implicit-def: $vgpr109_vgpr110_vgpr111_vgpr112
	s_branch .LBB788_73
.LBB788_68:
                                        ; implicit-def: $vgpr113_vgpr114
                                        ; implicit-def: $vgpr145_vgpr146
                                        ; implicit-def: $vgpr143_vgpr144
                                        ; implicit-def: $vgpr141_vgpr142
                                        ; implicit-def: $vgpr139_vgpr140
                                        ; implicit-def: $vgpr137_vgpr138
                                        ; implicit-def: $vgpr135_vgpr136
                                        ; implicit-def: $vgpr133_vgpr134
                                        ; implicit-def: $vgpr131_vgpr132
                                        ; implicit-def: $vgpr127_vgpr128
                                        ; implicit-def: $vgpr125_vgpr126
                                        ; implicit-def: $vgpr123_vgpr124
                                        ; implicit-def: $vgpr121_vgpr122
                                        ; implicit-def: $vgpr119_vgpr120
                                        ; implicit-def: $vgpr117_vgpr118
                                        ; implicit-def: $vgpr13_vgpr14_vgpr15_vgpr16
                                        ; implicit-def: $vgpr17_vgpr18_vgpr19_vgpr20
                                        ; implicit-def: $vgpr25_vgpr26_vgpr27_vgpr28
                                        ; implicit-def: $vgpr37_vgpr38_vgpr39_vgpr40
                                        ; implicit-def: $vgpr57_vgpr58_vgpr59_vgpr60
                                        ; implicit-def: $vgpr65_vgpr66_vgpr67_vgpr68
                                        ; implicit-def: $vgpr77_vgpr78_vgpr79_vgpr80
                                        ; implicit-def: $vgpr85_vgpr86_vgpr87_vgpr88
                                        ; implicit-def: $vgpr89_vgpr90_vgpr91_vgpr92
                                        ; implicit-def: $vgpr93_vgpr94_vgpr95_vgpr96
                                        ; implicit-def: $vgpr97_vgpr98_vgpr99_vgpr100
                                        ; implicit-def: $vgpr101_vgpr102_vgpr103_vgpr104
                                        ; implicit-def: $vgpr105_vgpr106_vgpr107_vgpr108
                                        ; implicit-def: $vgpr109_vgpr110_vgpr111_vgpr112
	s_cbranch_execz .LBB788_72
.LBB788_69:
	v_mul_u32_u24_e32 v17, 29, v0
	s_waitcnt lgkmcnt(0)
	v_dual_mov_b32 v14, s5 :: v_dual_mov_b32 v13, s4
	s_mov_b32 s1, exec_lo
	ds_store_b64 v147, v[129:130]
	s_waitcnt lgkmcnt(0)
	s_barrier
	buffer_gl0_inv
	v_cmpx_ne_u32_e32 0, v0
	s_cbranch_execz .LBB788_71
; %bb.70:
	v_add_nc_u32_e32 v13, -8, v147
	ds_load_b64 v[13:14], v13
.LBB788_71:
	s_or_b32 exec_lo, exec_lo, s1
	v_add_f64 v[15:16], v[129:130], -v[55:56]
	v_add_f64 v[18:19], v[55:56], -v[53:54]
	;; [unrolled: 1-line block ×5, first 2 shown]
	v_add_nc_u32_e32 v87, 27, v17
	s_mul_i32 s6, s2, 0xfffff180
	v_add_f64 v[27:28], v[47:48], -v[45:46]
	v_add_f64 v[39:40], v[83:84], -v[81:82]
	;; [unrolled: 1-line block ×3, first 2 shown]
	s_add_i32 s6, s6, s8
	v_add_f64 v[67:68], v[71:72], -v[69:70]
	v_cmp_gt_u32_e32 vcc_lo, s6, v87
	v_add_nc_u32_e32 v20, 28, v17
	v_add_nc_u32_e32 v92, 22, v17
	v_add_f64 v[79:80], v[63:64], -v[61:62]
	v_add_f64 v[37:38], v[45:46], -v[83:84]
	;; [unrolled: 1-line block ×3, first 2 shown]
	v_cmp_gt_u32_e64 s2, s6, v20
	v_add_f64 v[85:86], v[61:62], -v[51:52]
	v_add_f64 v[97:98], v[29:30], -v[23:24]
	;; [unrolled: 1-line block ×3, first 2 shown]
	s_waitcnt lgkmcnt(0)
	v_add_f64 v[13:14], v[1:2], -v[13:14]
	v_cndmask_b32_e64 v118, v130, v16, s2
	v_cndmask_b32_e64 v117, v129, v15, s2
	v_dual_cndmask_b32 v15, v55, v18 :: v_dual_cndmask_b32 v16, v56, v19
	v_cmp_gt_u32_e32 vcc_lo, s6, v92
	v_add_nc_u32_e32 v18, 20, v17
	v_add_nc_u32_e32 v89, 25, v17
	v_cmp_gt_u32_e64 s2, s6, v17
	v_dual_cndmask_b32 v124, v82, v58 :: v_dual_cndmask_b32 v123, v81, v57
	s_delay_alu instid0(VALU_DEP_4)
	v_cmp_gt_u32_e32 vcc_lo, s6, v18
	v_add_nc_u32_e32 v18, 19, v17
	v_add_nc_u32_e32 v91, 23, v17
	v_cmp_gt_u32_e64 s3, s6, v89
	v_add_f64 v[57:58], v[43:44], -v[41:42]
	v_dual_cndmask_b32 v126, v74, v66 :: v_dual_cndmask_b32 v125, v73, v65
	v_cmp_gt_u32_e32 vcc_lo, s6, v18
	v_add_nc_u32_e32 v88, 26, v17
	v_add_nc_u32_e32 v93, 21, v17
	v_cmp_gt_u32_e64 s5, s6, v91
	v_cndmask_b32_e64 v19, v47, v27, s3
	v_add_nc_u32_e32 v18, 17, v17
	v_cmp_gt_u32_e64 s1, s6, v88
	v_cndmask_b32_e64 v20, v48, v28, s3
	v_cndmask_b32_e64 v27, v83, v39, s5
	;; [unrolled: 1-line block ×3, first 2 shown]
	v_add_f64 v[65:66], v[41:42], -v[35:36]
	v_cndmask_b32_e64 v120, v54, v26, s1
	v_cndmask_b32_e64 v119, v53, v25, s1
	v_cmp_gt_u32_e64 s1, s6, v93
	v_add_f64 v[25:26], v[51:52], -v[49:50]
	v_add_f64 v[93:94], v[31:32], -v[29:30]
	v_cndmask_b32_e64 v114, v2, v14, s2
	v_cndmask_b32_e64 v113, v1, v13, s2
	v_cndmask_b32_e64 v39, v75, v59, s1
	v_add_nc_u32_e32 v59, 18, v17
	v_cndmask_b32_e64 v40, v76, v60, s1
	v_cndmask_b32_e32 v60, v72, v68, vcc_lo
	s_delay_alu instid0(VALU_DEP_3)
	v_cmp_gt_u32_e64 s1, s6, v59
	v_cndmask_b32_e32 v59, v71, v67, vcc_lo
	v_cmp_gt_u32_e32 vcc_lo, s6, v18
	v_add_nc_u32_e32 v90, 24, v17
	v_add_nc_u32_e32 v18, 16, v17
	v_cndmask_b32_e64 v128, v70, v78, s1
	v_cndmask_b32_e64 v127, v69, v77, s1
	v_cndmask_b32_e32 v67, v63, v79, vcc_lo
	v_cmp_gt_u32_e64 s4, s6, v90
	v_add_f64 v[89:90], v[35:36], -v[33:34]
	v_add_f64 v[77:78], v[33:34], -v[31:32]
	v_cndmask_b32_e32 v68, v64, v80, vcc_lo
	v_cmp_gt_u32_e32 vcc_lo, s6, v18
	v_cndmask_b32_e64 v122, v46, v38, s4
	v_cndmask_b32_e64 v121, v45, v37, s4
	v_add_f64 v[37:38], v[49:50], -v[43:44]
	v_add_nc_u32_e32 v18, 14, v17
	v_dual_cndmask_b32 v132, v62, v86 :: v_dual_cndmask_b32 v131, v61, v85
	v_add_f64 v[85:86], v[21:22], -v[11:12]
	v_add_nc_u32_e32 v80, 15, v17
	s_delay_alu instid0(VALU_DEP_4) | instskip(SKIP_2) | instid1(VALU_DEP_4)
	v_cmp_gt_u32_e32 vcc_lo, s6, v18
	v_add_nc_u32_e32 v18, 13, v17
	v_add_nc_u32_e32 v87, 12, v17
	v_cmp_gt_u32_e64 s1, s6, v80
	s_delay_alu instid0(VALU_DEP_1) | instskip(SKIP_3) | instid1(VALU_DEP_1)
	v_cndmask_b32_e64 v80, v52, v26, s1
	v_cndmask_b32_e64 v79, v51, v25, s1
	v_add_f64 v[25:26], v[23:24], -v[21:22]
	v_cmp_gt_u32_e64 s1, s6, v87
	v_cndmask_b32_e64 v136, v42, v66, s1
	v_cndmask_b32_e64 v135, v41, v65, s1
	v_add_f64 v[65:66], v[5:6], -v[3:4]
	v_dual_cndmask_b32 v134, v50, v38 :: v_dual_cndmask_b32 v133, v49, v37
	v_cmp_gt_u32_e32 vcc_lo, s6, v18
	v_add_nc_u32_e32 v18, 11, v17
	v_add_f64 v[37:38], v[11:12], -v[9:10]
	v_dual_cndmask_b32 v88, v44, v58 :: v_dual_cndmask_b32 v87, v43, v57
	s_delay_alu instid0(VALU_DEP_3) | instskip(SKIP_3) | instid1(VALU_DEP_3)
	v_cmp_gt_u32_e32 vcc_lo, s6, v18
	v_add_nc_u32_e32 v18, 10, v17
	v_add_f64 v[57:58], v[7:8], -v[5:6]
	v_dual_cndmask_b32 v92, v36, v90 :: v_dual_cndmask_b32 v91, v35, v89
	v_cmp_gt_u32_e32 vcc_lo, s6, v18
	v_add_nc_u32_e32 v18, 8, v17
	v_add_f64 v[89:90], v[3:4], -v[1:2]
	v_dual_cndmask_b32 v138, v34, v78 :: v_dual_cndmask_b32 v137, v33, v77
	s_delay_alu instid0(VALU_DEP_3) | instskip(SKIP_3) | instid1(VALU_DEP_3)
	v_cmp_gt_u32_e32 vcc_lo, s6, v18
	v_add_nc_u32_e32 v18, 6, v17
	v_dual_cndmask_b32 v140, v30, v98 :: v_dual_add_nc_u32 v77, 7, v17
	v_cndmask_b32_e32 v139, v29, v97, vcc_lo
	v_cmp_gt_u32_e32 vcc_lo, s6, v18
	v_add_nc_u32_e32 v18, 4, v17
	v_dual_cndmask_b32 v142, v22, v86 :: v_dual_cndmask_b32 v141, v21, v85
	s_delay_alu instid0(VALU_DEP_2) | instskip(SKIP_3) | instid1(VALU_DEP_3)
	v_cmp_gt_u32_e32 vcc_lo, s6, v18
	v_add_nc_u32_e32 v95, 9, v17
	v_add_nc_u32_e32 v18, 2, v17
	v_cndmask_b32_e32 v144, v10, v102, vcc_lo
	v_cmp_gt_u32_e64 s1, s6, v95
	v_cndmask_b32_e32 v143, v9, v101, vcc_lo
	s_delay_alu instid0(VALU_DEP_4) | instskip(NEXT) | instid1(VALU_DEP_3)
	v_cmp_gt_u32_e32 vcc_lo, s6, v18
	v_cndmask_b32_e64 v96, v32, v94, s1
	v_cndmask_b32_e64 v95, v31, v93, s1
	v_cmp_gt_u32_e64 s1, s6, v77
	v_dual_cndmask_b32 v146, v6, v66 :: v_dual_add_nc_u32 v77, 5, v17
	v_cndmask_b32_e32 v145, v5, v65, vcc_lo
	s_delay_alu instid0(VALU_DEP_3) | instskip(SKIP_1) | instid1(VALU_DEP_4)
	v_cndmask_b32_e64 v100, v24, v26, s1
	v_cndmask_b32_e64 v99, v23, v25, s1
	v_cmp_gt_u32_e64 s1, s6, v77
	v_add_nc_u32_e32 v25, 3, v17
	s_delay_alu instid0(VALU_DEP_2) | instskip(SKIP_1) | instid1(VALU_DEP_3)
	v_cndmask_b32_e64 v104, v12, v38, s1
	v_cndmask_b32_e64 v103, v11, v37, s1
	v_cmp_gt_u32_e64 s1, s6, v25
	v_add_nc_u32_e32 v25, 1, v17
	s_delay_alu instid0(VALU_DEP_2) | instskip(SKIP_1) | instid1(VALU_DEP_3)
	v_cndmask_b32_e64 v108, v8, v58, s1
	v_cndmask_b32_e64 v107, v7, v57, s1
	v_cmp_gt_u32_e64 s1, s6, v25
	s_delay_alu instid0(VALU_DEP_1)
	v_cndmask_b32_e64 v112, v4, v90, s1
	v_cndmask_b32_e64 v111, v3, v89, s1
.LBB788_72:
	s_cbranch_execnz .LBB788_82
.LBB788_73:
	v_add_f64 v[117:118], v[129:130], -v[55:56]
	v_add_f64 v[15:16], v[55:56], -v[53:54]
	;; [unrolled: 1-line block ×28, first 2 shown]
	v_cmp_eq_u64_e32 vcc_lo, 1, v[115:116]
	v_cmp_ne_u32_e64 s1, 0, v0
	s_cbranch_vccnz .LBB788_77
; %bb.74:
	v_dual_mov_b32 v13, 0 :: v_dual_mov_b32 v114, v2
	v_mov_b32_e32 v113, v1
	s_mov_b32 s2, 0
	ds_store_b64 v147, v[129:130]
	s_waitcnt lgkmcnt(0)
	s_barrier
	buffer_gl0_inv
	s_and_saveexec_b32 s3, s1
	s_cbranch_execz .LBB788_76
; %bb.75:
	v_add_nc_u32_e32 v13, -8, v147
	ds_load_b64 v[13:14], v13
	s_waitcnt lgkmcnt(0)
	v_add_f64 v[113:114], v[1:2], -v[13:14]
	v_mov_b32_e32 v13, v0
.LBB788_76:
	s_or_b32 exec_lo, exec_lo, s3
	s_delay_alu instid0(SALU_CYCLE_1)
	s_and_not1_b32 vcc_lo, exec_lo, s2
	s_cbranch_vccz .LBB788_78
	s_branch .LBB788_81
.LBB788_77:
                                        ; implicit-def: $vgpr13
                                        ; implicit-def: $vgpr113_vgpr114_vgpr115_vgpr116
.LBB788_78:
	v_mad_u32_u24 v13, v0, 29, 28
	v_mad_u32_u24 v14, v0, 29, 27
	;; [unrolled: 1-line block ×3, first 2 shown]
	v_mul_u32_u24_e32 v17, 29, v0
	ds_store_b64 v147, v[129:130]
	v_cmp_gt_u32_e32 vcc_lo, s8, v13
	v_mad_u32_u24 v13, v0, 29, 25
	v_cmp_gt_u32_e64 s1, s8, v14
	v_mad_u32_u24 v14, v0, 29, 24
	v_cmp_gt_u32_e64 s2, s8, v17
	v_dual_cndmask_b32 v118, v130, v118 :: v_dual_cndmask_b32 v117, v129, v117
	s_delay_alu instid0(VALU_DEP_4)
	v_cndmask_b32_e64 v16, v56, v16, s1
	v_cmp_gt_u32_e32 vcc_lo, s8, v18
	v_cndmask_b32_e64 v15, v55, v15, s1
	v_cmp_gt_u32_e64 s1, s8, v13
	v_mad_u32_u24 v13, v0, 29, 23
	s_waitcnt lgkmcnt(0)
	v_dual_cndmask_b32 v120, v54, v120 :: v_dual_cndmask_b32 v119, v53, v119
	s_delay_alu instid0(VALU_DEP_3)
	v_cndmask_b32_e64 v20, v48, v20, s1
	v_cmp_gt_u32_e32 vcc_lo, s8, v14
	v_cndmask_b32_e64 v19, v47, v19, s1
	v_mad_u32_u24 v14, v0, 29, 22
	v_cmp_gt_u32_e64 s1, s8, v13
	v_mad_u32_u24 v13, v0, 29, 21
	v_dual_cndmask_b32 v122, v46, v122 :: v_dual_cndmask_b32 v121, v45, v121
	s_delay_alu instid0(VALU_DEP_4) | instskip(NEXT) | instid1(VALU_DEP_4)
	v_cmp_gt_u32_e32 vcc_lo, s8, v14
	v_cndmask_b32_e64 v28, v84, v28, s1
	v_cndmask_b32_e64 v27, v83, v27, s1
	v_mad_u32_u24 v14, v0, 29, 20
	v_cmp_gt_u32_e64 s1, s8, v13
	v_mad_u32_u24 v13, v0, 29, 19
	v_dual_cndmask_b32 v124, v82, v124 :: v_dual_cndmask_b32 v123, v81, v123
	s_delay_alu instid0(VALU_DEP_4) | instskip(NEXT) | instid1(VALU_DEP_4)
	v_cmp_gt_u32_e32 vcc_lo, s8, v14
	v_cndmask_b32_e64 v40, v76, v40, s1
	;; [unrolled: 8-line block ×9, first 2 shown]
	v_cndmask_b32_e64 v99, v23, v99, s1
	v_mad_u32_u24 v14, v0, 29, 4
	v_cmp_gt_u32_e64 s1, s8, v13
	v_dual_cndmask_b32 v142, v22, v142 :: v_dual_cndmask_b32 v141, v21, v141
	s_barrier
	s_delay_alu instid0(VALU_DEP_3) | instskip(NEXT) | instid1(VALU_DEP_3)
	v_cmp_gt_u32_e32 vcc_lo, s8, v14
	v_cndmask_b32_e64 v104, v12, v104, s1
	v_mad_u32_u24 v12, v0, 29, 3
	v_cndmask_b32_e64 v103, v11, v103, s1
	v_mad_u32_u24 v11, v0, 29, 2
	v_dual_cndmask_b32 v144, v10, v144 :: v_dual_cndmask_b32 v143, v9, v143
	s_delay_alu instid0(VALU_DEP_4) | instskip(SKIP_1) | instid1(VALU_DEP_4)
	v_cmp_gt_u32_e64 s1, s8, v12
	v_mad_u32_u24 v9, v0, 29, 1
	v_cmp_gt_u32_e32 vcc_lo, s8, v11
	buffer_gl0_inv
	v_cndmask_b32_e64 v108, v8, v108, s1
	v_cndmask_b32_e64 v107, v7, v107, s1
	v_cmp_gt_u32_e64 s1, s8, v9
	v_dual_cndmask_b32 v146, v6, v146 :: v_dual_cndmask_b32 v145, v5, v145
	v_cmp_ne_u32_e32 vcc_lo, 0, v0
	s_delay_alu instid0(VALU_DEP_3) | instskip(SKIP_2) | instid1(SALU_CYCLE_1)
	v_cndmask_b32_e64 v112, v4, v112, s1
	v_cndmask_b32_e64 v111, v3, v111, s1
	s_and_b32 s2, vcc_lo, s2
	s_and_saveexec_b32 s1, s2
	s_cbranch_execz .LBB788_80
; %bb.79:
	v_add_nc_u32_e32 v3, -8, v147
	ds_load_b64 v[3:4], v3
	s_waitcnt lgkmcnt(0)
	v_add_f64 v[1:2], v[1:2], -v[3:4]
.LBB788_80:
	s_or_b32 exec_lo, exec_lo, s1
	s_delay_alu instid0(VALU_DEP_1)
	v_dual_mov_b32 v114, v2 :: v_dual_mov_b32 v113, v1
	v_mov_b32_e32 v13, v0
.LBB788_81:
	s_delay_alu instid0(VALU_DEP_1)
	v_mov_b32_e32 v0, v13
.LBB788_82:
	s_delay_alu instid0(VALU_DEP_1)
	v_mul_u32_u24_e32 v0, 0xe8, v0
	s_and_b32 vcc_lo, exec_lo, s0
	s_mov_b32 s0, -1
	s_waitcnt lgkmcnt(0)
	s_barrier
	buffer_gl0_inv
	ds_store_2addr_b64 v0, v[113:114], v[111:112] offset1:1
	ds_store_2addr_b64 v0, v[145:146], v[107:108] offset0:2 offset1:3
	ds_store_2addr_b64 v0, v[143:144], v[103:104] offset0:4 offset1:5
	;; [unrolled: 1-line block ×13, first 2 shown]
	ds_store_b64 v0, v[117:118] offset:224
	s_waitcnt lgkmcnt(0)
	s_cbranch_vccnz .LBB788_85
; %bb.83:
	s_and_not1_b32 vcc_lo, exec_lo, s0
	s_cbranch_vccz .LBB788_86
.LBB788_84:
	buffer_gl0_inv
	s_endpgm
.LBB788_85:
	s_barrier
	s_cbranch_execnz .LBB788_84
.LBB788_86:
	s_barrier
	buffer_gl0_inv
	s_endpgm
	.section	.rodata,"a",@progbits
	.p2align	6, 0x0
	.amdhsa_kernel _ZN7rocprim17ROCPRIM_400000_NS6detail17trampoline_kernelINS0_14default_configENS1_35adjacent_difference_config_selectorILb1EdEEZNS1_24adjacent_difference_implIS3_Lb1ELb0EPdN6thrust23THRUST_200600_302600_NS16discard_iteratorINS9_11use_defaultEEENS9_5minusIdEEEE10hipError_tPvRmT2_T3_mT4_P12ihipStream_tbEUlT_E_NS1_11comp_targetILNS1_3genE9ELNS1_11target_archE1100ELNS1_3gpuE3ELNS1_3repE0EEENS1_30default_config_static_selectorELNS0_4arch9wavefront6targetE0EEEvT1_
		.amdhsa_group_segment_fixed_size 29696
		.amdhsa_private_segment_fixed_size 0
		.amdhsa_kernarg_size 64
		.amdhsa_user_sgpr_count 15
		.amdhsa_user_sgpr_dispatch_ptr 0
		.amdhsa_user_sgpr_queue_ptr 0
		.amdhsa_user_sgpr_kernarg_segment_ptr 1
		.amdhsa_user_sgpr_dispatch_id 0
		.amdhsa_user_sgpr_private_segment_size 0
		.amdhsa_wavefront_size32 1
		.amdhsa_uses_dynamic_stack 0
		.amdhsa_enable_private_segment 0
		.amdhsa_system_sgpr_workgroup_id_x 1
		.amdhsa_system_sgpr_workgroup_id_y 0
		.amdhsa_system_sgpr_workgroup_id_z 0
		.amdhsa_system_sgpr_workgroup_info 0
		.amdhsa_system_vgpr_workitem_id 0
		.amdhsa_next_free_vgpr 148
		.amdhsa_next_free_sgpr 18
		.amdhsa_reserve_vcc 1
		.amdhsa_float_round_mode_32 0
		.amdhsa_float_round_mode_16_64 0
		.amdhsa_float_denorm_mode_32 3
		.amdhsa_float_denorm_mode_16_64 3
		.amdhsa_dx10_clamp 1
		.amdhsa_ieee_mode 1
		.amdhsa_fp16_overflow 0
		.amdhsa_workgroup_processor_mode 1
		.amdhsa_memory_ordered 1
		.amdhsa_forward_progress 0
		.amdhsa_shared_vgpr_count 0
		.amdhsa_exception_fp_ieee_invalid_op 0
		.amdhsa_exception_fp_denorm_src 0
		.amdhsa_exception_fp_ieee_div_zero 0
		.amdhsa_exception_fp_ieee_overflow 0
		.amdhsa_exception_fp_ieee_underflow 0
		.amdhsa_exception_fp_ieee_inexact 0
		.amdhsa_exception_int_div_zero 0
	.end_amdhsa_kernel
	.section	.text._ZN7rocprim17ROCPRIM_400000_NS6detail17trampoline_kernelINS0_14default_configENS1_35adjacent_difference_config_selectorILb1EdEEZNS1_24adjacent_difference_implIS3_Lb1ELb0EPdN6thrust23THRUST_200600_302600_NS16discard_iteratorINS9_11use_defaultEEENS9_5minusIdEEEE10hipError_tPvRmT2_T3_mT4_P12ihipStream_tbEUlT_E_NS1_11comp_targetILNS1_3genE9ELNS1_11target_archE1100ELNS1_3gpuE3ELNS1_3repE0EEENS1_30default_config_static_selectorELNS0_4arch9wavefront6targetE0EEEvT1_,"axG",@progbits,_ZN7rocprim17ROCPRIM_400000_NS6detail17trampoline_kernelINS0_14default_configENS1_35adjacent_difference_config_selectorILb1EdEEZNS1_24adjacent_difference_implIS3_Lb1ELb0EPdN6thrust23THRUST_200600_302600_NS16discard_iteratorINS9_11use_defaultEEENS9_5minusIdEEEE10hipError_tPvRmT2_T3_mT4_P12ihipStream_tbEUlT_E_NS1_11comp_targetILNS1_3genE9ELNS1_11target_archE1100ELNS1_3gpuE3ELNS1_3repE0EEENS1_30default_config_static_selectorELNS0_4arch9wavefront6targetE0EEEvT1_,comdat
.Lfunc_end788:
	.size	_ZN7rocprim17ROCPRIM_400000_NS6detail17trampoline_kernelINS0_14default_configENS1_35adjacent_difference_config_selectorILb1EdEEZNS1_24adjacent_difference_implIS3_Lb1ELb0EPdN6thrust23THRUST_200600_302600_NS16discard_iteratorINS9_11use_defaultEEENS9_5minusIdEEEE10hipError_tPvRmT2_T3_mT4_P12ihipStream_tbEUlT_E_NS1_11comp_targetILNS1_3genE9ELNS1_11target_archE1100ELNS1_3gpuE3ELNS1_3repE0EEENS1_30default_config_static_selectorELNS0_4arch9wavefront6targetE0EEEvT1_, .Lfunc_end788-_ZN7rocprim17ROCPRIM_400000_NS6detail17trampoline_kernelINS0_14default_configENS1_35adjacent_difference_config_selectorILb1EdEEZNS1_24adjacent_difference_implIS3_Lb1ELb0EPdN6thrust23THRUST_200600_302600_NS16discard_iteratorINS9_11use_defaultEEENS9_5minusIdEEEE10hipError_tPvRmT2_T3_mT4_P12ihipStream_tbEUlT_E_NS1_11comp_targetILNS1_3genE9ELNS1_11target_archE1100ELNS1_3gpuE3ELNS1_3repE0EEENS1_30default_config_static_selectorELNS0_4arch9wavefront6targetE0EEEvT1_
                                        ; -- End function
	.section	.AMDGPU.csdata,"",@progbits
; Kernel info:
; codeLenInByte = 5600
; NumSgprs: 20
; NumVgprs: 148
; ScratchSize: 0
; MemoryBound: 0
; FloatMode: 240
; IeeeMode: 1
; LDSByteSize: 29696 bytes/workgroup (compile time only)
; SGPRBlocks: 2
; VGPRBlocks: 18
; NumSGPRsForWavesPerEU: 20
; NumVGPRsForWavesPerEU: 148
; Occupancy: 4
; WaveLimiterHint : 1
; COMPUTE_PGM_RSRC2:SCRATCH_EN: 0
; COMPUTE_PGM_RSRC2:USER_SGPR: 15
; COMPUTE_PGM_RSRC2:TRAP_HANDLER: 0
; COMPUTE_PGM_RSRC2:TGID_X_EN: 1
; COMPUTE_PGM_RSRC2:TGID_Y_EN: 0
; COMPUTE_PGM_RSRC2:TGID_Z_EN: 0
; COMPUTE_PGM_RSRC2:TIDIG_COMP_CNT: 0
	.section	.text._ZN7rocprim17ROCPRIM_400000_NS6detail17trampoline_kernelINS0_14default_configENS1_35adjacent_difference_config_selectorILb1EdEEZNS1_24adjacent_difference_implIS3_Lb1ELb0EPdN6thrust23THRUST_200600_302600_NS16discard_iteratorINS9_11use_defaultEEENS9_5minusIdEEEE10hipError_tPvRmT2_T3_mT4_P12ihipStream_tbEUlT_E_NS1_11comp_targetILNS1_3genE8ELNS1_11target_archE1030ELNS1_3gpuE2ELNS1_3repE0EEENS1_30default_config_static_selectorELNS0_4arch9wavefront6targetE0EEEvT1_,"axG",@progbits,_ZN7rocprim17ROCPRIM_400000_NS6detail17trampoline_kernelINS0_14default_configENS1_35adjacent_difference_config_selectorILb1EdEEZNS1_24adjacent_difference_implIS3_Lb1ELb0EPdN6thrust23THRUST_200600_302600_NS16discard_iteratorINS9_11use_defaultEEENS9_5minusIdEEEE10hipError_tPvRmT2_T3_mT4_P12ihipStream_tbEUlT_E_NS1_11comp_targetILNS1_3genE8ELNS1_11target_archE1030ELNS1_3gpuE2ELNS1_3repE0EEENS1_30default_config_static_selectorELNS0_4arch9wavefront6targetE0EEEvT1_,comdat
	.protected	_ZN7rocprim17ROCPRIM_400000_NS6detail17trampoline_kernelINS0_14default_configENS1_35adjacent_difference_config_selectorILb1EdEEZNS1_24adjacent_difference_implIS3_Lb1ELb0EPdN6thrust23THRUST_200600_302600_NS16discard_iteratorINS9_11use_defaultEEENS9_5minusIdEEEE10hipError_tPvRmT2_T3_mT4_P12ihipStream_tbEUlT_E_NS1_11comp_targetILNS1_3genE8ELNS1_11target_archE1030ELNS1_3gpuE2ELNS1_3repE0EEENS1_30default_config_static_selectorELNS0_4arch9wavefront6targetE0EEEvT1_ ; -- Begin function _ZN7rocprim17ROCPRIM_400000_NS6detail17trampoline_kernelINS0_14default_configENS1_35adjacent_difference_config_selectorILb1EdEEZNS1_24adjacent_difference_implIS3_Lb1ELb0EPdN6thrust23THRUST_200600_302600_NS16discard_iteratorINS9_11use_defaultEEENS9_5minusIdEEEE10hipError_tPvRmT2_T3_mT4_P12ihipStream_tbEUlT_E_NS1_11comp_targetILNS1_3genE8ELNS1_11target_archE1030ELNS1_3gpuE2ELNS1_3repE0EEENS1_30default_config_static_selectorELNS0_4arch9wavefront6targetE0EEEvT1_
	.globl	_ZN7rocprim17ROCPRIM_400000_NS6detail17trampoline_kernelINS0_14default_configENS1_35adjacent_difference_config_selectorILb1EdEEZNS1_24adjacent_difference_implIS3_Lb1ELb0EPdN6thrust23THRUST_200600_302600_NS16discard_iteratorINS9_11use_defaultEEENS9_5minusIdEEEE10hipError_tPvRmT2_T3_mT4_P12ihipStream_tbEUlT_E_NS1_11comp_targetILNS1_3genE8ELNS1_11target_archE1030ELNS1_3gpuE2ELNS1_3repE0EEENS1_30default_config_static_selectorELNS0_4arch9wavefront6targetE0EEEvT1_
	.p2align	8
	.type	_ZN7rocprim17ROCPRIM_400000_NS6detail17trampoline_kernelINS0_14default_configENS1_35adjacent_difference_config_selectorILb1EdEEZNS1_24adjacent_difference_implIS3_Lb1ELb0EPdN6thrust23THRUST_200600_302600_NS16discard_iteratorINS9_11use_defaultEEENS9_5minusIdEEEE10hipError_tPvRmT2_T3_mT4_P12ihipStream_tbEUlT_E_NS1_11comp_targetILNS1_3genE8ELNS1_11target_archE1030ELNS1_3gpuE2ELNS1_3repE0EEENS1_30default_config_static_selectorELNS0_4arch9wavefront6targetE0EEEvT1_,@function
_ZN7rocprim17ROCPRIM_400000_NS6detail17trampoline_kernelINS0_14default_configENS1_35adjacent_difference_config_selectorILb1EdEEZNS1_24adjacent_difference_implIS3_Lb1ELb0EPdN6thrust23THRUST_200600_302600_NS16discard_iteratorINS9_11use_defaultEEENS9_5minusIdEEEE10hipError_tPvRmT2_T3_mT4_P12ihipStream_tbEUlT_E_NS1_11comp_targetILNS1_3genE8ELNS1_11target_archE1030ELNS1_3gpuE2ELNS1_3repE0EEENS1_30default_config_static_selectorELNS0_4arch9wavefront6targetE0EEEvT1_: ; @_ZN7rocprim17ROCPRIM_400000_NS6detail17trampoline_kernelINS0_14default_configENS1_35adjacent_difference_config_selectorILb1EdEEZNS1_24adjacent_difference_implIS3_Lb1ELb0EPdN6thrust23THRUST_200600_302600_NS16discard_iteratorINS9_11use_defaultEEENS9_5minusIdEEEE10hipError_tPvRmT2_T3_mT4_P12ihipStream_tbEUlT_E_NS1_11comp_targetILNS1_3genE8ELNS1_11target_archE1030ELNS1_3gpuE2ELNS1_3repE0EEENS1_30default_config_static_selectorELNS0_4arch9wavefront6targetE0EEEvT1_
; %bb.0:
	.section	.rodata,"a",@progbits
	.p2align	6, 0x0
	.amdhsa_kernel _ZN7rocprim17ROCPRIM_400000_NS6detail17trampoline_kernelINS0_14default_configENS1_35adjacent_difference_config_selectorILb1EdEEZNS1_24adjacent_difference_implIS3_Lb1ELb0EPdN6thrust23THRUST_200600_302600_NS16discard_iteratorINS9_11use_defaultEEENS9_5minusIdEEEE10hipError_tPvRmT2_T3_mT4_P12ihipStream_tbEUlT_E_NS1_11comp_targetILNS1_3genE8ELNS1_11target_archE1030ELNS1_3gpuE2ELNS1_3repE0EEENS1_30default_config_static_selectorELNS0_4arch9wavefront6targetE0EEEvT1_
		.amdhsa_group_segment_fixed_size 0
		.amdhsa_private_segment_fixed_size 0
		.amdhsa_kernarg_size 64
		.amdhsa_user_sgpr_count 15
		.amdhsa_user_sgpr_dispatch_ptr 0
		.amdhsa_user_sgpr_queue_ptr 0
		.amdhsa_user_sgpr_kernarg_segment_ptr 1
		.amdhsa_user_sgpr_dispatch_id 0
		.amdhsa_user_sgpr_private_segment_size 0
		.amdhsa_wavefront_size32 1
		.amdhsa_uses_dynamic_stack 0
		.amdhsa_enable_private_segment 0
		.amdhsa_system_sgpr_workgroup_id_x 1
		.amdhsa_system_sgpr_workgroup_id_y 0
		.amdhsa_system_sgpr_workgroup_id_z 0
		.amdhsa_system_sgpr_workgroup_info 0
		.amdhsa_system_vgpr_workitem_id 0
		.amdhsa_next_free_vgpr 1
		.amdhsa_next_free_sgpr 1
		.amdhsa_reserve_vcc 0
		.amdhsa_float_round_mode_32 0
		.amdhsa_float_round_mode_16_64 0
		.amdhsa_float_denorm_mode_32 3
		.amdhsa_float_denorm_mode_16_64 3
		.amdhsa_dx10_clamp 1
		.amdhsa_ieee_mode 1
		.amdhsa_fp16_overflow 0
		.amdhsa_workgroup_processor_mode 1
		.amdhsa_memory_ordered 1
		.amdhsa_forward_progress 0
		.amdhsa_shared_vgpr_count 0
		.amdhsa_exception_fp_ieee_invalid_op 0
		.amdhsa_exception_fp_denorm_src 0
		.amdhsa_exception_fp_ieee_div_zero 0
		.amdhsa_exception_fp_ieee_overflow 0
		.amdhsa_exception_fp_ieee_underflow 0
		.amdhsa_exception_fp_ieee_inexact 0
		.amdhsa_exception_int_div_zero 0
	.end_amdhsa_kernel
	.section	.text._ZN7rocprim17ROCPRIM_400000_NS6detail17trampoline_kernelINS0_14default_configENS1_35adjacent_difference_config_selectorILb1EdEEZNS1_24adjacent_difference_implIS3_Lb1ELb0EPdN6thrust23THRUST_200600_302600_NS16discard_iteratorINS9_11use_defaultEEENS9_5minusIdEEEE10hipError_tPvRmT2_T3_mT4_P12ihipStream_tbEUlT_E_NS1_11comp_targetILNS1_3genE8ELNS1_11target_archE1030ELNS1_3gpuE2ELNS1_3repE0EEENS1_30default_config_static_selectorELNS0_4arch9wavefront6targetE0EEEvT1_,"axG",@progbits,_ZN7rocprim17ROCPRIM_400000_NS6detail17trampoline_kernelINS0_14default_configENS1_35adjacent_difference_config_selectorILb1EdEEZNS1_24adjacent_difference_implIS3_Lb1ELb0EPdN6thrust23THRUST_200600_302600_NS16discard_iteratorINS9_11use_defaultEEENS9_5minusIdEEEE10hipError_tPvRmT2_T3_mT4_P12ihipStream_tbEUlT_E_NS1_11comp_targetILNS1_3genE8ELNS1_11target_archE1030ELNS1_3gpuE2ELNS1_3repE0EEENS1_30default_config_static_selectorELNS0_4arch9wavefront6targetE0EEEvT1_,comdat
.Lfunc_end789:
	.size	_ZN7rocprim17ROCPRIM_400000_NS6detail17trampoline_kernelINS0_14default_configENS1_35adjacent_difference_config_selectorILb1EdEEZNS1_24adjacent_difference_implIS3_Lb1ELb0EPdN6thrust23THRUST_200600_302600_NS16discard_iteratorINS9_11use_defaultEEENS9_5minusIdEEEE10hipError_tPvRmT2_T3_mT4_P12ihipStream_tbEUlT_E_NS1_11comp_targetILNS1_3genE8ELNS1_11target_archE1030ELNS1_3gpuE2ELNS1_3repE0EEENS1_30default_config_static_selectorELNS0_4arch9wavefront6targetE0EEEvT1_, .Lfunc_end789-_ZN7rocprim17ROCPRIM_400000_NS6detail17trampoline_kernelINS0_14default_configENS1_35adjacent_difference_config_selectorILb1EdEEZNS1_24adjacent_difference_implIS3_Lb1ELb0EPdN6thrust23THRUST_200600_302600_NS16discard_iteratorINS9_11use_defaultEEENS9_5minusIdEEEE10hipError_tPvRmT2_T3_mT4_P12ihipStream_tbEUlT_E_NS1_11comp_targetILNS1_3genE8ELNS1_11target_archE1030ELNS1_3gpuE2ELNS1_3repE0EEENS1_30default_config_static_selectorELNS0_4arch9wavefront6targetE0EEEvT1_
                                        ; -- End function
	.section	.AMDGPU.csdata,"",@progbits
; Kernel info:
; codeLenInByte = 0
; NumSgprs: 0
; NumVgprs: 0
; ScratchSize: 0
; MemoryBound: 0
; FloatMode: 240
; IeeeMode: 1
; LDSByteSize: 0 bytes/workgroup (compile time only)
; SGPRBlocks: 0
; VGPRBlocks: 0
; NumSGPRsForWavesPerEU: 1
; NumVGPRsForWavesPerEU: 1
; Occupancy: 16
; WaveLimiterHint : 0
; COMPUTE_PGM_RSRC2:SCRATCH_EN: 0
; COMPUTE_PGM_RSRC2:USER_SGPR: 15
; COMPUTE_PGM_RSRC2:TRAP_HANDLER: 0
; COMPUTE_PGM_RSRC2:TGID_X_EN: 1
; COMPUTE_PGM_RSRC2:TGID_Y_EN: 0
; COMPUTE_PGM_RSRC2:TGID_Z_EN: 0
; COMPUTE_PGM_RSRC2:TIDIG_COMP_CNT: 0
	.section	.text._ZN7rocprim17ROCPRIM_400000_NS6detail17trampoline_kernelINS0_14default_configENS1_25transform_config_selectorIfLb0EEEZNS1_14transform_implILb0ES3_S5_NS0_18transform_iteratorINS0_17counting_iteratorImlEEZNS1_24adjacent_difference_implIS3_Lb1ELb0EPfN6thrust23THRUST_200600_302600_NS16discard_iteratorINSD_11use_defaultEEENSD_5minusIfEEEE10hipError_tPvRmT2_T3_mT4_P12ihipStream_tbEUlmE_fEESB_NS0_8identityIvEEEESJ_SM_SN_mSO_SQ_bEUlT_E_NS1_11comp_targetILNS1_3genE0ELNS1_11target_archE4294967295ELNS1_3gpuE0ELNS1_3repE0EEENS1_30default_config_static_selectorELNS0_4arch9wavefront6targetE0EEEvT1_,"axG",@progbits,_ZN7rocprim17ROCPRIM_400000_NS6detail17trampoline_kernelINS0_14default_configENS1_25transform_config_selectorIfLb0EEEZNS1_14transform_implILb0ES3_S5_NS0_18transform_iteratorINS0_17counting_iteratorImlEEZNS1_24adjacent_difference_implIS3_Lb1ELb0EPfN6thrust23THRUST_200600_302600_NS16discard_iteratorINSD_11use_defaultEEENSD_5minusIfEEEE10hipError_tPvRmT2_T3_mT4_P12ihipStream_tbEUlmE_fEESB_NS0_8identityIvEEEESJ_SM_SN_mSO_SQ_bEUlT_E_NS1_11comp_targetILNS1_3genE0ELNS1_11target_archE4294967295ELNS1_3gpuE0ELNS1_3repE0EEENS1_30default_config_static_selectorELNS0_4arch9wavefront6targetE0EEEvT1_,comdat
	.protected	_ZN7rocprim17ROCPRIM_400000_NS6detail17trampoline_kernelINS0_14default_configENS1_25transform_config_selectorIfLb0EEEZNS1_14transform_implILb0ES3_S5_NS0_18transform_iteratorINS0_17counting_iteratorImlEEZNS1_24adjacent_difference_implIS3_Lb1ELb0EPfN6thrust23THRUST_200600_302600_NS16discard_iteratorINSD_11use_defaultEEENSD_5minusIfEEEE10hipError_tPvRmT2_T3_mT4_P12ihipStream_tbEUlmE_fEESB_NS0_8identityIvEEEESJ_SM_SN_mSO_SQ_bEUlT_E_NS1_11comp_targetILNS1_3genE0ELNS1_11target_archE4294967295ELNS1_3gpuE0ELNS1_3repE0EEENS1_30default_config_static_selectorELNS0_4arch9wavefront6targetE0EEEvT1_ ; -- Begin function _ZN7rocprim17ROCPRIM_400000_NS6detail17trampoline_kernelINS0_14default_configENS1_25transform_config_selectorIfLb0EEEZNS1_14transform_implILb0ES3_S5_NS0_18transform_iteratorINS0_17counting_iteratorImlEEZNS1_24adjacent_difference_implIS3_Lb1ELb0EPfN6thrust23THRUST_200600_302600_NS16discard_iteratorINSD_11use_defaultEEENSD_5minusIfEEEE10hipError_tPvRmT2_T3_mT4_P12ihipStream_tbEUlmE_fEESB_NS0_8identityIvEEEESJ_SM_SN_mSO_SQ_bEUlT_E_NS1_11comp_targetILNS1_3genE0ELNS1_11target_archE4294967295ELNS1_3gpuE0ELNS1_3repE0EEENS1_30default_config_static_selectorELNS0_4arch9wavefront6targetE0EEEvT1_
	.globl	_ZN7rocprim17ROCPRIM_400000_NS6detail17trampoline_kernelINS0_14default_configENS1_25transform_config_selectorIfLb0EEEZNS1_14transform_implILb0ES3_S5_NS0_18transform_iteratorINS0_17counting_iteratorImlEEZNS1_24adjacent_difference_implIS3_Lb1ELb0EPfN6thrust23THRUST_200600_302600_NS16discard_iteratorINSD_11use_defaultEEENSD_5minusIfEEEE10hipError_tPvRmT2_T3_mT4_P12ihipStream_tbEUlmE_fEESB_NS0_8identityIvEEEESJ_SM_SN_mSO_SQ_bEUlT_E_NS1_11comp_targetILNS1_3genE0ELNS1_11target_archE4294967295ELNS1_3gpuE0ELNS1_3repE0EEENS1_30default_config_static_selectorELNS0_4arch9wavefront6targetE0EEEvT1_
	.p2align	8
	.type	_ZN7rocprim17ROCPRIM_400000_NS6detail17trampoline_kernelINS0_14default_configENS1_25transform_config_selectorIfLb0EEEZNS1_14transform_implILb0ES3_S5_NS0_18transform_iteratorINS0_17counting_iteratorImlEEZNS1_24adjacent_difference_implIS3_Lb1ELb0EPfN6thrust23THRUST_200600_302600_NS16discard_iteratorINSD_11use_defaultEEENSD_5minusIfEEEE10hipError_tPvRmT2_T3_mT4_P12ihipStream_tbEUlmE_fEESB_NS0_8identityIvEEEESJ_SM_SN_mSO_SQ_bEUlT_E_NS1_11comp_targetILNS1_3genE0ELNS1_11target_archE4294967295ELNS1_3gpuE0ELNS1_3repE0EEENS1_30default_config_static_selectorELNS0_4arch9wavefront6targetE0EEEvT1_,@function
_ZN7rocprim17ROCPRIM_400000_NS6detail17trampoline_kernelINS0_14default_configENS1_25transform_config_selectorIfLb0EEEZNS1_14transform_implILb0ES3_S5_NS0_18transform_iteratorINS0_17counting_iteratorImlEEZNS1_24adjacent_difference_implIS3_Lb1ELb0EPfN6thrust23THRUST_200600_302600_NS16discard_iteratorINSD_11use_defaultEEENSD_5minusIfEEEE10hipError_tPvRmT2_T3_mT4_P12ihipStream_tbEUlmE_fEESB_NS0_8identityIvEEEESJ_SM_SN_mSO_SQ_bEUlT_E_NS1_11comp_targetILNS1_3genE0ELNS1_11target_archE4294967295ELNS1_3gpuE0ELNS1_3repE0EEENS1_30default_config_static_selectorELNS0_4arch9wavefront6targetE0EEEvT1_: ; @_ZN7rocprim17ROCPRIM_400000_NS6detail17trampoline_kernelINS0_14default_configENS1_25transform_config_selectorIfLb0EEEZNS1_14transform_implILb0ES3_S5_NS0_18transform_iteratorINS0_17counting_iteratorImlEEZNS1_24adjacent_difference_implIS3_Lb1ELb0EPfN6thrust23THRUST_200600_302600_NS16discard_iteratorINSD_11use_defaultEEENSD_5minusIfEEEE10hipError_tPvRmT2_T3_mT4_P12ihipStream_tbEUlmE_fEESB_NS0_8identityIvEEEESJ_SM_SN_mSO_SQ_bEUlT_E_NS1_11comp_targetILNS1_3genE0ELNS1_11target_archE4294967295ELNS1_3gpuE0ELNS1_3repE0EEENS1_30default_config_static_selectorELNS0_4arch9wavefront6targetE0EEEvT1_
; %bb.0:
	.section	.rodata,"a",@progbits
	.p2align	6, 0x0
	.amdhsa_kernel _ZN7rocprim17ROCPRIM_400000_NS6detail17trampoline_kernelINS0_14default_configENS1_25transform_config_selectorIfLb0EEEZNS1_14transform_implILb0ES3_S5_NS0_18transform_iteratorINS0_17counting_iteratorImlEEZNS1_24adjacent_difference_implIS3_Lb1ELb0EPfN6thrust23THRUST_200600_302600_NS16discard_iteratorINSD_11use_defaultEEENSD_5minusIfEEEE10hipError_tPvRmT2_T3_mT4_P12ihipStream_tbEUlmE_fEESB_NS0_8identityIvEEEESJ_SM_SN_mSO_SQ_bEUlT_E_NS1_11comp_targetILNS1_3genE0ELNS1_11target_archE4294967295ELNS1_3gpuE0ELNS1_3repE0EEENS1_30default_config_static_selectorELNS0_4arch9wavefront6targetE0EEEvT1_
		.amdhsa_group_segment_fixed_size 0
		.amdhsa_private_segment_fixed_size 0
		.amdhsa_kernarg_size 56
		.amdhsa_user_sgpr_count 15
		.amdhsa_user_sgpr_dispatch_ptr 0
		.amdhsa_user_sgpr_queue_ptr 0
		.amdhsa_user_sgpr_kernarg_segment_ptr 1
		.amdhsa_user_sgpr_dispatch_id 0
		.amdhsa_user_sgpr_private_segment_size 0
		.amdhsa_wavefront_size32 1
		.amdhsa_uses_dynamic_stack 0
		.amdhsa_enable_private_segment 0
		.amdhsa_system_sgpr_workgroup_id_x 1
		.amdhsa_system_sgpr_workgroup_id_y 0
		.amdhsa_system_sgpr_workgroup_id_z 0
		.amdhsa_system_sgpr_workgroup_info 0
		.amdhsa_system_vgpr_workitem_id 0
		.amdhsa_next_free_vgpr 1
		.amdhsa_next_free_sgpr 1
		.amdhsa_reserve_vcc 0
		.amdhsa_float_round_mode_32 0
		.amdhsa_float_round_mode_16_64 0
		.amdhsa_float_denorm_mode_32 3
		.amdhsa_float_denorm_mode_16_64 3
		.amdhsa_dx10_clamp 1
		.amdhsa_ieee_mode 1
		.amdhsa_fp16_overflow 0
		.amdhsa_workgroup_processor_mode 1
		.amdhsa_memory_ordered 1
		.amdhsa_forward_progress 0
		.amdhsa_shared_vgpr_count 0
		.amdhsa_exception_fp_ieee_invalid_op 0
		.amdhsa_exception_fp_denorm_src 0
		.amdhsa_exception_fp_ieee_div_zero 0
		.amdhsa_exception_fp_ieee_overflow 0
		.amdhsa_exception_fp_ieee_underflow 0
		.amdhsa_exception_fp_ieee_inexact 0
		.amdhsa_exception_int_div_zero 0
	.end_amdhsa_kernel
	.section	.text._ZN7rocprim17ROCPRIM_400000_NS6detail17trampoline_kernelINS0_14default_configENS1_25transform_config_selectorIfLb0EEEZNS1_14transform_implILb0ES3_S5_NS0_18transform_iteratorINS0_17counting_iteratorImlEEZNS1_24adjacent_difference_implIS3_Lb1ELb0EPfN6thrust23THRUST_200600_302600_NS16discard_iteratorINSD_11use_defaultEEENSD_5minusIfEEEE10hipError_tPvRmT2_T3_mT4_P12ihipStream_tbEUlmE_fEESB_NS0_8identityIvEEEESJ_SM_SN_mSO_SQ_bEUlT_E_NS1_11comp_targetILNS1_3genE0ELNS1_11target_archE4294967295ELNS1_3gpuE0ELNS1_3repE0EEENS1_30default_config_static_selectorELNS0_4arch9wavefront6targetE0EEEvT1_,"axG",@progbits,_ZN7rocprim17ROCPRIM_400000_NS6detail17trampoline_kernelINS0_14default_configENS1_25transform_config_selectorIfLb0EEEZNS1_14transform_implILb0ES3_S5_NS0_18transform_iteratorINS0_17counting_iteratorImlEEZNS1_24adjacent_difference_implIS3_Lb1ELb0EPfN6thrust23THRUST_200600_302600_NS16discard_iteratorINSD_11use_defaultEEENSD_5minusIfEEEE10hipError_tPvRmT2_T3_mT4_P12ihipStream_tbEUlmE_fEESB_NS0_8identityIvEEEESJ_SM_SN_mSO_SQ_bEUlT_E_NS1_11comp_targetILNS1_3genE0ELNS1_11target_archE4294967295ELNS1_3gpuE0ELNS1_3repE0EEENS1_30default_config_static_selectorELNS0_4arch9wavefront6targetE0EEEvT1_,comdat
.Lfunc_end790:
	.size	_ZN7rocprim17ROCPRIM_400000_NS6detail17trampoline_kernelINS0_14default_configENS1_25transform_config_selectorIfLb0EEEZNS1_14transform_implILb0ES3_S5_NS0_18transform_iteratorINS0_17counting_iteratorImlEEZNS1_24adjacent_difference_implIS3_Lb1ELb0EPfN6thrust23THRUST_200600_302600_NS16discard_iteratorINSD_11use_defaultEEENSD_5minusIfEEEE10hipError_tPvRmT2_T3_mT4_P12ihipStream_tbEUlmE_fEESB_NS0_8identityIvEEEESJ_SM_SN_mSO_SQ_bEUlT_E_NS1_11comp_targetILNS1_3genE0ELNS1_11target_archE4294967295ELNS1_3gpuE0ELNS1_3repE0EEENS1_30default_config_static_selectorELNS0_4arch9wavefront6targetE0EEEvT1_, .Lfunc_end790-_ZN7rocprim17ROCPRIM_400000_NS6detail17trampoline_kernelINS0_14default_configENS1_25transform_config_selectorIfLb0EEEZNS1_14transform_implILb0ES3_S5_NS0_18transform_iteratorINS0_17counting_iteratorImlEEZNS1_24adjacent_difference_implIS3_Lb1ELb0EPfN6thrust23THRUST_200600_302600_NS16discard_iteratorINSD_11use_defaultEEENSD_5minusIfEEEE10hipError_tPvRmT2_T3_mT4_P12ihipStream_tbEUlmE_fEESB_NS0_8identityIvEEEESJ_SM_SN_mSO_SQ_bEUlT_E_NS1_11comp_targetILNS1_3genE0ELNS1_11target_archE4294967295ELNS1_3gpuE0ELNS1_3repE0EEENS1_30default_config_static_selectorELNS0_4arch9wavefront6targetE0EEEvT1_
                                        ; -- End function
	.section	.AMDGPU.csdata,"",@progbits
; Kernel info:
; codeLenInByte = 0
; NumSgprs: 0
; NumVgprs: 0
; ScratchSize: 0
; MemoryBound: 0
; FloatMode: 240
; IeeeMode: 1
; LDSByteSize: 0 bytes/workgroup (compile time only)
; SGPRBlocks: 0
; VGPRBlocks: 0
; NumSGPRsForWavesPerEU: 1
; NumVGPRsForWavesPerEU: 1
; Occupancy: 16
; WaveLimiterHint : 0
; COMPUTE_PGM_RSRC2:SCRATCH_EN: 0
; COMPUTE_PGM_RSRC2:USER_SGPR: 15
; COMPUTE_PGM_RSRC2:TRAP_HANDLER: 0
; COMPUTE_PGM_RSRC2:TGID_X_EN: 1
; COMPUTE_PGM_RSRC2:TGID_Y_EN: 0
; COMPUTE_PGM_RSRC2:TGID_Z_EN: 0
; COMPUTE_PGM_RSRC2:TIDIG_COMP_CNT: 0
	.section	.text._ZN7rocprim17ROCPRIM_400000_NS6detail17trampoline_kernelINS0_14default_configENS1_25transform_config_selectorIfLb0EEEZNS1_14transform_implILb0ES3_S5_NS0_18transform_iteratorINS0_17counting_iteratorImlEEZNS1_24adjacent_difference_implIS3_Lb1ELb0EPfN6thrust23THRUST_200600_302600_NS16discard_iteratorINSD_11use_defaultEEENSD_5minusIfEEEE10hipError_tPvRmT2_T3_mT4_P12ihipStream_tbEUlmE_fEESB_NS0_8identityIvEEEESJ_SM_SN_mSO_SQ_bEUlT_E_NS1_11comp_targetILNS1_3genE5ELNS1_11target_archE942ELNS1_3gpuE9ELNS1_3repE0EEENS1_30default_config_static_selectorELNS0_4arch9wavefront6targetE0EEEvT1_,"axG",@progbits,_ZN7rocprim17ROCPRIM_400000_NS6detail17trampoline_kernelINS0_14default_configENS1_25transform_config_selectorIfLb0EEEZNS1_14transform_implILb0ES3_S5_NS0_18transform_iteratorINS0_17counting_iteratorImlEEZNS1_24adjacent_difference_implIS3_Lb1ELb0EPfN6thrust23THRUST_200600_302600_NS16discard_iteratorINSD_11use_defaultEEENSD_5minusIfEEEE10hipError_tPvRmT2_T3_mT4_P12ihipStream_tbEUlmE_fEESB_NS0_8identityIvEEEESJ_SM_SN_mSO_SQ_bEUlT_E_NS1_11comp_targetILNS1_3genE5ELNS1_11target_archE942ELNS1_3gpuE9ELNS1_3repE0EEENS1_30default_config_static_selectorELNS0_4arch9wavefront6targetE0EEEvT1_,comdat
	.protected	_ZN7rocprim17ROCPRIM_400000_NS6detail17trampoline_kernelINS0_14default_configENS1_25transform_config_selectorIfLb0EEEZNS1_14transform_implILb0ES3_S5_NS0_18transform_iteratorINS0_17counting_iteratorImlEEZNS1_24adjacent_difference_implIS3_Lb1ELb0EPfN6thrust23THRUST_200600_302600_NS16discard_iteratorINSD_11use_defaultEEENSD_5minusIfEEEE10hipError_tPvRmT2_T3_mT4_P12ihipStream_tbEUlmE_fEESB_NS0_8identityIvEEEESJ_SM_SN_mSO_SQ_bEUlT_E_NS1_11comp_targetILNS1_3genE5ELNS1_11target_archE942ELNS1_3gpuE9ELNS1_3repE0EEENS1_30default_config_static_selectorELNS0_4arch9wavefront6targetE0EEEvT1_ ; -- Begin function _ZN7rocprim17ROCPRIM_400000_NS6detail17trampoline_kernelINS0_14default_configENS1_25transform_config_selectorIfLb0EEEZNS1_14transform_implILb0ES3_S5_NS0_18transform_iteratorINS0_17counting_iteratorImlEEZNS1_24adjacent_difference_implIS3_Lb1ELb0EPfN6thrust23THRUST_200600_302600_NS16discard_iteratorINSD_11use_defaultEEENSD_5minusIfEEEE10hipError_tPvRmT2_T3_mT4_P12ihipStream_tbEUlmE_fEESB_NS0_8identityIvEEEESJ_SM_SN_mSO_SQ_bEUlT_E_NS1_11comp_targetILNS1_3genE5ELNS1_11target_archE942ELNS1_3gpuE9ELNS1_3repE0EEENS1_30default_config_static_selectorELNS0_4arch9wavefront6targetE0EEEvT1_
	.globl	_ZN7rocprim17ROCPRIM_400000_NS6detail17trampoline_kernelINS0_14default_configENS1_25transform_config_selectorIfLb0EEEZNS1_14transform_implILb0ES3_S5_NS0_18transform_iteratorINS0_17counting_iteratorImlEEZNS1_24adjacent_difference_implIS3_Lb1ELb0EPfN6thrust23THRUST_200600_302600_NS16discard_iteratorINSD_11use_defaultEEENSD_5minusIfEEEE10hipError_tPvRmT2_T3_mT4_P12ihipStream_tbEUlmE_fEESB_NS0_8identityIvEEEESJ_SM_SN_mSO_SQ_bEUlT_E_NS1_11comp_targetILNS1_3genE5ELNS1_11target_archE942ELNS1_3gpuE9ELNS1_3repE0EEENS1_30default_config_static_selectorELNS0_4arch9wavefront6targetE0EEEvT1_
	.p2align	8
	.type	_ZN7rocprim17ROCPRIM_400000_NS6detail17trampoline_kernelINS0_14default_configENS1_25transform_config_selectorIfLb0EEEZNS1_14transform_implILb0ES3_S5_NS0_18transform_iteratorINS0_17counting_iteratorImlEEZNS1_24adjacent_difference_implIS3_Lb1ELb0EPfN6thrust23THRUST_200600_302600_NS16discard_iteratorINSD_11use_defaultEEENSD_5minusIfEEEE10hipError_tPvRmT2_T3_mT4_P12ihipStream_tbEUlmE_fEESB_NS0_8identityIvEEEESJ_SM_SN_mSO_SQ_bEUlT_E_NS1_11comp_targetILNS1_3genE5ELNS1_11target_archE942ELNS1_3gpuE9ELNS1_3repE0EEENS1_30default_config_static_selectorELNS0_4arch9wavefront6targetE0EEEvT1_,@function
_ZN7rocprim17ROCPRIM_400000_NS6detail17trampoline_kernelINS0_14default_configENS1_25transform_config_selectorIfLb0EEEZNS1_14transform_implILb0ES3_S5_NS0_18transform_iteratorINS0_17counting_iteratorImlEEZNS1_24adjacent_difference_implIS3_Lb1ELb0EPfN6thrust23THRUST_200600_302600_NS16discard_iteratorINSD_11use_defaultEEENSD_5minusIfEEEE10hipError_tPvRmT2_T3_mT4_P12ihipStream_tbEUlmE_fEESB_NS0_8identityIvEEEESJ_SM_SN_mSO_SQ_bEUlT_E_NS1_11comp_targetILNS1_3genE5ELNS1_11target_archE942ELNS1_3gpuE9ELNS1_3repE0EEENS1_30default_config_static_selectorELNS0_4arch9wavefront6targetE0EEEvT1_: ; @_ZN7rocprim17ROCPRIM_400000_NS6detail17trampoline_kernelINS0_14default_configENS1_25transform_config_selectorIfLb0EEEZNS1_14transform_implILb0ES3_S5_NS0_18transform_iteratorINS0_17counting_iteratorImlEEZNS1_24adjacent_difference_implIS3_Lb1ELb0EPfN6thrust23THRUST_200600_302600_NS16discard_iteratorINSD_11use_defaultEEENSD_5minusIfEEEE10hipError_tPvRmT2_T3_mT4_P12ihipStream_tbEUlmE_fEESB_NS0_8identityIvEEEESJ_SM_SN_mSO_SQ_bEUlT_E_NS1_11comp_targetILNS1_3genE5ELNS1_11target_archE942ELNS1_3gpuE9ELNS1_3repE0EEENS1_30default_config_static_selectorELNS0_4arch9wavefront6targetE0EEEvT1_
; %bb.0:
	.section	.rodata,"a",@progbits
	.p2align	6, 0x0
	.amdhsa_kernel _ZN7rocprim17ROCPRIM_400000_NS6detail17trampoline_kernelINS0_14default_configENS1_25transform_config_selectorIfLb0EEEZNS1_14transform_implILb0ES3_S5_NS0_18transform_iteratorINS0_17counting_iteratorImlEEZNS1_24adjacent_difference_implIS3_Lb1ELb0EPfN6thrust23THRUST_200600_302600_NS16discard_iteratorINSD_11use_defaultEEENSD_5minusIfEEEE10hipError_tPvRmT2_T3_mT4_P12ihipStream_tbEUlmE_fEESB_NS0_8identityIvEEEESJ_SM_SN_mSO_SQ_bEUlT_E_NS1_11comp_targetILNS1_3genE5ELNS1_11target_archE942ELNS1_3gpuE9ELNS1_3repE0EEENS1_30default_config_static_selectorELNS0_4arch9wavefront6targetE0EEEvT1_
		.amdhsa_group_segment_fixed_size 0
		.amdhsa_private_segment_fixed_size 0
		.amdhsa_kernarg_size 56
		.amdhsa_user_sgpr_count 15
		.amdhsa_user_sgpr_dispatch_ptr 0
		.amdhsa_user_sgpr_queue_ptr 0
		.amdhsa_user_sgpr_kernarg_segment_ptr 1
		.amdhsa_user_sgpr_dispatch_id 0
		.amdhsa_user_sgpr_private_segment_size 0
		.amdhsa_wavefront_size32 1
		.amdhsa_uses_dynamic_stack 0
		.amdhsa_enable_private_segment 0
		.amdhsa_system_sgpr_workgroup_id_x 1
		.amdhsa_system_sgpr_workgroup_id_y 0
		.amdhsa_system_sgpr_workgroup_id_z 0
		.amdhsa_system_sgpr_workgroup_info 0
		.amdhsa_system_vgpr_workitem_id 0
		.amdhsa_next_free_vgpr 1
		.amdhsa_next_free_sgpr 1
		.amdhsa_reserve_vcc 0
		.amdhsa_float_round_mode_32 0
		.amdhsa_float_round_mode_16_64 0
		.amdhsa_float_denorm_mode_32 3
		.amdhsa_float_denorm_mode_16_64 3
		.amdhsa_dx10_clamp 1
		.amdhsa_ieee_mode 1
		.amdhsa_fp16_overflow 0
		.amdhsa_workgroup_processor_mode 1
		.amdhsa_memory_ordered 1
		.amdhsa_forward_progress 0
		.amdhsa_shared_vgpr_count 0
		.amdhsa_exception_fp_ieee_invalid_op 0
		.amdhsa_exception_fp_denorm_src 0
		.amdhsa_exception_fp_ieee_div_zero 0
		.amdhsa_exception_fp_ieee_overflow 0
		.amdhsa_exception_fp_ieee_underflow 0
		.amdhsa_exception_fp_ieee_inexact 0
		.amdhsa_exception_int_div_zero 0
	.end_amdhsa_kernel
	.section	.text._ZN7rocprim17ROCPRIM_400000_NS6detail17trampoline_kernelINS0_14default_configENS1_25transform_config_selectorIfLb0EEEZNS1_14transform_implILb0ES3_S5_NS0_18transform_iteratorINS0_17counting_iteratorImlEEZNS1_24adjacent_difference_implIS3_Lb1ELb0EPfN6thrust23THRUST_200600_302600_NS16discard_iteratorINSD_11use_defaultEEENSD_5minusIfEEEE10hipError_tPvRmT2_T3_mT4_P12ihipStream_tbEUlmE_fEESB_NS0_8identityIvEEEESJ_SM_SN_mSO_SQ_bEUlT_E_NS1_11comp_targetILNS1_3genE5ELNS1_11target_archE942ELNS1_3gpuE9ELNS1_3repE0EEENS1_30default_config_static_selectorELNS0_4arch9wavefront6targetE0EEEvT1_,"axG",@progbits,_ZN7rocprim17ROCPRIM_400000_NS6detail17trampoline_kernelINS0_14default_configENS1_25transform_config_selectorIfLb0EEEZNS1_14transform_implILb0ES3_S5_NS0_18transform_iteratorINS0_17counting_iteratorImlEEZNS1_24adjacent_difference_implIS3_Lb1ELb0EPfN6thrust23THRUST_200600_302600_NS16discard_iteratorINSD_11use_defaultEEENSD_5minusIfEEEE10hipError_tPvRmT2_T3_mT4_P12ihipStream_tbEUlmE_fEESB_NS0_8identityIvEEEESJ_SM_SN_mSO_SQ_bEUlT_E_NS1_11comp_targetILNS1_3genE5ELNS1_11target_archE942ELNS1_3gpuE9ELNS1_3repE0EEENS1_30default_config_static_selectorELNS0_4arch9wavefront6targetE0EEEvT1_,comdat
.Lfunc_end791:
	.size	_ZN7rocprim17ROCPRIM_400000_NS6detail17trampoline_kernelINS0_14default_configENS1_25transform_config_selectorIfLb0EEEZNS1_14transform_implILb0ES3_S5_NS0_18transform_iteratorINS0_17counting_iteratorImlEEZNS1_24adjacent_difference_implIS3_Lb1ELb0EPfN6thrust23THRUST_200600_302600_NS16discard_iteratorINSD_11use_defaultEEENSD_5minusIfEEEE10hipError_tPvRmT2_T3_mT4_P12ihipStream_tbEUlmE_fEESB_NS0_8identityIvEEEESJ_SM_SN_mSO_SQ_bEUlT_E_NS1_11comp_targetILNS1_3genE5ELNS1_11target_archE942ELNS1_3gpuE9ELNS1_3repE0EEENS1_30default_config_static_selectorELNS0_4arch9wavefront6targetE0EEEvT1_, .Lfunc_end791-_ZN7rocprim17ROCPRIM_400000_NS6detail17trampoline_kernelINS0_14default_configENS1_25transform_config_selectorIfLb0EEEZNS1_14transform_implILb0ES3_S5_NS0_18transform_iteratorINS0_17counting_iteratorImlEEZNS1_24adjacent_difference_implIS3_Lb1ELb0EPfN6thrust23THRUST_200600_302600_NS16discard_iteratorINSD_11use_defaultEEENSD_5minusIfEEEE10hipError_tPvRmT2_T3_mT4_P12ihipStream_tbEUlmE_fEESB_NS0_8identityIvEEEESJ_SM_SN_mSO_SQ_bEUlT_E_NS1_11comp_targetILNS1_3genE5ELNS1_11target_archE942ELNS1_3gpuE9ELNS1_3repE0EEENS1_30default_config_static_selectorELNS0_4arch9wavefront6targetE0EEEvT1_
                                        ; -- End function
	.section	.AMDGPU.csdata,"",@progbits
; Kernel info:
; codeLenInByte = 0
; NumSgprs: 0
; NumVgprs: 0
; ScratchSize: 0
; MemoryBound: 0
; FloatMode: 240
; IeeeMode: 1
; LDSByteSize: 0 bytes/workgroup (compile time only)
; SGPRBlocks: 0
; VGPRBlocks: 0
; NumSGPRsForWavesPerEU: 1
; NumVGPRsForWavesPerEU: 1
; Occupancy: 16
; WaveLimiterHint : 0
; COMPUTE_PGM_RSRC2:SCRATCH_EN: 0
; COMPUTE_PGM_RSRC2:USER_SGPR: 15
; COMPUTE_PGM_RSRC2:TRAP_HANDLER: 0
; COMPUTE_PGM_RSRC2:TGID_X_EN: 1
; COMPUTE_PGM_RSRC2:TGID_Y_EN: 0
; COMPUTE_PGM_RSRC2:TGID_Z_EN: 0
; COMPUTE_PGM_RSRC2:TIDIG_COMP_CNT: 0
	.section	.text._ZN7rocprim17ROCPRIM_400000_NS6detail17trampoline_kernelINS0_14default_configENS1_25transform_config_selectorIfLb0EEEZNS1_14transform_implILb0ES3_S5_NS0_18transform_iteratorINS0_17counting_iteratorImlEEZNS1_24adjacent_difference_implIS3_Lb1ELb0EPfN6thrust23THRUST_200600_302600_NS16discard_iteratorINSD_11use_defaultEEENSD_5minusIfEEEE10hipError_tPvRmT2_T3_mT4_P12ihipStream_tbEUlmE_fEESB_NS0_8identityIvEEEESJ_SM_SN_mSO_SQ_bEUlT_E_NS1_11comp_targetILNS1_3genE4ELNS1_11target_archE910ELNS1_3gpuE8ELNS1_3repE0EEENS1_30default_config_static_selectorELNS0_4arch9wavefront6targetE0EEEvT1_,"axG",@progbits,_ZN7rocprim17ROCPRIM_400000_NS6detail17trampoline_kernelINS0_14default_configENS1_25transform_config_selectorIfLb0EEEZNS1_14transform_implILb0ES3_S5_NS0_18transform_iteratorINS0_17counting_iteratorImlEEZNS1_24adjacent_difference_implIS3_Lb1ELb0EPfN6thrust23THRUST_200600_302600_NS16discard_iteratorINSD_11use_defaultEEENSD_5minusIfEEEE10hipError_tPvRmT2_T3_mT4_P12ihipStream_tbEUlmE_fEESB_NS0_8identityIvEEEESJ_SM_SN_mSO_SQ_bEUlT_E_NS1_11comp_targetILNS1_3genE4ELNS1_11target_archE910ELNS1_3gpuE8ELNS1_3repE0EEENS1_30default_config_static_selectorELNS0_4arch9wavefront6targetE0EEEvT1_,comdat
	.protected	_ZN7rocprim17ROCPRIM_400000_NS6detail17trampoline_kernelINS0_14default_configENS1_25transform_config_selectorIfLb0EEEZNS1_14transform_implILb0ES3_S5_NS0_18transform_iteratorINS0_17counting_iteratorImlEEZNS1_24adjacent_difference_implIS3_Lb1ELb0EPfN6thrust23THRUST_200600_302600_NS16discard_iteratorINSD_11use_defaultEEENSD_5minusIfEEEE10hipError_tPvRmT2_T3_mT4_P12ihipStream_tbEUlmE_fEESB_NS0_8identityIvEEEESJ_SM_SN_mSO_SQ_bEUlT_E_NS1_11comp_targetILNS1_3genE4ELNS1_11target_archE910ELNS1_3gpuE8ELNS1_3repE0EEENS1_30default_config_static_selectorELNS0_4arch9wavefront6targetE0EEEvT1_ ; -- Begin function _ZN7rocprim17ROCPRIM_400000_NS6detail17trampoline_kernelINS0_14default_configENS1_25transform_config_selectorIfLb0EEEZNS1_14transform_implILb0ES3_S5_NS0_18transform_iteratorINS0_17counting_iteratorImlEEZNS1_24adjacent_difference_implIS3_Lb1ELb0EPfN6thrust23THRUST_200600_302600_NS16discard_iteratorINSD_11use_defaultEEENSD_5minusIfEEEE10hipError_tPvRmT2_T3_mT4_P12ihipStream_tbEUlmE_fEESB_NS0_8identityIvEEEESJ_SM_SN_mSO_SQ_bEUlT_E_NS1_11comp_targetILNS1_3genE4ELNS1_11target_archE910ELNS1_3gpuE8ELNS1_3repE0EEENS1_30default_config_static_selectorELNS0_4arch9wavefront6targetE0EEEvT1_
	.globl	_ZN7rocprim17ROCPRIM_400000_NS6detail17trampoline_kernelINS0_14default_configENS1_25transform_config_selectorIfLb0EEEZNS1_14transform_implILb0ES3_S5_NS0_18transform_iteratorINS0_17counting_iteratorImlEEZNS1_24adjacent_difference_implIS3_Lb1ELb0EPfN6thrust23THRUST_200600_302600_NS16discard_iteratorINSD_11use_defaultEEENSD_5minusIfEEEE10hipError_tPvRmT2_T3_mT4_P12ihipStream_tbEUlmE_fEESB_NS0_8identityIvEEEESJ_SM_SN_mSO_SQ_bEUlT_E_NS1_11comp_targetILNS1_3genE4ELNS1_11target_archE910ELNS1_3gpuE8ELNS1_3repE0EEENS1_30default_config_static_selectorELNS0_4arch9wavefront6targetE0EEEvT1_
	.p2align	8
	.type	_ZN7rocprim17ROCPRIM_400000_NS6detail17trampoline_kernelINS0_14default_configENS1_25transform_config_selectorIfLb0EEEZNS1_14transform_implILb0ES3_S5_NS0_18transform_iteratorINS0_17counting_iteratorImlEEZNS1_24adjacent_difference_implIS3_Lb1ELb0EPfN6thrust23THRUST_200600_302600_NS16discard_iteratorINSD_11use_defaultEEENSD_5minusIfEEEE10hipError_tPvRmT2_T3_mT4_P12ihipStream_tbEUlmE_fEESB_NS0_8identityIvEEEESJ_SM_SN_mSO_SQ_bEUlT_E_NS1_11comp_targetILNS1_3genE4ELNS1_11target_archE910ELNS1_3gpuE8ELNS1_3repE0EEENS1_30default_config_static_selectorELNS0_4arch9wavefront6targetE0EEEvT1_,@function
_ZN7rocprim17ROCPRIM_400000_NS6detail17trampoline_kernelINS0_14default_configENS1_25transform_config_selectorIfLb0EEEZNS1_14transform_implILb0ES3_S5_NS0_18transform_iteratorINS0_17counting_iteratorImlEEZNS1_24adjacent_difference_implIS3_Lb1ELb0EPfN6thrust23THRUST_200600_302600_NS16discard_iteratorINSD_11use_defaultEEENSD_5minusIfEEEE10hipError_tPvRmT2_T3_mT4_P12ihipStream_tbEUlmE_fEESB_NS0_8identityIvEEEESJ_SM_SN_mSO_SQ_bEUlT_E_NS1_11comp_targetILNS1_3genE4ELNS1_11target_archE910ELNS1_3gpuE8ELNS1_3repE0EEENS1_30default_config_static_selectorELNS0_4arch9wavefront6targetE0EEEvT1_: ; @_ZN7rocprim17ROCPRIM_400000_NS6detail17trampoline_kernelINS0_14default_configENS1_25transform_config_selectorIfLb0EEEZNS1_14transform_implILb0ES3_S5_NS0_18transform_iteratorINS0_17counting_iteratorImlEEZNS1_24adjacent_difference_implIS3_Lb1ELb0EPfN6thrust23THRUST_200600_302600_NS16discard_iteratorINSD_11use_defaultEEENSD_5minusIfEEEE10hipError_tPvRmT2_T3_mT4_P12ihipStream_tbEUlmE_fEESB_NS0_8identityIvEEEESJ_SM_SN_mSO_SQ_bEUlT_E_NS1_11comp_targetILNS1_3genE4ELNS1_11target_archE910ELNS1_3gpuE8ELNS1_3repE0EEENS1_30default_config_static_selectorELNS0_4arch9wavefront6targetE0EEEvT1_
; %bb.0:
	.section	.rodata,"a",@progbits
	.p2align	6, 0x0
	.amdhsa_kernel _ZN7rocprim17ROCPRIM_400000_NS6detail17trampoline_kernelINS0_14default_configENS1_25transform_config_selectorIfLb0EEEZNS1_14transform_implILb0ES3_S5_NS0_18transform_iteratorINS0_17counting_iteratorImlEEZNS1_24adjacent_difference_implIS3_Lb1ELb0EPfN6thrust23THRUST_200600_302600_NS16discard_iteratorINSD_11use_defaultEEENSD_5minusIfEEEE10hipError_tPvRmT2_T3_mT4_P12ihipStream_tbEUlmE_fEESB_NS0_8identityIvEEEESJ_SM_SN_mSO_SQ_bEUlT_E_NS1_11comp_targetILNS1_3genE4ELNS1_11target_archE910ELNS1_3gpuE8ELNS1_3repE0EEENS1_30default_config_static_selectorELNS0_4arch9wavefront6targetE0EEEvT1_
		.amdhsa_group_segment_fixed_size 0
		.amdhsa_private_segment_fixed_size 0
		.amdhsa_kernarg_size 56
		.amdhsa_user_sgpr_count 15
		.amdhsa_user_sgpr_dispatch_ptr 0
		.amdhsa_user_sgpr_queue_ptr 0
		.amdhsa_user_sgpr_kernarg_segment_ptr 1
		.amdhsa_user_sgpr_dispatch_id 0
		.amdhsa_user_sgpr_private_segment_size 0
		.amdhsa_wavefront_size32 1
		.amdhsa_uses_dynamic_stack 0
		.amdhsa_enable_private_segment 0
		.amdhsa_system_sgpr_workgroup_id_x 1
		.amdhsa_system_sgpr_workgroup_id_y 0
		.amdhsa_system_sgpr_workgroup_id_z 0
		.amdhsa_system_sgpr_workgroup_info 0
		.amdhsa_system_vgpr_workitem_id 0
		.amdhsa_next_free_vgpr 1
		.amdhsa_next_free_sgpr 1
		.amdhsa_reserve_vcc 0
		.amdhsa_float_round_mode_32 0
		.amdhsa_float_round_mode_16_64 0
		.amdhsa_float_denorm_mode_32 3
		.amdhsa_float_denorm_mode_16_64 3
		.amdhsa_dx10_clamp 1
		.amdhsa_ieee_mode 1
		.amdhsa_fp16_overflow 0
		.amdhsa_workgroup_processor_mode 1
		.amdhsa_memory_ordered 1
		.amdhsa_forward_progress 0
		.amdhsa_shared_vgpr_count 0
		.amdhsa_exception_fp_ieee_invalid_op 0
		.amdhsa_exception_fp_denorm_src 0
		.amdhsa_exception_fp_ieee_div_zero 0
		.amdhsa_exception_fp_ieee_overflow 0
		.amdhsa_exception_fp_ieee_underflow 0
		.amdhsa_exception_fp_ieee_inexact 0
		.amdhsa_exception_int_div_zero 0
	.end_amdhsa_kernel
	.section	.text._ZN7rocprim17ROCPRIM_400000_NS6detail17trampoline_kernelINS0_14default_configENS1_25transform_config_selectorIfLb0EEEZNS1_14transform_implILb0ES3_S5_NS0_18transform_iteratorINS0_17counting_iteratorImlEEZNS1_24adjacent_difference_implIS3_Lb1ELb0EPfN6thrust23THRUST_200600_302600_NS16discard_iteratorINSD_11use_defaultEEENSD_5minusIfEEEE10hipError_tPvRmT2_T3_mT4_P12ihipStream_tbEUlmE_fEESB_NS0_8identityIvEEEESJ_SM_SN_mSO_SQ_bEUlT_E_NS1_11comp_targetILNS1_3genE4ELNS1_11target_archE910ELNS1_3gpuE8ELNS1_3repE0EEENS1_30default_config_static_selectorELNS0_4arch9wavefront6targetE0EEEvT1_,"axG",@progbits,_ZN7rocprim17ROCPRIM_400000_NS6detail17trampoline_kernelINS0_14default_configENS1_25transform_config_selectorIfLb0EEEZNS1_14transform_implILb0ES3_S5_NS0_18transform_iteratorINS0_17counting_iteratorImlEEZNS1_24adjacent_difference_implIS3_Lb1ELb0EPfN6thrust23THRUST_200600_302600_NS16discard_iteratorINSD_11use_defaultEEENSD_5minusIfEEEE10hipError_tPvRmT2_T3_mT4_P12ihipStream_tbEUlmE_fEESB_NS0_8identityIvEEEESJ_SM_SN_mSO_SQ_bEUlT_E_NS1_11comp_targetILNS1_3genE4ELNS1_11target_archE910ELNS1_3gpuE8ELNS1_3repE0EEENS1_30default_config_static_selectorELNS0_4arch9wavefront6targetE0EEEvT1_,comdat
.Lfunc_end792:
	.size	_ZN7rocprim17ROCPRIM_400000_NS6detail17trampoline_kernelINS0_14default_configENS1_25transform_config_selectorIfLb0EEEZNS1_14transform_implILb0ES3_S5_NS0_18transform_iteratorINS0_17counting_iteratorImlEEZNS1_24adjacent_difference_implIS3_Lb1ELb0EPfN6thrust23THRUST_200600_302600_NS16discard_iteratorINSD_11use_defaultEEENSD_5minusIfEEEE10hipError_tPvRmT2_T3_mT4_P12ihipStream_tbEUlmE_fEESB_NS0_8identityIvEEEESJ_SM_SN_mSO_SQ_bEUlT_E_NS1_11comp_targetILNS1_3genE4ELNS1_11target_archE910ELNS1_3gpuE8ELNS1_3repE0EEENS1_30default_config_static_selectorELNS0_4arch9wavefront6targetE0EEEvT1_, .Lfunc_end792-_ZN7rocprim17ROCPRIM_400000_NS6detail17trampoline_kernelINS0_14default_configENS1_25transform_config_selectorIfLb0EEEZNS1_14transform_implILb0ES3_S5_NS0_18transform_iteratorINS0_17counting_iteratorImlEEZNS1_24adjacent_difference_implIS3_Lb1ELb0EPfN6thrust23THRUST_200600_302600_NS16discard_iteratorINSD_11use_defaultEEENSD_5minusIfEEEE10hipError_tPvRmT2_T3_mT4_P12ihipStream_tbEUlmE_fEESB_NS0_8identityIvEEEESJ_SM_SN_mSO_SQ_bEUlT_E_NS1_11comp_targetILNS1_3genE4ELNS1_11target_archE910ELNS1_3gpuE8ELNS1_3repE0EEENS1_30default_config_static_selectorELNS0_4arch9wavefront6targetE0EEEvT1_
                                        ; -- End function
	.section	.AMDGPU.csdata,"",@progbits
; Kernel info:
; codeLenInByte = 0
; NumSgprs: 0
; NumVgprs: 0
; ScratchSize: 0
; MemoryBound: 0
; FloatMode: 240
; IeeeMode: 1
; LDSByteSize: 0 bytes/workgroup (compile time only)
; SGPRBlocks: 0
; VGPRBlocks: 0
; NumSGPRsForWavesPerEU: 1
; NumVGPRsForWavesPerEU: 1
; Occupancy: 16
; WaveLimiterHint : 0
; COMPUTE_PGM_RSRC2:SCRATCH_EN: 0
; COMPUTE_PGM_RSRC2:USER_SGPR: 15
; COMPUTE_PGM_RSRC2:TRAP_HANDLER: 0
; COMPUTE_PGM_RSRC2:TGID_X_EN: 1
; COMPUTE_PGM_RSRC2:TGID_Y_EN: 0
; COMPUTE_PGM_RSRC2:TGID_Z_EN: 0
; COMPUTE_PGM_RSRC2:TIDIG_COMP_CNT: 0
	.section	.text._ZN7rocprim17ROCPRIM_400000_NS6detail17trampoline_kernelINS0_14default_configENS1_25transform_config_selectorIfLb0EEEZNS1_14transform_implILb0ES3_S5_NS0_18transform_iteratorINS0_17counting_iteratorImlEEZNS1_24adjacent_difference_implIS3_Lb1ELb0EPfN6thrust23THRUST_200600_302600_NS16discard_iteratorINSD_11use_defaultEEENSD_5minusIfEEEE10hipError_tPvRmT2_T3_mT4_P12ihipStream_tbEUlmE_fEESB_NS0_8identityIvEEEESJ_SM_SN_mSO_SQ_bEUlT_E_NS1_11comp_targetILNS1_3genE3ELNS1_11target_archE908ELNS1_3gpuE7ELNS1_3repE0EEENS1_30default_config_static_selectorELNS0_4arch9wavefront6targetE0EEEvT1_,"axG",@progbits,_ZN7rocprim17ROCPRIM_400000_NS6detail17trampoline_kernelINS0_14default_configENS1_25transform_config_selectorIfLb0EEEZNS1_14transform_implILb0ES3_S5_NS0_18transform_iteratorINS0_17counting_iteratorImlEEZNS1_24adjacent_difference_implIS3_Lb1ELb0EPfN6thrust23THRUST_200600_302600_NS16discard_iteratorINSD_11use_defaultEEENSD_5minusIfEEEE10hipError_tPvRmT2_T3_mT4_P12ihipStream_tbEUlmE_fEESB_NS0_8identityIvEEEESJ_SM_SN_mSO_SQ_bEUlT_E_NS1_11comp_targetILNS1_3genE3ELNS1_11target_archE908ELNS1_3gpuE7ELNS1_3repE0EEENS1_30default_config_static_selectorELNS0_4arch9wavefront6targetE0EEEvT1_,comdat
	.protected	_ZN7rocprim17ROCPRIM_400000_NS6detail17trampoline_kernelINS0_14default_configENS1_25transform_config_selectorIfLb0EEEZNS1_14transform_implILb0ES3_S5_NS0_18transform_iteratorINS0_17counting_iteratorImlEEZNS1_24adjacent_difference_implIS3_Lb1ELb0EPfN6thrust23THRUST_200600_302600_NS16discard_iteratorINSD_11use_defaultEEENSD_5minusIfEEEE10hipError_tPvRmT2_T3_mT4_P12ihipStream_tbEUlmE_fEESB_NS0_8identityIvEEEESJ_SM_SN_mSO_SQ_bEUlT_E_NS1_11comp_targetILNS1_3genE3ELNS1_11target_archE908ELNS1_3gpuE7ELNS1_3repE0EEENS1_30default_config_static_selectorELNS0_4arch9wavefront6targetE0EEEvT1_ ; -- Begin function _ZN7rocprim17ROCPRIM_400000_NS6detail17trampoline_kernelINS0_14default_configENS1_25transform_config_selectorIfLb0EEEZNS1_14transform_implILb0ES3_S5_NS0_18transform_iteratorINS0_17counting_iteratorImlEEZNS1_24adjacent_difference_implIS3_Lb1ELb0EPfN6thrust23THRUST_200600_302600_NS16discard_iteratorINSD_11use_defaultEEENSD_5minusIfEEEE10hipError_tPvRmT2_T3_mT4_P12ihipStream_tbEUlmE_fEESB_NS0_8identityIvEEEESJ_SM_SN_mSO_SQ_bEUlT_E_NS1_11comp_targetILNS1_3genE3ELNS1_11target_archE908ELNS1_3gpuE7ELNS1_3repE0EEENS1_30default_config_static_selectorELNS0_4arch9wavefront6targetE0EEEvT1_
	.globl	_ZN7rocprim17ROCPRIM_400000_NS6detail17trampoline_kernelINS0_14default_configENS1_25transform_config_selectorIfLb0EEEZNS1_14transform_implILb0ES3_S5_NS0_18transform_iteratorINS0_17counting_iteratorImlEEZNS1_24adjacent_difference_implIS3_Lb1ELb0EPfN6thrust23THRUST_200600_302600_NS16discard_iteratorINSD_11use_defaultEEENSD_5minusIfEEEE10hipError_tPvRmT2_T3_mT4_P12ihipStream_tbEUlmE_fEESB_NS0_8identityIvEEEESJ_SM_SN_mSO_SQ_bEUlT_E_NS1_11comp_targetILNS1_3genE3ELNS1_11target_archE908ELNS1_3gpuE7ELNS1_3repE0EEENS1_30default_config_static_selectorELNS0_4arch9wavefront6targetE0EEEvT1_
	.p2align	8
	.type	_ZN7rocprim17ROCPRIM_400000_NS6detail17trampoline_kernelINS0_14default_configENS1_25transform_config_selectorIfLb0EEEZNS1_14transform_implILb0ES3_S5_NS0_18transform_iteratorINS0_17counting_iteratorImlEEZNS1_24adjacent_difference_implIS3_Lb1ELb0EPfN6thrust23THRUST_200600_302600_NS16discard_iteratorINSD_11use_defaultEEENSD_5minusIfEEEE10hipError_tPvRmT2_T3_mT4_P12ihipStream_tbEUlmE_fEESB_NS0_8identityIvEEEESJ_SM_SN_mSO_SQ_bEUlT_E_NS1_11comp_targetILNS1_3genE3ELNS1_11target_archE908ELNS1_3gpuE7ELNS1_3repE0EEENS1_30default_config_static_selectorELNS0_4arch9wavefront6targetE0EEEvT1_,@function
_ZN7rocprim17ROCPRIM_400000_NS6detail17trampoline_kernelINS0_14default_configENS1_25transform_config_selectorIfLb0EEEZNS1_14transform_implILb0ES3_S5_NS0_18transform_iteratorINS0_17counting_iteratorImlEEZNS1_24adjacent_difference_implIS3_Lb1ELb0EPfN6thrust23THRUST_200600_302600_NS16discard_iteratorINSD_11use_defaultEEENSD_5minusIfEEEE10hipError_tPvRmT2_T3_mT4_P12ihipStream_tbEUlmE_fEESB_NS0_8identityIvEEEESJ_SM_SN_mSO_SQ_bEUlT_E_NS1_11comp_targetILNS1_3genE3ELNS1_11target_archE908ELNS1_3gpuE7ELNS1_3repE0EEENS1_30default_config_static_selectorELNS0_4arch9wavefront6targetE0EEEvT1_: ; @_ZN7rocprim17ROCPRIM_400000_NS6detail17trampoline_kernelINS0_14default_configENS1_25transform_config_selectorIfLb0EEEZNS1_14transform_implILb0ES3_S5_NS0_18transform_iteratorINS0_17counting_iteratorImlEEZNS1_24adjacent_difference_implIS3_Lb1ELb0EPfN6thrust23THRUST_200600_302600_NS16discard_iteratorINSD_11use_defaultEEENSD_5minusIfEEEE10hipError_tPvRmT2_T3_mT4_P12ihipStream_tbEUlmE_fEESB_NS0_8identityIvEEEESJ_SM_SN_mSO_SQ_bEUlT_E_NS1_11comp_targetILNS1_3genE3ELNS1_11target_archE908ELNS1_3gpuE7ELNS1_3repE0EEENS1_30default_config_static_selectorELNS0_4arch9wavefront6targetE0EEEvT1_
; %bb.0:
	.section	.rodata,"a",@progbits
	.p2align	6, 0x0
	.amdhsa_kernel _ZN7rocprim17ROCPRIM_400000_NS6detail17trampoline_kernelINS0_14default_configENS1_25transform_config_selectorIfLb0EEEZNS1_14transform_implILb0ES3_S5_NS0_18transform_iteratorINS0_17counting_iteratorImlEEZNS1_24adjacent_difference_implIS3_Lb1ELb0EPfN6thrust23THRUST_200600_302600_NS16discard_iteratorINSD_11use_defaultEEENSD_5minusIfEEEE10hipError_tPvRmT2_T3_mT4_P12ihipStream_tbEUlmE_fEESB_NS0_8identityIvEEEESJ_SM_SN_mSO_SQ_bEUlT_E_NS1_11comp_targetILNS1_3genE3ELNS1_11target_archE908ELNS1_3gpuE7ELNS1_3repE0EEENS1_30default_config_static_selectorELNS0_4arch9wavefront6targetE0EEEvT1_
		.amdhsa_group_segment_fixed_size 0
		.amdhsa_private_segment_fixed_size 0
		.amdhsa_kernarg_size 56
		.amdhsa_user_sgpr_count 15
		.amdhsa_user_sgpr_dispatch_ptr 0
		.amdhsa_user_sgpr_queue_ptr 0
		.amdhsa_user_sgpr_kernarg_segment_ptr 1
		.amdhsa_user_sgpr_dispatch_id 0
		.amdhsa_user_sgpr_private_segment_size 0
		.amdhsa_wavefront_size32 1
		.amdhsa_uses_dynamic_stack 0
		.amdhsa_enable_private_segment 0
		.amdhsa_system_sgpr_workgroup_id_x 1
		.amdhsa_system_sgpr_workgroup_id_y 0
		.amdhsa_system_sgpr_workgroup_id_z 0
		.amdhsa_system_sgpr_workgroup_info 0
		.amdhsa_system_vgpr_workitem_id 0
		.amdhsa_next_free_vgpr 1
		.amdhsa_next_free_sgpr 1
		.amdhsa_reserve_vcc 0
		.amdhsa_float_round_mode_32 0
		.amdhsa_float_round_mode_16_64 0
		.amdhsa_float_denorm_mode_32 3
		.amdhsa_float_denorm_mode_16_64 3
		.amdhsa_dx10_clamp 1
		.amdhsa_ieee_mode 1
		.amdhsa_fp16_overflow 0
		.amdhsa_workgroup_processor_mode 1
		.amdhsa_memory_ordered 1
		.amdhsa_forward_progress 0
		.amdhsa_shared_vgpr_count 0
		.amdhsa_exception_fp_ieee_invalid_op 0
		.amdhsa_exception_fp_denorm_src 0
		.amdhsa_exception_fp_ieee_div_zero 0
		.amdhsa_exception_fp_ieee_overflow 0
		.amdhsa_exception_fp_ieee_underflow 0
		.amdhsa_exception_fp_ieee_inexact 0
		.amdhsa_exception_int_div_zero 0
	.end_amdhsa_kernel
	.section	.text._ZN7rocprim17ROCPRIM_400000_NS6detail17trampoline_kernelINS0_14default_configENS1_25transform_config_selectorIfLb0EEEZNS1_14transform_implILb0ES3_S5_NS0_18transform_iteratorINS0_17counting_iteratorImlEEZNS1_24adjacent_difference_implIS3_Lb1ELb0EPfN6thrust23THRUST_200600_302600_NS16discard_iteratorINSD_11use_defaultEEENSD_5minusIfEEEE10hipError_tPvRmT2_T3_mT4_P12ihipStream_tbEUlmE_fEESB_NS0_8identityIvEEEESJ_SM_SN_mSO_SQ_bEUlT_E_NS1_11comp_targetILNS1_3genE3ELNS1_11target_archE908ELNS1_3gpuE7ELNS1_3repE0EEENS1_30default_config_static_selectorELNS0_4arch9wavefront6targetE0EEEvT1_,"axG",@progbits,_ZN7rocprim17ROCPRIM_400000_NS6detail17trampoline_kernelINS0_14default_configENS1_25transform_config_selectorIfLb0EEEZNS1_14transform_implILb0ES3_S5_NS0_18transform_iteratorINS0_17counting_iteratorImlEEZNS1_24adjacent_difference_implIS3_Lb1ELb0EPfN6thrust23THRUST_200600_302600_NS16discard_iteratorINSD_11use_defaultEEENSD_5minusIfEEEE10hipError_tPvRmT2_T3_mT4_P12ihipStream_tbEUlmE_fEESB_NS0_8identityIvEEEESJ_SM_SN_mSO_SQ_bEUlT_E_NS1_11comp_targetILNS1_3genE3ELNS1_11target_archE908ELNS1_3gpuE7ELNS1_3repE0EEENS1_30default_config_static_selectorELNS0_4arch9wavefront6targetE0EEEvT1_,comdat
.Lfunc_end793:
	.size	_ZN7rocprim17ROCPRIM_400000_NS6detail17trampoline_kernelINS0_14default_configENS1_25transform_config_selectorIfLb0EEEZNS1_14transform_implILb0ES3_S5_NS0_18transform_iteratorINS0_17counting_iteratorImlEEZNS1_24adjacent_difference_implIS3_Lb1ELb0EPfN6thrust23THRUST_200600_302600_NS16discard_iteratorINSD_11use_defaultEEENSD_5minusIfEEEE10hipError_tPvRmT2_T3_mT4_P12ihipStream_tbEUlmE_fEESB_NS0_8identityIvEEEESJ_SM_SN_mSO_SQ_bEUlT_E_NS1_11comp_targetILNS1_3genE3ELNS1_11target_archE908ELNS1_3gpuE7ELNS1_3repE0EEENS1_30default_config_static_selectorELNS0_4arch9wavefront6targetE0EEEvT1_, .Lfunc_end793-_ZN7rocprim17ROCPRIM_400000_NS6detail17trampoline_kernelINS0_14default_configENS1_25transform_config_selectorIfLb0EEEZNS1_14transform_implILb0ES3_S5_NS0_18transform_iteratorINS0_17counting_iteratorImlEEZNS1_24adjacent_difference_implIS3_Lb1ELb0EPfN6thrust23THRUST_200600_302600_NS16discard_iteratorINSD_11use_defaultEEENSD_5minusIfEEEE10hipError_tPvRmT2_T3_mT4_P12ihipStream_tbEUlmE_fEESB_NS0_8identityIvEEEESJ_SM_SN_mSO_SQ_bEUlT_E_NS1_11comp_targetILNS1_3genE3ELNS1_11target_archE908ELNS1_3gpuE7ELNS1_3repE0EEENS1_30default_config_static_selectorELNS0_4arch9wavefront6targetE0EEEvT1_
                                        ; -- End function
	.section	.AMDGPU.csdata,"",@progbits
; Kernel info:
; codeLenInByte = 0
; NumSgprs: 0
; NumVgprs: 0
; ScratchSize: 0
; MemoryBound: 0
; FloatMode: 240
; IeeeMode: 1
; LDSByteSize: 0 bytes/workgroup (compile time only)
; SGPRBlocks: 0
; VGPRBlocks: 0
; NumSGPRsForWavesPerEU: 1
; NumVGPRsForWavesPerEU: 1
; Occupancy: 16
; WaveLimiterHint : 0
; COMPUTE_PGM_RSRC2:SCRATCH_EN: 0
; COMPUTE_PGM_RSRC2:USER_SGPR: 15
; COMPUTE_PGM_RSRC2:TRAP_HANDLER: 0
; COMPUTE_PGM_RSRC2:TGID_X_EN: 1
; COMPUTE_PGM_RSRC2:TGID_Y_EN: 0
; COMPUTE_PGM_RSRC2:TGID_Z_EN: 0
; COMPUTE_PGM_RSRC2:TIDIG_COMP_CNT: 0
	.section	.text._ZN7rocprim17ROCPRIM_400000_NS6detail17trampoline_kernelINS0_14default_configENS1_25transform_config_selectorIfLb0EEEZNS1_14transform_implILb0ES3_S5_NS0_18transform_iteratorINS0_17counting_iteratorImlEEZNS1_24adjacent_difference_implIS3_Lb1ELb0EPfN6thrust23THRUST_200600_302600_NS16discard_iteratorINSD_11use_defaultEEENSD_5minusIfEEEE10hipError_tPvRmT2_T3_mT4_P12ihipStream_tbEUlmE_fEESB_NS0_8identityIvEEEESJ_SM_SN_mSO_SQ_bEUlT_E_NS1_11comp_targetILNS1_3genE2ELNS1_11target_archE906ELNS1_3gpuE6ELNS1_3repE0EEENS1_30default_config_static_selectorELNS0_4arch9wavefront6targetE0EEEvT1_,"axG",@progbits,_ZN7rocprim17ROCPRIM_400000_NS6detail17trampoline_kernelINS0_14default_configENS1_25transform_config_selectorIfLb0EEEZNS1_14transform_implILb0ES3_S5_NS0_18transform_iteratorINS0_17counting_iteratorImlEEZNS1_24adjacent_difference_implIS3_Lb1ELb0EPfN6thrust23THRUST_200600_302600_NS16discard_iteratorINSD_11use_defaultEEENSD_5minusIfEEEE10hipError_tPvRmT2_T3_mT4_P12ihipStream_tbEUlmE_fEESB_NS0_8identityIvEEEESJ_SM_SN_mSO_SQ_bEUlT_E_NS1_11comp_targetILNS1_3genE2ELNS1_11target_archE906ELNS1_3gpuE6ELNS1_3repE0EEENS1_30default_config_static_selectorELNS0_4arch9wavefront6targetE0EEEvT1_,comdat
	.protected	_ZN7rocprim17ROCPRIM_400000_NS6detail17trampoline_kernelINS0_14default_configENS1_25transform_config_selectorIfLb0EEEZNS1_14transform_implILb0ES3_S5_NS0_18transform_iteratorINS0_17counting_iteratorImlEEZNS1_24adjacent_difference_implIS3_Lb1ELb0EPfN6thrust23THRUST_200600_302600_NS16discard_iteratorINSD_11use_defaultEEENSD_5minusIfEEEE10hipError_tPvRmT2_T3_mT4_P12ihipStream_tbEUlmE_fEESB_NS0_8identityIvEEEESJ_SM_SN_mSO_SQ_bEUlT_E_NS1_11comp_targetILNS1_3genE2ELNS1_11target_archE906ELNS1_3gpuE6ELNS1_3repE0EEENS1_30default_config_static_selectorELNS0_4arch9wavefront6targetE0EEEvT1_ ; -- Begin function _ZN7rocprim17ROCPRIM_400000_NS6detail17trampoline_kernelINS0_14default_configENS1_25transform_config_selectorIfLb0EEEZNS1_14transform_implILb0ES3_S5_NS0_18transform_iteratorINS0_17counting_iteratorImlEEZNS1_24adjacent_difference_implIS3_Lb1ELb0EPfN6thrust23THRUST_200600_302600_NS16discard_iteratorINSD_11use_defaultEEENSD_5minusIfEEEE10hipError_tPvRmT2_T3_mT4_P12ihipStream_tbEUlmE_fEESB_NS0_8identityIvEEEESJ_SM_SN_mSO_SQ_bEUlT_E_NS1_11comp_targetILNS1_3genE2ELNS1_11target_archE906ELNS1_3gpuE6ELNS1_3repE0EEENS1_30default_config_static_selectorELNS0_4arch9wavefront6targetE0EEEvT1_
	.globl	_ZN7rocprim17ROCPRIM_400000_NS6detail17trampoline_kernelINS0_14default_configENS1_25transform_config_selectorIfLb0EEEZNS1_14transform_implILb0ES3_S5_NS0_18transform_iteratorINS0_17counting_iteratorImlEEZNS1_24adjacent_difference_implIS3_Lb1ELb0EPfN6thrust23THRUST_200600_302600_NS16discard_iteratorINSD_11use_defaultEEENSD_5minusIfEEEE10hipError_tPvRmT2_T3_mT4_P12ihipStream_tbEUlmE_fEESB_NS0_8identityIvEEEESJ_SM_SN_mSO_SQ_bEUlT_E_NS1_11comp_targetILNS1_3genE2ELNS1_11target_archE906ELNS1_3gpuE6ELNS1_3repE0EEENS1_30default_config_static_selectorELNS0_4arch9wavefront6targetE0EEEvT1_
	.p2align	8
	.type	_ZN7rocprim17ROCPRIM_400000_NS6detail17trampoline_kernelINS0_14default_configENS1_25transform_config_selectorIfLb0EEEZNS1_14transform_implILb0ES3_S5_NS0_18transform_iteratorINS0_17counting_iteratorImlEEZNS1_24adjacent_difference_implIS3_Lb1ELb0EPfN6thrust23THRUST_200600_302600_NS16discard_iteratorINSD_11use_defaultEEENSD_5minusIfEEEE10hipError_tPvRmT2_T3_mT4_P12ihipStream_tbEUlmE_fEESB_NS0_8identityIvEEEESJ_SM_SN_mSO_SQ_bEUlT_E_NS1_11comp_targetILNS1_3genE2ELNS1_11target_archE906ELNS1_3gpuE6ELNS1_3repE0EEENS1_30default_config_static_selectorELNS0_4arch9wavefront6targetE0EEEvT1_,@function
_ZN7rocprim17ROCPRIM_400000_NS6detail17trampoline_kernelINS0_14default_configENS1_25transform_config_selectorIfLb0EEEZNS1_14transform_implILb0ES3_S5_NS0_18transform_iteratorINS0_17counting_iteratorImlEEZNS1_24adjacent_difference_implIS3_Lb1ELb0EPfN6thrust23THRUST_200600_302600_NS16discard_iteratorINSD_11use_defaultEEENSD_5minusIfEEEE10hipError_tPvRmT2_T3_mT4_P12ihipStream_tbEUlmE_fEESB_NS0_8identityIvEEEESJ_SM_SN_mSO_SQ_bEUlT_E_NS1_11comp_targetILNS1_3genE2ELNS1_11target_archE906ELNS1_3gpuE6ELNS1_3repE0EEENS1_30default_config_static_selectorELNS0_4arch9wavefront6targetE0EEEvT1_: ; @_ZN7rocprim17ROCPRIM_400000_NS6detail17trampoline_kernelINS0_14default_configENS1_25transform_config_selectorIfLb0EEEZNS1_14transform_implILb0ES3_S5_NS0_18transform_iteratorINS0_17counting_iteratorImlEEZNS1_24adjacent_difference_implIS3_Lb1ELb0EPfN6thrust23THRUST_200600_302600_NS16discard_iteratorINSD_11use_defaultEEENSD_5minusIfEEEE10hipError_tPvRmT2_T3_mT4_P12ihipStream_tbEUlmE_fEESB_NS0_8identityIvEEEESJ_SM_SN_mSO_SQ_bEUlT_E_NS1_11comp_targetILNS1_3genE2ELNS1_11target_archE906ELNS1_3gpuE6ELNS1_3repE0EEENS1_30default_config_static_selectorELNS0_4arch9wavefront6targetE0EEEvT1_
; %bb.0:
	.section	.rodata,"a",@progbits
	.p2align	6, 0x0
	.amdhsa_kernel _ZN7rocprim17ROCPRIM_400000_NS6detail17trampoline_kernelINS0_14default_configENS1_25transform_config_selectorIfLb0EEEZNS1_14transform_implILb0ES3_S5_NS0_18transform_iteratorINS0_17counting_iteratorImlEEZNS1_24adjacent_difference_implIS3_Lb1ELb0EPfN6thrust23THRUST_200600_302600_NS16discard_iteratorINSD_11use_defaultEEENSD_5minusIfEEEE10hipError_tPvRmT2_T3_mT4_P12ihipStream_tbEUlmE_fEESB_NS0_8identityIvEEEESJ_SM_SN_mSO_SQ_bEUlT_E_NS1_11comp_targetILNS1_3genE2ELNS1_11target_archE906ELNS1_3gpuE6ELNS1_3repE0EEENS1_30default_config_static_selectorELNS0_4arch9wavefront6targetE0EEEvT1_
		.amdhsa_group_segment_fixed_size 0
		.amdhsa_private_segment_fixed_size 0
		.amdhsa_kernarg_size 56
		.amdhsa_user_sgpr_count 15
		.amdhsa_user_sgpr_dispatch_ptr 0
		.amdhsa_user_sgpr_queue_ptr 0
		.amdhsa_user_sgpr_kernarg_segment_ptr 1
		.amdhsa_user_sgpr_dispatch_id 0
		.amdhsa_user_sgpr_private_segment_size 0
		.amdhsa_wavefront_size32 1
		.amdhsa_uses_dynamic_stack 0
		.amdhsa_enable_private_segment 0
		.amdhsa_system_sgpr_workgroup_id_x 1
		.amdhsa_system_sgpr_workgroup_id_y 0
		.amdhsa_system_sgpr_workgroup_id_z 0
		.amdhsa_system_sgpr_workgroup_info 0
		.amdhsa_system_vgpr_workitem_id 0
		.amdhsa_next_free_vgpr 1
		.amdhsa_next_free_sgpr 1
		.amdhsa_reserve_vcc 0
		.amdhsa_float_round_mode_32 0
		.amdhsa_float_round_mode_16_64 0
		.amdhsa_float_denorm_mode_32 3
		.amdhsa_float_denorm_mode_16_64 3
		.amdhsa_dx10_clamp 1
		.amdhsa_ieee_mode 1
		.amdhsa_fp16_overflow 0
		.amdhsa_workgroup_processor_mode 1
		.amdhsa_memory_ordered 1
		.amdhsa_forward_progress 0
		.amdhsa_shared_vgpr_count 0
		.amdhsa_exception_fp_ieee_invalid_op 0
		.amdhsa_exception_fp_denorm_src 0
		.amdhsa_exception_fp_ieee_div_zero 0
		.amdhsa_exception_fp_ieee_overflow 0
		.amdhsa_exception_fp_ieee_underflow 0
		.amdhsa_exception_fp_ieee_inexact 0
		.amdhsa_exception_int_div_zero 0
	.end_amdhsa_kernel
	.section	.text._ZN7rocprim17ROCPRIM_400000_NS6detail17trampoline_kernelINS0_14default_configENS1_25transform_config_selectorIfLb0EEEZNS1_14transform_implILb0ES3_S5_NS0_18transform_iteratorINS0_17counting_iteratorImlEEZNS1_24adjacent_difference_implIS3_Lb1ELb0EPfN6thrust23THRUST_200600_302600_NS16discard_iteratorINSD_11use_defaultEEENSD_5minusIfEEEE10hipError_tPvRmT2_T3_mT4_P12ihipStream_tbEUlmE_fEESB_NS0_8identityIvEEEESJ_SM_SN_mSO_SQ_bEUlT_E_NS1_11comp_targetILNS1_3genE2ELNS1_11target_archE906ELNS1_3gpuE6ELNS1_3repE0EEENS1_30default_config_static_selectorELNS0_4arch9wavefront6targetE0EEEvT1_,"axG",@progbits,_ZN7rocprim17ROCPRIM_400000_NS6detail17trampoline_kernelINS0_14default_configENS1_25transform_config_selectorIfLb0EEEZNS1_14transform_implILb0ES3_S5_NS0_18transform_iteratorINS0_17counting_iteratorImlEEZNS1_24adjacent_difference_implIS3_Lb1ELb0EPfN6thrust23THRUST_200600_302600_NS16discard_iteratorINSD_11use_defaultEEENSD_5minusIfEEEE10hipError_tPvRmT2_T3_mT4_P12ihipStream_tbEUlmE_fEESB_NS0_8identityIvEEEESJ_SM_SN_mSO_SQ_bEUlT_E_NS1_11comp_targetILNS1_3genE2ELNS1_11target_archE906ELNS1_3gpuE6ELNS1_3repE0EEENS1_30default_config_static_selectorELNS0_4arch9wavefront6targetE0EEEvT1_,comdat
.Lfunc_end794:
	.size	_ZN7rocprim17ROCPRIM_400000_NS6detail17trampoline_kernelINS0_14default_configENS1_25transform_config_selectorIfLb0EEEZNS1_14transform_implILb0ES3_S5_NS0_18transform_iteratorINS0_17counting_iteratorImlEEZNS1_24adjacent_difference_implIS3_Lb1ELb0EPfN6thrust23THRUST_200600_302600_NS16discard_iteratorINSD_11use_defaultEEENSD_5minusIfEEEE10hipError_tPvRmT2_T3_mT4_P12ihipStream_tbEUlmE_fEESB_NS0_8identityIvEEEESJ_SM_SN_mSO_SQ_bEUlT_E_NS1_11comp_targetILNS1_3genE2ELNS1_11target_archE906ELNS1_3gpuE6ELNS1_3repE0EEENS1_30default_config_static_selectorELNS0_4arch9wavefront6targetE0EEEvT1_, .Lfunc_end794-_ZN7rocprim17ROCPRIM_400000_NS6detail17trampoline_kernelINS0_14default_configENS1_25transform_config_selectorIfLb0EEEZNS1_14transform_implILb0ES3_S5_NS0_18transform_iteratorINS0_17counting_iteratorImlEEZNS1_24adjacent_difference_implIS3_Lb1ELb0EPfN6thrust23THRUST_200600_302600_NS16discard_iteratorINSD_11use_defaultEEENSD_5minusIfEEEE10hipError_tPvRmT2_T3_mT4_P12ihipStream_tbEUlmE_fEESB_NS0_8identityIvEEEESJ_SM_SN_mSO_SQ_bEUlT_E_NS1_11comp_targetILNS1_3genE2ELNS1_11target_archE906ELNS1_3gpuE6ELNS1_3repE0EEENS1_30default_config_static_selectorELNS0_4arch9wavefront6targetE0EEEvT1_
                                        ; -- End function
	.section	.AMDGPU.csdata,"",@progbits
; Kernel info:
; codeLenInByte = 0
; NumSgprs: 0
; NumVgprs: 0
; ScratchSize: 0
; MemoryBound: 0
; FloatMode: 240
; IeeeMode: 1
; LDSByteSize: 0 bytes/workgroup (compile time only)
; SGPRBlocks: 0
; VGPRBlocks: 0
; NumSGPRsForWavesPerEU: 1
; NumVGPRsForWavesPerEU: 1
; Occupancy: 16
; WaveLimiterHint : 0
; COMPUTE_PGM_RSRC2:SCRATCH_EN: 0
; COMPUTE_PGM_RSRC2:USER_SGPR: 15
; COMPUTE_PGM_RSRC2:TRAP_HANDLER: 0
; COMPUTE_PGM_RSRC2:TGID_X_EN: 1
; COMPUTE_PGM_RSRC2:TGID_Y_EN: 0
; COMPUTE_PGM_RSRC2:TGID_Z_EN: 0
; COMPUTE_PGM_RSRC2:TIDIG_COMP_CNT: 0
	.section	.text._ZN7rocprim17ROCPRIM_400000_NS6detail17trampoline_kernelINS0_14default_configENS1_25transform_config_selectorIfLb0EEEZNS1_14transform_implILb0ES3_S5_NS0_18transform_iteratorINS0_17counting_iteratorImlEEZNS1_24adjacent_difference_implIS3_Lb1ELb0EPfN6thrust23THRUST_200600_302600_NS16discard_iteratorINSD_11use_defaultEEENSD_5minusIfEEEE10hipError_tPvRmT2_T3_mT4_P12ihipStream_tbEUlmE_fEESB_NS0_8identityIvEEEESJ_SM_SN_mSO_SQ_bEUlT_E_NS1_11comp_targetILNS1_3genE10ELNS1_11target_archE1201ELNS1_3gpuE5ELNS1_3repE0EEENS1_30default_config_static_selectorELNS0_4arch9wavefront6targetE0EEEvT1_,"axG",@progbits,_ZN7rocprim17ROCPRIM_400000_NS6detail17trampoline_kernelINS0_14default_configENS1_25transform_config_selectorIfLb0EEEZNS1_14transform_implILb0ES3_S5_NS0_18transform_iteratorINS0_17counting_iteratorImlEEZNS1_24adjacent_difference_implIS3_Lb1ELb0EPfN6thrust23THRUST_200600_302600_NS16discard_iteratorINSD_11use_defaultEEENSD_5minusIfEEEE10hipError_tPvRmT2_T3_mT4_P12ihipStream_tbEUlmE_fEESB_NS0_8identityIvEEEESJ_SM_SN_mSO_SQ_bEUlT_E_NS1_11comp_targetILNS1_3genE10ELNS1_11target_archE1201ELNS1_3gpuE5ELNS1_3repE0EEENS1_30default_config_static_selectorELNS0_4arch9wavefront6targetE0EEEvT1_,comdat
	.protected	_ZN7rocprim17ROCPRIM_400000_NS6detail17trampoline_kernelINS0_14default_configENS1_25transform_config_selectorIfLb0EEEZNS1_14transform_implILb0ES3_S5_NS0_18transform_iteratorINS0_17counting_iteratorImlEEZNS1_24adjacent_difference_implIS3_Lb1ELb0EPfN6thrust23THRUST_200600_302600_NS16discard_iteratorINSD_11use_defaultEEENSD_5minusIfEEEE10hipError_tPvRmT2_T3_mT4_P12ihipStream_tbEUlmE_fEESB_NS0_8identityIvEEEESJ_SM_SN_mSO_SQ_bEUlT_E_NS1_11comp_targetILNS1_3genE10ELNS1_11target_archE1201ELNS1_3gpuE5ELNS1_3repE0EEENS1_30default_config_static_selectorELNS0_4arch9wavefront6targetE0EEEvT1_ ; -- Begin function _ZN7rocprim17ROCPRIM_400000_NS6detail17trampoline_kernelINS0_14default_configENS1_25transform_config_selectorIfLb0EEEZNS1_14transform_implILb0ES3_S5_NS0_18transform_iteratorINS0_17counting_iteratorImlEEZNS1_24adjacent_difference_implIS3_Lb1ELb0EPfN6thrust23THRUST_200600_302600_NS16discard_iteratorINSD_11use_defaultEEENSD_5minusIfEEEE10hipError_tPvRmT2_T3_mT4_P12ihipStream_tbEUlmE_fEESB_NS0_8identityIvEEEESJ_SM_SN_mSO_SQ_bEUlT_E_NS1_11comp_targetILNS1_3genE10ELNS1_11target_archE1201ELNS1_3gpuE5ELNS1_3repE0EEENS1_30default_config_static_selectorELNS0_4arch9wavefront6targetE0EEEvT1_
	.globl	_ZN7rocprim17ROCPRIM_400000_NS6detail17trampoline_kernelINS0_14default_configENS1_25transform_config_selectorIfLb0EEEZNS1_14transform_implILb0ES3_S5_NS0_18transform_iteratorINS0_17counting_iteratorImlEEZNS1_24adjacent_difference_implIS3_Lb1ELb0EPfN6thrust23THRUST_200600_302600_NS16discard_iteratorINSD_11use_defaultEEENSD_5minusIfEEEE10hipError_tPvRmT2_T3_mT4_P12ihipStream_tbEUlmE_fEESB_NS0_8identityIvEEEESJ_SM_SN_mSO_SQ_bEUlT_E_NS1_11comp_targetILNS1_3genE10ELNS1_11target_archE1201ELNS1_3gpuE5ELNS1_3repE0EEENS1_30default_config_static_selectorELNS0_4arch9wavefront6targetE0EEEvT1_
	.p2align	8
	.type	_ZN7rocprim17ROCPRIM_400000_NS6detail17trampoline_kernelINS0_14default_configENS1_25transform_config_selectorIfLb0EEEZNS1_14transform_implILb0ES3_S5_NS0_18transform_iteratorINS0_17counting_iteratorImlEEZNS1_24adjacent_difference_implIS3_Lb1ELb0EPfN6thrust23THRUST_200600_302600_NS16discard_iteratorINSD_11use_defaultEEENSD_5minusIfEEEE10hipError_tPvRmT2_T3_mT4_P12ihipStream_tbEUlmE_fEESB_NS0_8identityIvEEEESJ_SM_SN_mSO_SQ_bEUlT_E_NS1_11comp_targetILNS1_3genE10ELNS1_11target_archE1201ELNS1_3gpuE5ELNS1_3repE0EEENS1_30default_config_static_selectorELNS0_4arch9wavefront6targetE0EEEvT1_,@function
_ZN7rocprim17ROCPRIM_400000_NS6detail17trampoline_kernelINS0_14default_configENS1_25transform_config_selectorIfLb0EEEZNS1_14transform_implILb0ES3_S5_NS0_18transform_iteratorINS0_17counting_iteratorImlEEZNS1_24adjacent_difference_implIS3_Lb1ELb0EPfN6thrust23THRUST_200600_302600_NS16discard_iteratorINSD_11use_defaultEEENSD_5minusIfEEEE10hipError_tPvRmT2_T3_mT4_P12ihipStream_tbEUlmE_fEESB_NS0_8identityIvEEEESJ_SM_SN_mSO_SQ_bEUlT_E_NS1_11comp_targetILNS1_3genE10ELNS1_11target_archE1201ELNS1_3gpuE5ELNS1_3repE0EEENS1_30default_config_static_selectorELNS0_4arch9wavefront6targetE0EEEvT1_: ; @_ZN7rocprim17ROCPRIM_400000_NS6detail17trampoline_kernelINS0_14default_configENS1_25transform_config_selectorIfLb0EEEZNS1_14transform_implILb0ES3_S5_NS0_18transform_iteratorINS0_17counting_iteratorImlEEZNS1_24adjacent_difference_implIS3_Lb1ELb0EPfN6thrust23THRUST_200600_302600_NS16discard_iteratorINSD_11use_defaultEEENSD_5minusIfEEEE10hipError_tPvRmT2_T3_mT4_P12ihipStream_tbEUlmE_fEESB_NS0_8identityIvEEEESJ_SM_SN_mSO_SQ_bEUlT_E_NS1_11comp_targetILNS1_3genE10ELNS1_11target_archE1201ELNS1_3gpuE5ELNS1_3repE0EEENS1_30default_config_static_selectorELNS0_4arch9wavefront6targetE0EEEvT1_
; %bb.0:
	.section	.rodata,"a",@progbits
	.p2align	6, 0x0
	.amdhsa_kernel _ZN7rocprim17ROCPRIM_400000_NS6detail17trampoline_kernelINS0_14default_configENS1_25transform_config_selectorIfLb0EEEZNS1_14transform_implILb0ES3_S5_NS0_18transform_iteratorINS0_17counting_iteratorImlEEZNS1_24adjacent_difference_implIS3_Lb1ELb0EPfN6thrust23THRUST_200600_302600_NS16discard_iteratorINSD_11use_defaultEEENSD_5minusIfEEEE10hipError_tPvRmT2_T3_mT4_P12ihipStream_tbEUlmE_fEESB_NS0_8identityIvEEEESJ_SM_SN_mSO_SQ_bEUlT_E_NS1_11comp_targetILNS1_3genE10ELNS1_11target_archE1201ELNS1_3gpuE5ELNS1_3repE0EEENS1_30default_config_static_selectorELNS0_4arch9wavefront6targetE0EEEvT1_
		.amdhsa_group_segment_fixed_size 0
		.amdhsa_private_segment_fixed_size 0
		.amdhsa_kernarg_size 56
		.amdhsa_user_sgpr_count 15
		.amdhsa_user_sgpr_dispatch_ptr 0
		.amdhsa_user_sgpr_queue_ptr 0
		.amdhsa_user_sgpr_kernarg_segment_ptr 1
		.amdhsa_user_sgpr_dispatch_id 0
		.amdhsa_user_sgpr_private_segment_size 0
		.amdhsa_wavefront_size32 1
		.amdhsa_uses_dynamic_stack 0
		.amdhsa_enable_private_segment 0
		.amdhsa_system_sgpr_workgroup_id_x 1
		.amdhsa_system_sgpr_workgroup_id_y 0
		.amdhsa_system_sgpr_workgroup_id_z 0
		.amdhsa_system_sgpr_workgroup_info 0
		.amdhsa_system_vgpr_workitem_id 0
		.amdhsa_next_free_vgpr 1
		.amdhsa_next_free_sgpr 1
		.amdhsa_reserve_vcc 0
		.amdhsa_float_round_mode_32 0
		.amdhsa_float_round_mode_16_64 0
		.amdhsa_float_denorm_mode_32 3
		.amdhsa_float_denorm_mode_16_64 3
		.amdhsa_dx10_clamp 1
		.amdhsa_ieee_mode 1
		.amdhsa_fp16_overflow 0
		.amdhsa_workgroup_processor_mode 1
		.amdhsa_memory_ordered 1
		.amdhsa_forward_progress 0
		.amdhsa_shared_vgpr_count 0
		.amdhsa_exception_fp_ieee_invalid_op 0
		.amdhsa_exception_fp_denorm_src 0
		.amdhsa_exception_fp_ieee_div_zero 0
		.amdhsa_exception_fp_ieee_overflow 0
		.amdhsa_exception_fp_ieee_underflow 0
		.amdhsa_exception_fp_ieee_inexact 0
		.amdhsa_exception_int_div_zero 0
	.end_amdhsa_kernel
	.section	.text._ZN7rocprim17ROCPRIM_400000_NS6detail17trampoline_kernelINS0_14default_configENS1_25transform_config_selectorIfLb0EEEZNS1_14transform_implILb0ES3_S5_NS0_18transform_iteratorINS0_17counting_iteratorImlEEZNS1_24adjacent_difference_implIS3_Lb1ELb0EPfN6thrust23THRUST_200600_302600_NS16discard_iteratorINSD_11use_defaultEEENSD_5minusIfEEEE10hipError_tPvRmT2_T3_mT4_P12ihipStream_tbEUlmE_fEESB_NS0_8identityIvEEEESJ_SM_SN_mSO_SQ_bEUlT_E_NS1_11comp_targetILNS1_3genE10ELNS1_11target_archE1201ELNS1_3gpuE5ELNS1_3repE0EEENS1_30default_config_static_selectorELNS0_4arch9wavefront6targetE0EEEvT1_,"axG",@progbits,_ZN7rocprim17ROCPRIM_400000_NS6detail17trampoline_kernelINS0_14default_configENS1_25transform_config_selectorIfLb0EEEZNS1_14transform_implILb0ES3_S5_NS0_18transform_iteratorINS0_17counting_iteratorImlEEZNS1_24adjacent_difference_implIS3_Lb1ELb0EPfN6thrust23THRUST_200600_302600_NS16discard_iteratorINSD_11use_defaultEEENSD_5minusIfEEEE10hipError_tPvRmT2_T3_mT4_P12ihipStream_tbEUlmE_fEESB_NS0_8identityIvEEEESJ_SM_SN_mSO_SQ_bEUlT_E_NS1_11comp_targetILNS1_3genE10ELNS1_11target_archE1201ELNS1_3gpuE5ELNS1_3repE0EEENS1_30default_config_static_selectorELNS0_4arch9wavefront6targetE0EEEvT1_,comdat
.Lfunc_end795:
	.size	_ZN7rocprim17ROCPRIM_400000_NS6detail17trampoline_kernelINS0_14default_configENS1_25transform_config_selectorIfLb0EEEZNS1_14transform_implILb0ES3_S5_NS0_18transform_iteratorINS0_17counting_iteratorImlEEZNS1_24adjacent_difference_implIS3_Lb1ELb0EPfN6thrust23THRUST_200600_302600_NS16discard_iteratorINSD_11use_defaultEEENSD_5minusIfEEEE10hipError_tPvRmT2_T3_mT4_P12ihipStream_tbEUlmE_fEESB_NS0_8identityIvEEEESJ_SM_SN_mSO_SQ_bEUlT_E_NS1_11comp_targetILNS1_3genE10ELNS1_11target_archE1201ELNS1_3gpuE5ELNS1_3repE0EEENS1_30default_config_static_selectorELNS0_4arch9wavefront6targetE0EEEvT1_, .Lfunc_end795-_ZN7rocprim17ROCPRIM_400000_NS6detail17trampoline_kernelINS0_14default_configENS1_25transform_config_selectorIfLb0EEEZNS1_14transform_implILb0ES3_S5_NS0_18transform_iteratorINS0_17counting_iteratorImlEEZNS1_24adjacent_difference_implIS3_Lb1ELb0EPfN6thrust23THRUST_200600_302600_NS16discard_iteratorINSD_11use_defaultEEENSD_5minusIfEEEE10hipError_tPvRmT2_T3_mT4_P12ihipStream_tbEUlmE_fEESB_NS0_8identityIvEEEESJ_SM_SN_mSO_SQ_bEUlT_E_NS1_11comp_targetILNS1_3genE10ELNS1_11target_archE1201ELNS1_3gpuE5ELNS1_3repE0EEENS1_30default_config_static_selectorELNS0_4arch9wavefront6targetE0EEEvT1_
                                        ; -- End function
	.section	.AMDGPU.csdata,"",@progbits
; Kernel info:
; codeLenInByte = 0
; NumSgprs: 0
; NumVgprs: 0
; ScratchSize: 0
; MemoryBound: 0
; FloatMode: 240
; IeeeMode: 1
; LDSByteSize: 0 bytes/workgroup (compile time only)
; SGPRBlocks: 0
; VGPRBlocks: 0
; NumSGPRsForWavesPerEU: 1
; NumVGPRsForWavesPerEU: 1
; Occupancy: 16
; WaveLimiterHint : 0
; COMPUTE_PGM_RSRC2:SCRATCH_EN: 0
; COMPUTE_PGM_RSRC2:USER_SGPR: 15
; COMPUTE_PGM_RSRC2:TRAP_HANDLER: 0
; COMPUTE_PGM_RSRC2:TGID_X_EN: 1
; COMPUTE_PGM_RSRC2:TGID_Y_EN: 0
; COMPUTE_PGM_RSRC2:TGID_Z_EN: 0
; COMPUTE_PGM_RSRC2:TIDIG_COMP_CNT: 0
	.section	.text._ZN7rocprim17ROCPRIM_400000_NS6detail17trampoline_kernelINS0_14default_configENS1_25transform_config_selectorIfLb0EEEZNS1_14transform_implILb0ES3_S5_NS0_18transform_iteratorINS0_17counting_iteratorImlEEZNS1_24adjacent_difference_implIS3_Lb1ELb0EPfN6thrust23THRUST_200600_302600_NS16discard_iteratorINSD_11use_defaultEEENSD_5minusIfEEEE10hipError_tPvRmT2_T3_mT4_P12ihipStream_tbEUlmE_fEESB_NS0_8identityIvEEEESJ_SM_SN_mSO_SQ_bEUlT_E_NS1_11comp_targetILNS1_3genE10ELNS1_11target_archE1200ELNS1_3gpuE4ELNS1_3repE0EEENS1_30default_config_static_selectorELNS0_4arch9wavefront6targetE0EEEvT1_,"axG",@progbits,_ZN7rocprim17ROCPRIM_400000_NS6detail17trampoline_kernelINS0_14default_configENS1_25transform_config_selectorIfLb0EEEZNS1_14transform_implILb0ES3_S5_NS0_18transform_iteratorINS0_17counting_iteratorImlEEZNS1_24adjacent_difference_implIS3_Lb1ELb0EPfN6thrust23THRUST_200600_302600_NS16discard_iteratorINSD_11use_defaultEEENSD_5minusIfEEEE10hipError_tPvRmT2_T3_mT4_P12ihipStream_tbEUlmE_fEESB_NS0_8identityIvEEEESJ_SM_SN_mSO_SQ_bEUlT_E_NS1_11comp_targetILNS1_3genE10ELNS1_11target_archE1200ELNS1_3gpuE4ELNS1_3repE0EEENS1_30default_config_static_selectorELNS0_4arch9wavefront6targetE0EEEvT1_,comdat
	.protected	_ZN7rocprim17ROCPRIM_400000_NS6detail17trampoline_kernelINS0_14default_configENS1_25transform_config_selectorIfLb0EEEZNS1_14transform_implILb0ES3_S5_NS0_18transform_iteratorINS0_17counting_iteratorImlEEZNS1_24adjacent_difference_implIS3_Lb1ELb0EPfN6thrust23THRUST_200600_302600_NS16discard_iteratorINSD_11use_defaultEEENSD_5minusIfEEEE10hipError_tPvRmT2_T3_mT4_P12ihipStream_tbEUlmE_fEESB_NS0_8identityIvEEEESJ_SM_SN_mSO_SQ_bEUlT_E_NS1_11comp_targetILNS1_3genE10ELNS1_11target_archE1200ELNS1_3gpuE4ELNS1_3repE0EEENS1_30default_config_static_selectorELNS0_4arch9wavefront6targetE0EEEvT1_ ; -- Begin function _ZN7rocprim17ROCPRIM_400000_NS6detail17trampoline_kernelINS0_14default_configENS1_25transform_config_selectorIfLb0EEEZNS1_14transform_implILb0ES3_S5_NS0_18transform_iteratorINS0_17counting_iteratorImlEEZNS1_24adjacent_difference_implIS3_Lb1ELb0EPfN6thrust23THRUST_200600_302600_NS16discard_iteratorINSD_11use_defaultEEENSD_5minusIfEEEE10hipError_tPvRmT2_T3_mT4_P12ihipStream_tbEUlmE_fEESB_NS0_8identityIvEEEESJ_SM_SN_mSO_SQ_bEUlT_E_NS1_11comp_targetILNS1_3genE10ELNS1_11target_archE1200ELNS1_3gpuE4ELNS1_3repE0EEENS1_30default_config_static_selectorELNS0_4arch9wavefront6targetE0EEEvT1_
	.globl	_ZN7rocprim17ROCPRIM_400000_NS6detail17trampoline_kernelINS0_14default_configENS1_25transform_config_selectorIfLb0EEEZNS1_14transform_implILb0ES3_S5_NS0_18transform_iteratorINS0_17counting_iteratorImlEEZNS1_24adjacent_difference_implIS3_Lb1ELb0EPfN6thrust23THRUST_200600_302600_NS16discard_iteratorINSD_11use_defaultEEENSD_5minusIfEEEE10hipError_tPvRmT2_T3_mT4_P12ihipStream_tbEUlmE_fEESB_NS0_8identityIvEEEESJ_SM_SN_mSO_SQ_bEUlT_E_NS1_11comp_targetILNS1_3genE10ELNS1_11target_archE1200ELNS1_3gpuE4ELNS1_3repE0EEENS1_30default_config_static_selectorELNS0_4arch9wavefront6targetE0EEEvT1_
	.p2align	8
	.type	_ZN7rocprim17ROCPRIM_400000_NS6detail17trampoline_kernelINS0_14default_configENS1_25transform_config_selectorIfLb0EEEZNS1_14transform_implILb0ES3_S5_NS0_18transform_iteratorINS0_17counting_iteratorImlEEZNS1_24adjacent_difference_implIS3_Lb1ELb0EPfN6thrust23THRUST_200600_302600_NS16discard_iteratorINSD_11use_defaultEEENSD_5minusIfEEEE10hipError_tPvRmT2_T3_mT4_P12ihipStream_tbEUlmE_fEESB_NS0_8identityIvEEEESJ_SM_SN_mSO_SQ_bEUlT_E_NS1_11comp_targetILNS1_3genE10ELNS1_11target_archE1200ELNS1_3gpuE4ELNS1_3repE0EEENS1_30default_config_static_selectorELNS0_4arch9wavefront6targetE0EEEvT1_,@function
_ZN7rocprim17ROCPRIM_400000_NS6detail17trampoline_kernelINS0_14default_configENS1_25transform_config_selectorIfLb0EEEZNS1_14transform_implILb0ES3_S5_NS0_18transform_iteratorINS0_17counting_iteratorImlEEZNS1_24adjacent_difference_implIS3_Lb1ELb0EPfN6thrust23THRUST_200600_302600_NS16discard_iteratorINSD_11use_defaultEEENSD_5minusIfEEEE10hipError_tPvRmT2_T3_mT4_P12ihipStream_tbEUlmE_fEESB_NS0_8identityIvEEEESJ_SM_SN_mSO_SQ_bEUlT_E_NS1_11comp_targetILNS1_3genE10ELNS1_11target_archE1200ELNS1_3gpuE4ELNS1_3repE0EEENS1_30default_config_static_selectorELNS0_4arch9wavefront6targetE0EEEvT1_: ; @_ZN7rocprim17ROCPRIM_400000_NS6detail17trampoline_kernelINS0_14default_configENS1_25transform_config_selectorIfLb0EEEZNS1_14transform_implILb0ES3_S5_NS0_18transform_iteratorINS0_17counting_iteratorImlEEZNS1_24adjacent_difference_implIS3_Lb1ELb0EPfN6thrust23THRUST_200600_302600_NS16discard_iteratorINSD_11use_defaultEEENSD_5minusIfEEEE10hipError_tPvRmT2_T3_mT4_P12ihipStream_tbEUlmE_fEESB_NS0_8identityIvEEEESJ_SM_SN_mSO_SQ_bEUlT_E_NS1_11comp_targetILNS1_3genE10ELNS1_11target_archE1200ELNS1_3gpuE4ELNS1_3repE0EEENS1_30default_config_static_selectorELNS0_4arch9wavefront6targetE0EEEvT1_
; %bb.0:
	.section	.rodata,"a",@progbits
	.p2align	6, 0x0
	.amdhsa_kernel _ZN7rocprim17ROCPRIM_400000_NS6detail17trampoline_kernelINS0_14default_configENS1_25transform_config_selectorIfLb0EEEZNS1_14transform_implILb0ES3_S5_NS0_18transform_iteratorINS0_17counting_iteratorImlEEZNS1_24adjacent_difference_implIS3_Lb1ELb0EPfN6thrust23THRUST_200600_302600_NS16discard_iteratorINSD_11use_defaultEEENSD_5minusIfEEEE10hipError_tPvRmT2_T3_mT4_P12ihipStream_tbEUlmE_fEESB_NS0_8identityIvEEEESJ_SM_SN_mSO_SQ_bEUlT_E_NS1_11comp_targetILNS1_3genE10ELNS1_11target_archE1200ELNS1_3gpuE4ELNS1_3repE0EEENS1_30default_config_static_selectorELNS0_4arch9wavefront6targetE0EEEvT1_
		.amdhsa_group_segment_fixed_size 0
		.amdhsa_private_segment_fixed_size 0
		.amdhsa_kernarg_size 56
		.amdhsa_user_sgpr_count 15
		.amdhsa_user_sgpr_dispatch_ptr 0
		.amdhsa_user_sgpr_queue_ptr 0
		.amdhsa_user_sgpr_kernarg_segment_ptr 1
		.amdhsa_user_sgpr_dispatch_id 0
		.amdhsa_user_sgpr_private_segment_size 0
		.amdhsa_wavefront_size32 1
		.amdhsa_uses_dynamic_stack 0
		.amdhsa_enable_private_segment 0
		.amdhsa_system_sgpr_workgroup_id_x 1
		.amdhsa_system_sgpr_workgroup_id_y 0
		.amdhsa_system_sgpr_workgroup_id_z 0
		.amdhsa_system_sgpr_workgroup_info 0
		.amdhsa_system_vgpr_workitem_id 0
		.amdhsa_next_free_vgpr 1
		.amdhsa_next_free_sgpr 1
		.amdhsa_reserve_vcc 0
		.amdhsa_float_round_mode_32 0
		.amdhsa_float_round_mode_16_64 0
		.amdhsa_float_denorm_mode_32 3
		.amdhsa_float_denorm_mode_16_64 3
		.amdhsa_dx10_clamp 1
		.amdhsa_ieee_mode 1
		.amdhsa_fp16_overflow 0
		.amdhsa_workgroup_processor_mode 1
		.amdhsa_memory_ordered 1
		.amdhsa_forward_progress 0
		.amdhsa_shared_vgpr_count 0
		.amdhsa_exception_fp_ieee_invalid_op 0
		.amdhsa_exception_fp_denorm_src 0
		.amdhsa_exception_fp_ieee_div_zero 0
		.amdhsa_exception_fp_ieee_overflow 0
		.amdhsa_exception_fp_ieee_underflow 0
		.amdhsa_exception_fp_ieee_inexact 0
		.amdhsa_exception_int_div_zero 0
	.end_amdhsa_kernel
	.section	.text._ZN7rocprim17ROCPRIM_400000_NS6detail17trampoline_kernelINS0_14default_configENS1_25transform_config_selectorIfLb0EEEZNS1_14transform_implILb0ES3_S5_NS0_18transform_iteratorINS0_17counting_iteratorImlEEZNS1_24adjacent_difference_implIS3_Lb1ELb0EPfN6thrust23THRUST_200600_302600_NS16discard_iteratorINSD_11use_defaultEEENSD_5minusIfEEEE10hipError_tPvRmT2_T3_mT4_P12ihipStream_tbEUlmE_fEESB_NS0_8identityIvEEEESJ_SM_SN_mSO_SQ_bEUlT_E_NS1_11comp_targetILNS1_3genE10ELNS1_11target_archE1200ELNS1_3gpuE4ELNS1_3repE0EEENS1_30default_config_static_selectorELNS0_4arch9wavefront6targetE0EEEvT1_,"axG",@progbits,_ZN7rocprim17ROCPRIM_400000_NS6detail17trampoline_kernelINS0_14default_configENS1_25transform_config_selectorIfLb0EEEZNS1_14transform_implILb0ES3_S5_NS0_18transform_iteratorINS0_17counting_iteratorImlEEZNS1_24adjacent_difference_implIS3_Lb1ELb0EPfN6thrust23THRUST_200600_302600_NS16discard_iteratorINSD_11use_defaultEEENSD_5minusIfEEEE10hipError_tPvRmT2_T3_mT4_P12ihipStream_tbEUlmE_fEESB_NS0_8identityIvEEEESJ_SM_SN_mSO_SQ_bEUlT_E_NS1_11comp_targetILNS1_3genE10ELNS1_11target_archE1200ELNS1_3gpuE4ELNS1_3repE0EEENS1_30default_config_static_selectorELNS0_4arch9wavefront6targetE0EEEvT1_,comdat
.Lfunc_end796:
	.size	_ZN7rocprim17ROCPRIM_400000_NS6detail17trampoline_kernelINS0_14default_configENS1_25transform_config_selectorIfLb0EEEZNS1_14transform_implILb0ES3_S5_NS0_18transform_iteratorINS0_17counting_iteratorImlEEZNS1_24adjacent_difference_implIS3_Lb1ELb0EPfN6thrust23THRUST_200600_302600_NS16discard_iteratorINSD_11use_defaultEEENSD_5minusIfEEEE10hipError_tPvRmT2_T3_mT4_P12ihipStream_tbEUlmE_fEESB_NS0_8identityIvEEEESJ_SM_SN_mSO_SQ_bEUlT_E_NS1_11comp_targetILNS1_3genE10ELNS1_11target_archE1200ELNS1_3gpuE4ELNS1_3repE0EEENS1_30default_config_static_selectorELNS0_4arch9wavefront6targetE0EEEvT1_, .Lfunc_end796-_ZN7rocprim17ROCPRIM_400000_NS6detail17trampoline_kernelINS0_14default_configENS1_25transform_config_selectorIfLb0EEEZNS1_14transform_implILb0ES3_S5_NS0_18transform_iteratorINS0_17counting_iteratorImlEEZNS1_24adjacent_difference_implIS3_Lb1ELb0EPfN6thrust23THRUST_200600_302600_NS16discard_iteratorINSD_11use_defaultEEENSD_5minusIfEEEE10hipError_tPvRmT2_T3_mT4_P12ihipStream_tbEUlmE_fEESB_NS0_8identityIvEEEESJ_SM_SN_mSO_SQ_bEUlT_E_NS1_11comp_targetILNS1_3genE10ELNS1_11target_archE1200ELNS1_3gpuE4ELNS1_3repE0EEENS1_30default_config_static_selectorELNS0_4arch9wavefront6targetE0EEEvT1_
                                        ; -- End function
	.section	.AMDGPU.csdata,"",@progbits
; Kernel info:
; codeLenInByte = 0
; NumSgprs: 0
; NumVgprs: 0
; ScratchSize: 0
; MemoryBound: 0
; FloatMode: 240
; IeeeMode: 1
; LDSByteSize: 0 bytes/workgroup (compile time only)
; SGPRBlocks: 0
; VGPRBlocks: 0
; NumSGPRsForWavesPerEU: 1
; NumVGPRsForWavesPerEU: 1
; Occupancy: 16
; WaveLimiterHint : 0
; COMPUTE_PGM_RSRC2:SCRATCH_EN: 0
; COMPUTE_PGM_RSRC2:USER_SGPR: 15
; COMPUTE_PGM_RSRC2:TRAP_HANDLER: 0
; COMPUTE_PGM_RSRC2:TGID_X_EN: 1
; COMPUTE_PGM_RSRC2:TGID_Y_EN: 0
; COMPUTE_PGM_RSRC2:TGID_Z_EN: 0
; COMPUTE_PGM_RSRC2:TIDIG_COMP_CNT: 0
	.section	.text._ZN7rocprim17ROCPRIM_400000_NS6detail17trampoline_kernelINS0_14default_configENS1_25transform_config_selectorIfLb0EEEZNS1_14transform_implILb0ES3_S5_NS0_18transform_iteratorINS0_17counting_iteratorImlEEZNS1_24adjacent_difference_implIS3_Lb1ELb0EPfN6thrust23THRUST_200600_302600_NS16discard_iteratorINSD_11use_defaultEEENSD_5minusIfEEEE10hipError_tPvRmT2_T3_mT4_P12ihipStream_tbEUlmE_fEESB_NS0_8identityIvEEEESJ_SM_SN_mSO_SQ_bEUlT_E_NS1_11comp_targetILNS1_3genE9ELNS1_11target_archE1100ELNS1_3gpuE3ELNS1_3repE0EEENS1_30default_config_static_selectorELNS0_4arch9wavefront6targetE0EEEvT1_,"axG",@progbits,_ZN7rocprim17ROCPRIM_400000_NS6detail17trampoline_kernelINS0_14default_configENS1_25transform_config_selectorIfLb0EEEZNS1_14transform_implILb0ES3_S5_NS0_18transform_iteratorINS0_17counting_iteratorImlEEZNS1_24adjacent_difference_implIS3_Lb1ELb0EPfN6thrust23THRUST_200600_302600_NS16discard_iteratorINSD_11use_defaultEEENSD_5minusIfEEEE10hipError_tPvRmT2_T3_mT4_P12ihipStream_tbEUlmE_fEESB_NS0_8identityIvEEEESJ_SM_SN_mSO_SQ_bEUlT_E_NS1_11comp_targetILNS1_3genE9ELNS1_11target_archE1100ELNS1_3gpuE3ELNS1_3repE0EEENS1_30default_config_static_selectorELNS0_4arch9wavefront6targetE0EEEvT1_,comdat
	.protected	_ZN7rocprim17ROCPRIM_400000_NS6detail17trampoline_kernelINS0_14default_configENS1_25transform_config_selectorIfLb0EEEZNS1_14transform_implILb0ES3_S5_NS0_18transform_iteratorINS0_17counting_iteratorImlEEZNS1_24adjacent_difference_implIS3_Lb1ELb0EPfN6thrust23THRUST_200600_302600_NS16discard_iteratorINSD_11use_defaultEEENSD_5minusIfEEEE10hipError_tPvRmT2_T3_mT4_P12ihipStream_tbEUlmE_fEESB_NS0_8identityIvEEEESJ_SM_SN_mSO_SQ_bEUlT_E_NS1_11comp_targetILNS1_3genE9ELNS1_11target_archE1100ELNS1_3gpuE3ELNS1_3repE0EEENS1_30default_config_static_selectorELNS0_4arch9wavefront6targetE0EEEvT1_ ; -- Begin function _ZN7rocprim17ROCPRIM_400000_NS6detail17trampoline_kernelINS0_14default_configENS1_25transform_config_selectorIfLb0EEEZNS1_14transform_implILb0ES3_S5_NS0_18transform_iteratorINS0_17counting_iteratorImlEEZNS1_24adjacent_difference_implIS3_Lb1ELb0EPfN6thrust23THRUST_200600_302600_NS16discard_iteratorINSD_11use_defaultEEENSD_5minusIfEEEE10hipError_tPvRmT2_T3_mT4_P12ihipStream_tbEUlmE_fEESB_NS0_8identityIvEEEESJ_SM_SN_mSO_SQ_bEUlT_E_NS1_11comp_targetILNS1_3genE9ELNS1_11target_archE1100ELNS1_3gpuE3ELNS1_3repE0EEENS1_30default_config_static_selectorELNS0_4arch9wavefront6targetE0EEEvT1_
	.globl	_ZN7rocprim17ROCPRIM_400000_NS6detail17trampoline_kernelINS0_14default_configENS1_25transform_config_selectorIfLb0EEEZNS1_14transform_implILb0ES3_S5_NS0_18transform_iteratorINS0_17counting_iteratorImlEEZNS1_24adjacent_difference_implIS3_Lb1ELb0EPfN6thrust23THRUST_200600_302600_NS16discard_iteratorINSD_11use_defaultEEENSD_5minusIfEEEE10hipError_tPvRmT2_T3_mT4_P12ihipStream_tbEUlmE_fEESB_NS0_8identityIvEEEESJ_SM_SN_mSO_SQ_bEUlT_E_NS1_11comp_targetILNS1_3genE9ELNS1_11target_archE1100ELNS1_3gpuE3ELNS1_3repE0EEENS1_30default_config_static_selectorELNS0_4arch9wavefront6targetE0EEEvT1_
	.p2align	8
	.type	_ZN7rocprim17ROCPRIM_400000_NS6detail17trampoline_kernelINS0_14default_configENS1_25transform_config_selectorIfLb0EEEZNS1_14transform_implILb0ES3_S5_NS0_18transform_iteratorINS0_17counting_iteratorImlEEZNS1_24adjacent_difference_implIS3_Lb1ELb0EPfN6thrust23THRUST_200600_302600_NS16discard_iteratorINSD_11use_defaultEEENSD_5minusIfEEEE10hipError_tPvRmT2_T3_mT4_P12ihipStream_tbEUlmE_fEESB_NS0_8identityIvEEEESJ_SM_SN_mSO_SQ_bEUlT_E_NS1_11comp_targetILNS1_3genE9ELNS1_11target_archE1100ELNS1_3gpuE3ELNS1_3repE0EEENS1_30default_config_static_selectorELNS0_4arch9wavefront6targetE0EEEvT1_,@function
_ZN7rocprim17ROCPRIM_400000_NS6detail17trampoline_kernelINS0_14default_configENS1_25transform_config_selectorIfLb0EEEZNS1_14transform_implILb0ES3_S5_NS0_18transform_iteratorINS0_17counting_iteratorImlEEZNS1_24adjacent_difference_implIS3_Lb1ELb0EPfN6thrust23THRUST_200600_302600_NS16discard_iteratorINSD_11use_defaultEEENSD_5minusIfEEEE10hipError_tPvRmT2_T3_mT4_P12ihipStream_tbEUlmE_fEESB_NS0_8identityIvEEEESJ_SM_SN_mSO_SQ_bEUlT_E_NS1_11comp_targetILNS1_3genE9ELNS1_11target_archE1100ELNS1_3gpuE3ELNS1_3repE0EEENS1_30default_config_static_selectorELNS0_4arch9wavefront6targetE0EEEvT1_: ; @_ZN7rocprim17ROCPRIM_400000_NS6detail17trampoline_kernelINS0_14default_configENS1_25transform_config_selectorIfLb0EEEZNS1_14transform_implILb0ES3_S5_NS0_18transform_iteratorINS0_17counting_iteratorImlEEZNS1_24adjacent_difference_implIS3_Lb1ELb0EPfN6thrust23THRUST_200600_302600_NS16discard_iteratorINSD_11use_defaultEEENSD_5minusIfEEEE10hipError_tPvRmT2_T3_mT4_P12ihipStream_tbEUlmE_fEESB_NS0_8identityIvEEEESJ_SM_SN_mSO_SQ_bEUlT_E_NS1_11comp_targetILNS1_3genE9ELNS1_11target_archE1100ELNS1_3gpuE3ELNS1_3repE0EEENS1_30default_config_static_selectorELNS0_4arch9wavefront6targetE0EEEvT1_
; %bb.0:
	s_clause 0x4
	s_load_b128 s[4:7], s[0:1], 0x0
	s_load_b64 s[2:3], s[0:1], 0x18
	s_load_b64 s[12:13], s[0:1], 0x28
	s_load_b32 s11, s[0:1], 0x38
	s_load_b32 s8, s[0:1], 0x10
	s_waitcnt lgkmcnt(0)
	s_add_u32 s9, s2, s4
	s_addc_u32 s10, s3, s5
	s_lshl_b64 s[2:3], s[2:3], 2
	s_delay_alu instid0(SALU_CYCLE_1)
	s_add_u32 s4, s12, s2
	s_addc_u32 s5, s13, s3
	s_add_i32 s11, s11, -1
	s_lshl_b32 s2, s15, 10
	s_mov_b32 s3, 0
	s_cmp_lg_u32 s15, s11
	s_mov_b32 s11, -1
	s_cbranch_scc0 .LBB797_2
; %bb.1:
	s_add_u32 s11, s9, s2
	s_addc_u32 s12, s10, 0
	v_add_co_u32 v3, s11, s11, v0
	s_delay_alu instid0(VALU_DEP_1) | instskip(SKIP_1) | instid1(VALU_DEP_2)
	v_add_co_ci_u32_e64 v5, null, s12, 0, s11
	s_lshl_b64 s[12:13], s[2:3], 2
	v_mad_u64_u32 v[1:2], null, v3, s8, 0
	s_add_u32 s12, s4, s12
	s_addc_u32 s13, s5, s13
	s_mov_b32 s11, s3
	s_delay_alu instid0(VALU_DEP_1) | instskip(NEXT) | instid1(VALU_DEP_1)
	v_mad_u64_u32 v[3:4], null, v5, s8, v[2:3]
	v_mov_b32_e32 v2, v3
	s_delay_alu instid0(VALU_DEP_1) | instskip(NEXT) | instid1(VALU_DEP_1)
	v_lshlrev_b64 v[1:2], 2, v[1:2]
	v_add_co_u32 v1, vcc_lo, s6, v1
	s_delay_alu instid0(VALU_DEP_2)
	v_add_co_ci_u32_e32 v2, vcc_lo, s7, v2, vcc_lo
	global_load_b32 v1, v[1:2], off
	v_lshlrev_b32_e32 v2, 2, v0
	s_waitcnt vmcnt(0)
	global_store_b32 v2, v1, s[12:13]
.LBB797_2:
	s_and_not1_b32 vcc_lo, exec_lo, s11
	s_cbranch_vccnz .LBB797_7
; %bb.3:
	s_load_b32 s0, s[0:1], 0x20
                                        ; implicit-def: $vgpr1
	s_waitcnt lgkmcnt(0)
	s_sub_i32 s0, s0, s2
	s_delay_alu instid0(SALU_CYCLE_1)
	v_cmp_gt_u32_e32 vcc_lo, s0, v0
	s_and_saveexec_b32 s1, vcc_lo
	s_cbranch_execz .LBB797_5
; %bb.4:
	s_add_u32 s0, s9, s2
	s_addc_u32 s9, s10, 0
	v_add_co_u32 v3, s0, s0, v0
	s_delay_alu instid0(VALU_DEP_1) | instskip(NEXT) | instid1(VALU_DEP_2)
	v_add_co_ci_u32_e64 v5, null, s9, 0, s0
	v_mad_u64_u32 v[1:2], null, v3, s8, 0
	s_delay_alu instid0(VALU_DEP_1) | instskip(NEXT) | instid1(VALU_DEP_1)
	v_mad_u64_u32 v[3:4], null, v5, s8, v[2:3]
	v_mov_b32_e32 v2, v3
	s_delay_alu instid0(VALU_DEP_1) | instskip(NEXT) | instid1(VALU_DEP_1)
	v_lshlrev_b64 v[1:2], 2, v[1:2]
	v_add_co_u32 v1, s0, s6, v1
	s_delay_alu instid0(VALU_DEP_1)
	v_add_co_ci_u32_e64 v2, s0, s7, v2, s0
	global_load_b32 v1, v[1:2], off
.LBB797_5:
	s_or_b32 exec_lo, exec_lo, s1
	s_and_saveexec_b32 s0, vcc_lo
	s_cbranch_execz .LBB797_7
; %bb.6:
	s_lshl_b64 s[0:1], s[2:3], 2
	v_lshlrev_b32_e32 v0, 2, v0
	s_add_u32 s0, s4, s0
	s_addc_u32 s1, s5, s1
	s_waitcnt vmcnt(0)
	global_store_b32 v0, v1, s[0:1]
.LBB797_7:
	s_nop 0
	s_sendmsg sendmsg(MSG_DEALLOC_VGPRS)
	s_endpgm
	.section	.rodata,"a",@progbits
	.p2align	6, 0x0
	.amdhsa_kernel _ZN7rocprim17ROCPRIM_400000_NS6detail17trampoline_kernelINS0_14default_configENS1_25transform_config_selectorIfLb0EEEZNS1_14transform_implILb0ES3_S5_NS0_18transform_iteratorINS0_17counting_iteratorImlEEZNS1_24adjacent_difference_implIS3_Lb1ELb0EPfN6thrust23THRUST_200600_302600_NS16discard_iteratorINSD_11use_defaultEEENSD_5minusIfEEEE10hipError_tPvRmT2_T3_mT4_P12ihipStream_tbEUlmE_fEESB_NS0_8identityIvEEEESJ_SM_SN_mSO_SQ_bEUlT_E_NS1_11comp_targetILNS1_3genE9ELNS1_11target_archE1100ELNS1_3gpuE3ELNS1_3repE0EEENS1_30default_config_static_selectorELNS0_4arch9wavefront6targetE0EEEvT1_
		.amdhsa_group_segment_fixed_size 0
		.amdhsa_private_segment_fixed_size 0
		.amdhsa_kernarg_size 312
		.amdhsa_user_sgpr_count 15
		.amdhsa_user_sgpr_dispatch_ptr 0
		.amdhsa_user_sgpr_queue_ptr 0
		.amdhsa_user_sgpr_kernarg_segment_ptr 1
		.amdhsa_user_sgpr_dispatch_id 0
		.amdhsa_user_sgpr_private_segment_size 0
		.amdhsa_wavefront_size32 1
		.amdhsa_uses_dynamic_stack 0
		.amdhsa_enable_private_segment 0
		.amdhsa_system_sgpr_workgroup_id_x 1
		.amdhsa_system_sgpr_workgroup_id_y 0
		.amdhsa_system_sgpr_workgroup_id_z 0
		.amdhsa_system_sgpr_workgroup_info 0
		.amdhsa_system_vgpr_workitem_id 0
		.amdhsa_next_free_vgpr 6
		.amdhsa_next_free_sgpr 16
		.amdhsa_reserve_vcc 1
		.amdhsa_float_round_mode_32 0
		.amdhsa_float_round_mode_16_64 0
		.amdhsa_float_denorm_mode_32 3
		.amdhsa_float_denorm_mode_16_64 3
		.amdhsa_dx10_clamp 1
		.amdhsa_ieee_mode 1
		.amdhsa_fp16_overflow 0
		.amdhsa_workgroup_processor_mode 1
		.amdhsa_memory_ordered 1
		.amdhsa_forward_progress 0
		.amdhsa_shared_vgpr_count 0
		.amdhsa_exception_fp_ieee_invalid_op 0
		.amdhsa_exception_fp_denorm_src 0
		.amdhsa_exception_fp_ieee_div_zero 0
		.amdhsa_exception_fp_ieee_overflow 0
		.amdhsa_exception_fp_ieee_underflow 0
		.amdhsa_exception_fp_ieee_inexact 0
		.amdhsa_exception_int_div_zero 0
	.end_amdhsa_kernel
	.section	.text._ZN7rocprim17ROCPRIM_400000_NS6detail17trampoline_kernelINS0_14default_configENS1_25transform_config_selectorIfLb0EEEZNS1_14transform_implILb0ES3_S5_NS0_18transform_iteratorINS0_17counting_iteratorImlEEZNS1_24adjacent_difference_implIS3_Lb1ELb0EPfN6thrust23THRUST_200600_302600_NS16discard_iteratorINSD_11use_defaultEEENSD_5minusIfEEEE10hipError_tPvRmT2_T3_mT4_P12ihipStream_tbEUlmE_fEESB_NS0_8identityIvEEEESJ_SM_SN_mSO_SQ_bEUlT_E_NS1_11comp_targetILNS1_3genE9ELNS1_11target_archE1100ELNS1_3gpuE3ELNS1_3repE0EEENS1_30default_config_static_selectorELNS0_4arch9wavefront6targetE0EEEvT1_,"axG",@progbits,_ZN7rocprim17ROCPRIM_400000_NS6detail17trampoline_kernelINS0_14default_configENS1_25transform_config_selectorIfLb0EEEZNS1_14transform_implILb0ES3_S5_NS0_18transform_iteratorINS0_17counting_iteratorImlEEZNS1_24adjacent_difference_implIS3_Lb1ELb0EPfN6thrust23THRUST_200600_302600_NS16discard_iteratorINSD_11use_defaultEEENSD_5minusIfEEEE10hipError_tPvRmT2_T3_mT4_P12ihipStream_tbEUlmE_fEESB_NS0_8identityIvEEEESJ_SM_SN_mSO_SQ_bEUlT_E_NS1_11comp_targetILNS1_3genE9ELNS1_11target_archE1100ELNS1_3gpuE3ELNS1_3repE0EEENS1_30default_config_static_selectorELNS0_4arch9wavefront6targetE0EEEvT1_,comdat
.Lfunc_end797:
	.size	_ZN7rocprim17ROCPRIM_400000_NS6detail17trampoline_kernelINS0_14default_configENS1_25transform_config_selectorIfLb0EEEZNS1_14transform_implILb0ES3_S5_NS0_18transform_iteratorINS0_17counting_iteratorImlEEZNS1_24adjacent_difference_implIS3_Lb1ELb0EPfN6thrust23THRUST_200600_302600_NS16discard_iteratorINSD_11use_defaultEEENSD_5minusIfEEEE10hipError_tPvRmT2_T3_mT4_P12ihipStream_tbEUlmE_fEESB_NS0_8identityIvEEEESJ_SM_SN_mSO_SQ_bEUlT_E_NS1_11comp_targetILNS1_3genE9ELNS1_11target_archE1100ELNS1_3gpuE3ELNS1_3repE0EEENS1_30default_config_static_selectorELNS0_4arch9wavefront6targetE0EEEvT1_, .Lfunc_end797-_ZN7rocprim17ROCPRIM_400000_NS6detail17trampoline_kernelINS0_14default_configENS1_25transform_config_selectorIfLb0EEEZNS1_14transform_implILb0ES3_S5_NS0_18transform_iteratorINS0_17counting_iteratorImlEEZNS1_24adjacent_difference_implIS3_Lb1ELb0EPfN6thrust23THRUST_200600_302600_NS16discard_iteratorINSD_11use_defaultEEENSD_5minusIfEEEE10hipError_tPvRmT2_T3_mT4_P12ihipStream_tbEUlmE_fEESB_NS0_8identityIvEEEESJ_SM_SN_mSO_SQ_bEUlT_E_NS1_11comp_targetILNS1_3genE9ELNS1_11target_archE1100ELNS1_3gpuE3ELNS1_3repE0EEENS1_30default_config_static_selectorELNS0_4arch9wavefront6targetE0EEEvT1_
                                        ; -- End function
	.section	.AMDGPU.csdata,"",@progbits
; Kernel info:
; codeLenInByte = 400
; NumSgprs: 18
; NumVgprs: 6
; ScratchSize: 0
; MemoryBound: 0
; FloatMode: 240
; IeeeMode: 1
; LDSByteSize: 0 bytes/workgroup (compile time only)
; SGPRBlocks: 2
; VGPRBlocks: 0
; NumSGPRsForWavesPerEU: 18
; NumVGPRsForWavesPerEU: 6
; Occupancy: 16
; WaveLimiterHint : 0
; COMPUTE_PGM_RSRC2:SCRATCH_EN: 0
; COMPUTE_PGM_RSRC2:USER_SGPR: 15
; COMPUTE_PGM_RSRC2:TRAP_HANDLER: 0
; COMPUTE_PGM_RSRC2:TGID_X_EN: 1
; COMPUTE_PGM_RSRC2:TGID_Y_EN: 0
; COMPUTE_PGM_RSRC2:TGID_Z_EN: 0
; COMPUTE_PGM_RSRC2:TIDIG_COMP_CNT: 0
	.section	.text._ZN7rocprim17ROCPRIM_400000_NS6detail17trampoline_kernelINS0_14default_configENS1_25transform_config_selectorIfLb0EEEZNS1_14transform_implILb0ES3_S5_NS0_18transform_iteratorINS0_17counting_iteratorImlEEZNS1_24adjacent_difference_implIS3_Lb1ELb0EPfN6thrust23THRUST_200600_302600_NS16discard_iteratorINSD_11use_defaultEEENSD_5minusIfEEEE10hipError_tPvRmT2_T3_mT4_P12ihipStream_tbEUlmE_fEESB_NS0_8identityIvEEEESJ_SM_SN_mSO_SQ_bEUlT_E_NS1_11comp_targetILNS1_3genE8ELNS1_11target_archE1030ELNS1_3gpuE2ELNS1_3repE0EEENS1_30default_config_static_selectorELNS0_4arch9wavefront6targetE0EEEvT1_,"axG",@progbits,_ZN7rocprim17ROCPRIM_400000_NS6detail17trampoline_kernelINS0_14default_configENS1_25transform_config_selectorIfLb0EEEZNS1_14transform_implILb0ES3_S5_NS0_18transform_iteratorINS0_17counting_iteratorImlEEZNS1_24adjacent_difference_implIS3_Lb1ELb0EPfN6thrust23THRUST_200600_302600_NS16discard_iteratorINSD_11use_defaultEEENSD_5minusIfEEEE10hipError_tPvRmT2_T3_mT4_P12ihipStream_tbEUlmE_fEESB_NS0_8identityIvEEEESJ_SM_SN_mSO_SQ_bEUlT_E_NS1_11comp_targetILNS1_3genE8ELNS1_11target_archE1030ELNS1_3gpuE2ELNS1_3repE0EEENS1_30default_config_static_selectorELNS0_4arch9wavefront6targetE0EEEvT1_,comdat
	.protected	_ZN7rocprim17ROCPRIM_400000_NS6detail17trampoline_kernelINS0_14default_configENS1_25transform_config_selectorIfLb0EEEZNS1_14transform_implILb0ES3_S5_NS0_18transform_iteratorINS0_17counting_iteratorImlEEZNS1_24adjacent_difference_implIS3_Lb1ELb0EPfN6thrust23THRUST_200600_302600_NS16discard_iteratorINSD_11use_defaultEEENSD_5minusIfEEEE10hipError_tPvRmT2_T3_mT4_P12ihipStream_tbEUlmE_fEESB_NS0_8identityIvEEEESJ_SM_SN_mSO_SQ_bEUlT_E_NS1_11comp_targetILNS1_3genE8ELNS1_11target_archE1030ELNS1_3gpuE2ELNS1_3repE0EEENS1_30default_config_static_selectorELNS0_4arch9wavefront6targetE0EEEvT1_ ; -- Begin function _ZN7rocprim17ROCPRIM_400000_NS6detail17trampoline_kernelINS0_14default_configENS1_25transform_config_selectorIfLb0EEEZNS1_14transform_implILb0ES3_S5_NS0_18transform_iteratorINS0_17counting_iteratorImlEEZNS1_24adjacent_difference_implIS3_Lb1ELb0EPfN6thrust23THRUST_200600_302600_NS16discard_iteratorINSD_11use_defaultEEENSD_5minusIfEEEE10hipError_tPvRmT2_T3_mT4_P12ihipStream_tbEUlmE_fEESB_NS0_8identityIvEEEESJ_SM_SN_mSO_SQ_bEUlT_E_NS1_11comp_targetILNS1_3genE8ELNS1_11target_archE1030ELNS1_3gpuE2ELNS1_3repE0EEENS1_30default_config_static_selectorELNS0_4arch9wavefront6targetE0EEEvT1_
	.globl	_ZN7rocprim17ROCPRIM_400000_NS6detail17trampoline_kernelINS0_14default_configENS1_25transform_config_selectorIfLb0EEEZNS1_14transform_implILb0ES3_S5_NS0_18transform_iteratorINS0_17counting_iteratorImlEEZNS1_24adjacent_difference_implIS3_Lb1ELb0EPfN6thrust23THRUST_200600_302600_NS16discard_iteratorINSD_11use_defaultEEENSD_5minusIfEEEE10hipError_tPvRmT2_T3_mT4_P12ihipStream_tbEUlmE_fEESB_NS0_8identityIvEEEESJ_SM_SN_mSO_SQ_bEUlT_E_NS1_11comp_targetILNS1_3genE8ELNS1_11target_archE1030ELNS1_3gpuE2ELNS1_3repE0EEENS1_30default_config_static_selectorELNS0_4arch9wavefront6targetE0EEEvT1_
	.p2align	8
	.type	_ZN7rocprim17ROCPRIM_400000_NS6detail17trampoline_kernelINS0_14default_configENS1_25transform_config_selectorIfLb0EEEZNS1_14transform_implILb0ES3_S5_NS0_18transform_iteratorINS0_17counting_iteratorImlEEZNS1_24adjacent_difference_implIS3_Lb1ELb0EPfN6thrust23THRUST_200600_302600_NS16discard_iteratorINSD_11use_defaultEEENSD_5minusIfEEEE10hipError_tPvRmT2_T3_mT4_P12ihipStream_tbEUlmE_fEESB_NS0_8identityIvEEEESJ_SM_SN_mSO_SQ_bEUlT_E_NS1_11comp_targetILNS1_3genE8ELNS1_11target_archE1030ELNS1_3gpuE2ELNS1_3repE0EEENS1_30default_config_static_selectorELNS0_4arch9wavefront6targetE0EEEvT1_,@function
_ZN7rocprim17ROCPRIM_400000_NS6detail17trampoline_kernelINS0_14default_configENS1_25transform_config_selectorIfLb0EEEZNS1_14transform_implILb0ES3_S5_NS0_18transform_iteratorINS0_17counting_iteratorImlEEZNS1_24adjacent_difference_implIS3_Lb1ELb0EPfN6thrust23THRUST_200600_302600_NS16discard_iteratorINSD_11use_defaultEEENSD_5minusIfEEEE10hipError_tPvRmT2_T3_mT4_P12ihipStream_tbEUlmE_fEESB_NS0_8identityIvEEEESJ_SM_SN_mSO_SQ_bEUlT_E_NS1_11comp_targetILNS1_3genE8ELNS1_11target_archE1030ELNS1_3gpuE2ELNS1_3repE0EEENS1_30default_config_static_selectorELNS0_4arch9wavefront6targetE0EEEvT1_: ; @_ZN7rocprim17ROCPRIM_400000_NS6detail17trampoline_kernelINS0_14default_configENS1_25transform_config_selectorIfLb0EEEZNS1_14transform_implILb0ES3_S5_NS0_18transform_iteratorINS0_17counting_iteratorImlEEZNS1_24adjacent_difference_implIS3_Lb1ELb0EPfN6thrust23THRUST_200600_302600_NS16discard_iteratorINSD_11use_defaultEEENSD_5minusIfEEEE10hipError_tPvRmT2_T3_mT4_P12ihipStream_tbEUlmE_fEESB_NS0_8identityIvEEEESJ_SM_SN_mSO_SQ_bEUlT_E_NS1_11comp_targetILNS1_3genE8ELNS1_11target_archE1030ELNS1_3gpuE2ELNS1_3repE0EEENS1_30default_config_static_selectorELNS0_4arch9wavefront6targetE0EEEvT1_
; %bb.0:
	.section	.rodata,"a",@progbits
	.p2align	6, 0x0
	.amdhsa_kernel _ZN7rocprim17ROCPRIM_400000_NS6detail17trampoline_kernelINS0_14default_configENS1_25transform_config_selectorIfLb0EEEZNS1_14transform_implILb0ES3_S5_NS0_18transform_iteratorINS0_17counting_iteratorImlEEZNS1_24adjacent_difference_implIS3_Lb1ELb0EPfN6thrust23THRUST_200600_302600_NS16discard_iteratorINSD_11use_defaultEEENSD_5minusIfEEEE10hipError_tPvRmT2_T3_mT4_P12ihipStream_tbEUlmE_fEESB_NS0_8identityIvEEEESJ_SM_SN_mSO_SQ_bEUlT_E_NS1_11comp_targetILNS1_3genE8ELNS1_11target_archE1030ELNS1_3gpuE2ELNS1_3repE0EEENS1_30default_config_static_selectorELNS0_4arch9wavefront6targetE0EEEvT1_
		.amdhsa_group_segment_fixed_size 0
		.amdhsa_private_segment_fixed_size 0
		.amdhsa_kernarg_size 56
		.amdhsa_user_sgpr_count 15
		.amdhsa_user_sgpr_dispatch_ptr 0
		.amdhsa_user_sgpr_queue_ptr 0
		.amdhsa_user_sgpr_kernarg_segment_ptr 1
		.amdhsa_user_sgpr_dispatch_id 0
		.amdhsa_user_sgpr_private_segment_size 0
		.amdhsa_wavefront_size32 1
		.amdhsa_uses_dynamic_stack 0
		.amdhsa_enable_private_segment 0
		.amdhsa_system_sgpr_workgroup_id_x 1
		.amdhsa_system_sgpr_workgroup_id_y 0
		.amdhsa_system_sgpr_workgroup_id_z 0
		.amdhsa_system_sgpr_workgroup_info 0
		.amdhsa_system_vgpr_workitem_id 0
		.amdhsa_next_free_vgpr 1
		.amdhsa_next_free_sgpr 1
		.amdhsa_reserve_vcc 0
		.amdhsa_float_round_mode_32 0
		.amdhsa_float_round_mode_16_64 0
		.amdhsa_float_denorm_mode_32 3
		.amdhsa_float_denorm_mode_16_64 3
		.amdhsa_dx10_clamp 1
		.amdhsa_ieee_mode 1
		.amdhsa_fp16_overflow 0
		.amdhsa_workgroup_processor_mode 1
		.amdhsa_memory_ordered 1
		.amdhsa_forward_progress 0
		.amdhsa_shared_vgpr_count 0
		.amdhsa_exception_fp_ieee_invalid_op 0
		.amdhsa_exception_fp_denorm_src 0
		.amdhsa_exception_fp_ieee_div_zero 0
		.amdhsa_exception_fp_ieee_overflow 0
		.amdhsa_exception_fp_ieee_underflow 0
		.amdhsa_exception_fp_ieee_inexact 0
		.amdhsa_exception_int_div_zero 0
	.end_amdhsa_kernel
	.section	.text._ZN7rocprim17ROCPRIM_400000_NS6detail17trampoline_kernelINS0_14default_configENS1_25transform_config_selectorIfLb0EEEZNS1_14transform_implILb0ES3_S5_NS0_18transform_iteratorINS0_17counting_iteratorImlEEZNS1_24adjacent_difference_implIS3_Lb1ELb0EPfN6thrust23THRUST_200600_302600_NS16discard_iteratorINSD_11use_defaultEEENSD_5minusIfEEEE10hipError_tPvRmT2_T3_mT4_P12ihipStream_tbEUlmE_fEESB_NS0_8identityIvEEEESJ_SM_SN_mSO_SQ_bEUlT_E_NS1_11comp_targetILNS1_3genE8ELNS1_11target_archE1030ELNS1_3gpuE2ELNS1_3repE0EEENS1_30default_config_static_selectorELNS0_4arch9wavefront6targetE0EEEvT1_,"axG",@progbits,_ZN7rocprim17ROCPRIM_400000_NS6detail17trampoline_kernelINS0_14default_configENS1_25transform_config_selectorIfLb0EEEZNS1_14transform_implILb0ES3_S5_NS0_18transform_iteratorINS0_17counting_iteratorImlEEZNS1_24adjacent_difference_implIS3_Lb1ELb0EPfN6thrust23THRUST_200600_302600_NS16discard_iteratorINSD_11use_defaultEEENSD_5minusIfEEEE10hipError_tPvRmT2_T3_mT4_P12ihipStream_tbEUlmE_fEESB_NS0_8identityIvEEEESJ_SM_SN_mSO_SQ_bEUlT_E_NS1_11comp_targetILNS1_3genE8ELNS1_11target_archE1030ELNS1_3gpuE2ELNS1_3repE0EEENS1_30default_config_static_selectorELNS0_4arch9wavefront6targetE0EEEvT1_,comdat
.Lfunc_end798:
	.size	_ZN7rocprim17ROCPRIM_400000_NS6detail17trampoline_kernelINS0_14default_configENS1_25transform_config_selectorIfLb0EEEZNS1_14transform_implILb0ES3_S5_NS0_18transform_iteratorINS0_17counting_iteratorImlEEZNS1_24adjacent_difference_implIS3_Lb1ELb0EPfN6thrust23THRUST_200600_302600_NS16discard_iteratorINSD_11use_defaultEEENSD_5minusIfEEEE10hipError_tPvRmT2_T3_mT4_P12ihipStream_tbEUlmE_fEESB_NS0_8identityIvEEEESJ_SM_SN_mSO_SQ_bEUlT_E_NS1_11comp_targetILNS1_3genE8ELNS1_11target_archE1030ELNS1_3gpuE2ELNS1_3repE0EEENS1_30default_config_static_selectorELNS0_4arch9wavefront6targetE0EEEvT1_, .Lfunc_end798-_ZN7rocprim17ROCPRIM_400000_NS6detail17trampoline_kernelINS0_14default_configENS1_25transform_config_selectorIfLb0EEEZNS1_14transform_implILb0ES3_S5_NS0_18transform_iteratorINS0_17counting_iteratorImlEEZNS1_24adjacent_difference_implIS3_Lb1ELb0EPfN6thrust23THRUST_200600_302600_NS16discard_iteratorINSD_11use_defaultEEENSD_5minusIfEEEE10hipError_tPvRmT2_T3_mT4_P12ihipStream_tbEUlmE_fEESB_NS0_8identityIvEEEESJ_SM_SN_mSO_SQ_bEUlT_E_NS1_11comp_targetILNS1_3genE8ELNS1_11target_archE1030ELNS1_3gpuE2ELNS1_3repE0EEENS1_30default_config_static_selectorELNS0_4arch9wavefront6targetE0EEEvT1_
                                        ; -- End function
	.section	.AMDGPU.csdata,"",@progbits
; Kernel info:
; codeLenInByte = 0
; NumSgprs: 0
; NumVgprs: 0
; ScratchSize: 0
; MemoryBound: 0
; FloatMode: 240
; IeeeMode: 1
; LDSByteSize: 0 bytes/workgroup (compile time only)
; SGPRBlocks: 0
; VGPRBlocks: 0
; NumSGPRsForWavesPerEU: 1
; NumVGPRsForWavesPerEU: 1
; Occupancy: 16
; WaveLimiterHint : 0
; COMPUTE_PGM_RSRC2:SCRATCH_EN: 0
; COMPUTE_PGM_RSRC2:USER_SGPR: 15
; COMPUTE_PGM_RSRC2:TRAP_HANDLER: 0
; COMPUTE_PGM_RSRC2:TGID_X_EN: 1
; COMPUTE_PGM_RSRC2:TGID_Y_EN: 0
; COMPUTE_PGM_RSRC2:TGID_Z_EN: 0
; COMPUTE_PGM_RSRC2:TIDIG_COMP_CNT: 0
	.section	.text._ZN7rocprim17ROCPRIM_400000_NS6detail17trampoline_kernelINS0_14default_configENS1_35adjacent_difference_config_selectorILb1EfEEZNS1_24adjacent_difference_implIS3_Lb1ELb0EPfN6thrust23THRUST_200600_302600_NS16discard_iteratorINS9_11use_defaultEEENS9_5minusIfEEEE10hipError_tPvRmT2_T3_mT4_P12ihipStream_tbEUlT_E_NS1_11comp_targetILNS1_3genE0ELNS1_11target_archE4294967295ELNS1_3gpuE0ELNS1_3repE0EEENS1_30default_config_static_selectorELNS0_4arch9wavefront6targetE0EEEvT1_,"axG",@progbits,_ZN7rocprim17ROCPRIM_400000_NS6detail17trampoline_kernelINS0_14default_configENS1_35adjacent_difference_config_selectorILb1EfEEZNS1_24adjacent_difference_implIS3_Lb1ELb0EPfN6thrust23THRUST_200600_302600_NS16discard_iteratorINS9_11use_defaultEEENS9_5minusIfEEEE10hipError_tPvRmT2_T3_mT4_P12ihipStream_tbEUlT_E_NS1_11comp_targetILNS1_3genE0ELNS1_11target_archE4294967295ELNS1_3gpuE0ELNS1_3repE0EEENS1_30default_config_static_selectorELNS0_4arch9wavefront6targetE0EEEvT1_,comdat
	.protected	_ZN7rocprim17ROCPRIM_400000_NS6detail17trampoline_kernelINS0_14default_configENS1_35adjacent_difference_config_selectorILb1EfEEZNS1_24adjacent_difference_implIS3_Lb1ELb0EPfN6thrust23THRUST_200600_302600_NS16discard_iteratorINS9_11use_defaultEEENS9_5minusIfEEEE10hipError_tPvRmT2_T3_mT4_P12ihipStream_tbEUlT_E_NS1_11comp_targetILNS1_3genE0ELNS1_11target_archE4294967295ELNS1_3gpuE0ELNS1_3repE0EEENS1_30default_config_static_selectorELNS0_4arch9wavefront6targetE0EEEvT1_ ; -- Begin function _ZN7rocprim17ROCPRIM_400000_NS6detail17trampoline_kernelINS0_14default_configENS1_35adjacent_difference_config_selectorILb1EfEEZNS1_24adjacent_difference_implIS3_Lb1ELb0EPfN6thrust23THRUST_200600_302600_NS16discard_iteratorINS9_11use_defaultEEENS9_5minusIfEEEE10hipError_tPvRmT2_T3_mT4_P12ihipStream_tbEUlT_E_NS1_11comp_targetILNS1_3genE0ELNS1_11target_archE4294967295ELNS1_3gpuE0ELNS1_3repE0EEENS1_30default_config_static_selectorELNS0_4arch9wavefront6targetE0EEEvT1_
	.globl	_ZN7rocprim17ROCPRIM_400000_NS6detail17trampoline_kernelINS0_14default_configENS1_35adjacent_difference_config_selectorILb1EfEEZNS1_24adjacent_difference_implIS3_Lb1ELb0EPfN6thrust23THRUST_200600_302600_NS16discard_iteratorINS9_11use_defaultEEENS9_5minusIfEEEE10hipError_tPvRmT2_T3_mT4_P12ihipStream_tbEUlT_E_NS1_11comp_targetILNS1_3genE0ELNS1_11target_archE4294967295ELNS1_3gpuE0ELNS1_3repE0EEENS1_30default_config_static_selectorELNS0_4arch9wavefront6targetE0EEEvT1_
	.p2align	8
	.type	_ZN7rocprim17ROCPRIM_400000_NS6detail17trampoline_kernelINS0_14default_configENS1_35adjacent_difference_config_selectorILb1EfEEZNS1_24adjacent_difference_implIS3_Lb1ELb0EPfN6thrust23THRUST_200600_302600_NS16discard_iteratorINS9_11use_defaultEEENS9_5minusIfEEEE10hipError_tPvRmT2_T3_mT4_P12ihipStream_tbEUlT_E_NS1_11comp_targetILNS1_3genE0ELNS1_11target_archE4294967295ELNS1_3gpuE0ELNS1_3repE0EEENS1_30default_config_static_selectorELNS0_4arch9wavefront6targetE0EEEvT1_,@function
_ZN7rocprim17ROCPRIM_400000_NS6detail17trampoline_kernelINS0_14default_configENS1_35adjacent_difference_config_selectorILb1EfEEZNS1_24adjacent_difference_implIS3_Lb1ELb0EPfN6thrust23THRUST_200600_302600_NS16discard_iteratorINS9_11use_defaultEEENS9_5minusIfEEEE10hipError_tPvRmT2_T3_mT4_P12ihipStream_tbEUlT_E_NS1_11comp_targetILNS1_3genE0ELNS1_11target_archE4294967295ELNS1_3gpuE0ELNS1_3repE0EEENS1_30default_config_static_selectorELNS0_4arch9wavefront6targetE0EEEvT1_: ; @_ZN7rocprim17ROCPRIM_400000_NS6detail17trampoline_kernelINS0_14default_configENS1_35adjacent_difference_config_selectorILb1EfEEZNS1_24adjacent_difference_implIS3_Lb1ELb0EPfN6thrust23THRUST_200600_302600_NS16discard_iteratorINS9_11use_defaultEEENS9_5minusIfEEEE10hipError_tPvRmT2_T3_mT4_P12ihipStream_tbEUlT_E_NS1_11comp_targetILNS1_3genE0ELNS1_11target_archE4294967295ELNS1_3gpuE0ELNS1_3repE0EEENS1_30default_config_static_selectorELNS0_4arch9wavefront6targetE0EEEvT1_
; %bb.0:
	.section	.rodata,"a",@progbits
	.p2align	6, 0x0
	.amdhsa_kernel _ZN7rocprim17ROCPRIM_400000_NS6detail17trampoline_kernelINS0_14default_configENS1_35adjacent_difference_config_selectorILb1EfEEZNS1_24adjacent_difference_implIS3_Lb1ELb0EPfN6thrust23THRUST_200600_302600_NS16discard_iteratorINS9_11use_defaultEEENS9_5minusIfEEEE10hipError_tPvRmT2_T3_mT4_P12ihipStream_tbEUlT_E_NS1_11comp_targetILNS1_3genE0ELNS1_11target_archE4294967295ELNS1_3gpuE0ELNS1_3repE0EEENS1_30default_config_static_selectorELNS0_4arch9wavefront6targetE0EEEvT1_
		.amdhsa_group_segment_fixed_size 0
		.amdhsa_private_segment_fixed_size 0
		.amdhsa_kernarg_size 64
		.amdhsa_user_sgpr_count 15
		.amdhsa_user_sgpr_dispatch_ptr 0
		.amdhsa_user_sgpr_queue_ptr 0
		.amdhsa_user_sgpr_kernarg_segment_ptr 1
		.amdhsa_user_sgpr_dispatch_id 0
		.amdhsa_user_sgpr_private_segment_size 0
		.amdhsa_wavefront_size32 1
		.amdhsa_uses_dynamic_stack 0
		.amdhsa_enable_private_segment 0
		.amdhsa_system_sgpr_workgroup_id_x 1
		.amdhsa_system_sgpr_workgroup_id_y 0
		.amdhsa_system_sgpr_workgroup_id_z 0
		.amdhsa_system_sgpr_workgroup_info 0
		.amdhsa_system_vgpr_workitem_id 0
		.amdhsa_next_free_vgpr 1
		.amdhsa_next_free_sgpr 1
		.amdhsa_reserve_vcc 0
		.amdhsa_float_round_mode_32 0
		.amdhsa_float_round_mode_16_64 0
		.amdhsa_float_denorm_mode_32 3
		.amdhsa_float_denorm_mode_16_64 3
		.amdhsa_dx10_clamp 1
		.amdhsa_ieee_mode 1
		.amdhsa_fp16_overflow 0
		.amdhsa_workgroup_processor_mode 1
		.amdhsa_memory_ordered 1
		.amdhsa_forward_progress 0
		.amdhsa_shared_vgpr_count 0
		.amdhsa_exception_fp_ieee_invalid_op 0
		.amdhsa_exception_fp_denorm_src 0
		.amdhsa_exception_fp_ieee_div_zero 0
		.amdhsa_exception_fp_ieee_overflow 0
		.amdhsa_exception_fp_ieee_underflow 0
		.amdhsa_exception_fp_ieee_inexact 0
		.amdhsa_exception_int_div_zero 0
	.end_amdhsa_kernel
	.section	.text._ZN7rocprim17ROCPRIM_400000_NS6detail17trampoline_kernelINS0_14default_configENS1_35adjacent_difference_config_selectorILb1EfEEZNS1_24adjacent_difference_implIS3_Lb1ELb0EPfN6thrust23THRUST_200600_302600_NS16discard_iteratorINS9_11use_defaultEEENS9_5minusIfEEEE10hipError_tPvRmT2_T3_mT4_P12ihipStream_tbEUlT_E_NS1_11comp_targetILNS1_3genE0ELNS1_11target_archE4294967295ELNS1_3gpuE0ELNS1_3repE0EEENS1_30default_config_static_selectorELNS0_4arch9wavefront6targetE0EEEvT1_,"axG",@progbits,_ZN7rocprim17ROCPRIM_400000_NS6detail17trampoline_kernelINS0_14default_configENS1_35adjacent_difference_config_selectorILb1EfEEZNS1_24adjacent_difference_implIS3_Lb1ELb0EPfN6thrust23THRUST_200600_302600_NS16discard_iteratorINS9_11use_defaultEEENS9_5minusIfEEEE10hipError_tPvRmT2_T3_mT4_P12ihipStream_tbEUlT_E_NS1_11comp_targetILNS1_3genE0ELNS1_11target_archE4294967295ELNS1_3gpuE0ELNS1_3repE0EEENS1_30default_config_static_selectorELNS0_4arch9wavefront6targetE0EEEvT1_,comdat
.Lfunc_end799:
	.size	_ZN7rocprim17ROCPRIM_400000_NS6detail17trampoline_kernelINS0_14default_configENS1_35adjacent_difference_config_selectorILb1EfEEZNS1_24adjacent_difference_implIS3_Lb1ELb0EPfN6thrust23THRUST_200600_302600_NS16discard_iteratorINS9_11use_defaultEEENS9_5minusIfEEEE10hipError_tPvRmT2_T3_mT4_P12ihipStream_tbEUlT_E_NS1_11comp_targetILNS1_3genE0ELNS1_11target_archE4294967295ELNS1_3gpuE0ELNS1_3repE0EEENS1_30default_config_static_selectorELNS0_4arch9wavefront6targetE0EEEvT1_, .Lfunc_end799-_ZN7rocprim17ROCPRIM_400000_NS6detail17trampoline_kernelINS0_14default_configENS1_35adjacent_difference_config_selectorILb1EfEEZNS1_24adjacent_difference_implIS3_Lb1ELb0EPfN6thrust23THRUST_200600_302600_NS16discard_iteratorINS9_11use_defaultEEENS9_5minusIfEEEE10hipError_tPvRmT2_T3_mT4_P12ihipStream_tbEUlT_E_NS1_11comp_targetILNS1_3genE0ELNS1_11target_archE4294967295ELNS1_3gpuE0ELNS1_3repE0EEENS1_30default_config_static_selectorELNS0_4arch9wavefront6targetE0EEEvT1_
                                        ; -- End function
	.section	.AMDGPU.csdata,"",@progbits
; Kernel info:
; codeLenInByte = 0
; NumSgprs: 0
; NumVgprs: 0
; ScratchSize: 0
; MemoryBound: 0
; FloatMode: 240
; IeeeMode: 1
; LDSByteSize: 0 bytes/workgroup (compile time only)
; SGPRBlocks: 0
; VGPRBlocks: 0
; NumSGPRsForWavesPerEU: 1
; NumVGPRsForWavesPerEU: 1
; Occupancy: 16
; WaveLimiterHint : 0
; COMPUTE_PGM_RSRC2:SCRATCH_EN: 0
; COMPUTE_PGM_RSRC2:USER_SGPR: 15
; COMPUTE_PGM_RSRC2:TRAP_HANDLER: 0
; COMPUTE_PGM_RSRC2:TGID_X_EN: 1
; COMPUTE_PGM_RSRC2:TGID_Y_EN: 0
; COMPUTE_PGM_RSRC2:TGID_Z_EN: 0
; COMPUTE_PGM_RSRC2:TIDIG_COMP_CNT: 0
	.section	.text._ZN7rocprim17ROCPRIM_400000_NS6detail17trampoline_kernelINS0_14default_configENS1_35adjacent_difference_config_selectorILb1EfEEZNS1_24adjacent_difference_implIS3_Lb1ELb0EPfN6thrust23THRUST_200600_302600_NS16discard_iteratorINS9_11use_defaultEEENS9_5minusIfEEEE10hipError_tPvRmT2_T3_mT4_P12ihipStream_tbEUlT_E_NS1_11comp_targetILNS1_3genE10ELNS1_11target_archE1201ELNS1_3gpuE5ELNS1_3repE0EEENS1_30default_config_static_selectorELNS0_4arch9wavefront6targetE0EEEvT1_,"axG",@progbits,_ZN7rocprim17ROCPRIM_400000_NS6detail17trampoline_kernelINS0_14default_configENS1_35adjacent_difference_config_selectorILb1EfEEZNS1_24adjacent_difference_implIS3_Lb1ELb0EPfN6thrust23THRUST_200600_302600_NS16discard_iteratorINS9_11use_defaultEEENS9_5minusIfEEEE10hipError_tPvRmT2_T3_mT4_P12ihipStream_tbEUlT_E_NS1_11comp_targetILNS1_3genE10ELNS1_11target_archE1201ELNS1_3gpuE5ELNS1_3repE0EEENS1_30default_config_static_selectorELNS0_4arch9wavefront6targetE0EEEvT1_,comdat
	.protected	_ZN7rocprim17ROCPRIM_400000_NS6detail17trampoline_kernelINS0_14default_configENS1_35adjacent_difference_config_selectorILb1EfEEZNS1_24adjacent_difference_implIS3_Lb1ELb0EPfN6thrust23THRUST_200600_302600_NS16discard_iteratorINS9_11use_defaultEEENS9_5minusIfEEEE10hipError_tPvRmT2_T3_mT4_P12ihipStream_tbEUlT_E_NS1_11comp_targetILNS1_3genE10ELNS1_11target_archE1201ELNS1_3gpuE5ELNS1_3repE0EEENS1_30default_config_static_selectorELNS0_4arch9wavefront6targetE0EEEvT1_ ; -- Begin function _ZN7rocprim17ROCPRIM_400000_NS6detail17trampoline_kernelINS0_14default_configENS1_35adjacent_difference_config_selectorILb1EfEEZNS1_24adjacent_difference_implIS3_Lb1ELb0EPfN6thrust23THRUST_200600_302600_NS16discard_iteratorINS9_11use_defaultEEENS9_5minusIfEEEE10hipError_tPvRmT2_T3_mT4_P12ihipStream_tbEUlT_E_NS1_11comp_targetILNS1_3genE10ELNS1_11target_archE1201ELNS1_3gpuE5ELNS1_3repE0EEENS1_30default_config_static_selectorELNS0_4arch9wavefront6targetE0EEEvT1_
	.globl	_ZN7rocprim17ROCPRIM_400000_NS6detail17trampoline_kernelINS0_14default_configENS1_35adjacent_difference_config_selectorILb1EfEEZNS1_24adjacent_difference_implIS3_Lb1ELb0EPfN6thrust23THRUST_200600_302600_NS16discard_iteratorINS9_11use_defaultEEENS9_5minusIfEEEE10hipError_tPvRmT2_T3_mT4_P12ihipStream_tbEUlT_E_NS1_11comp_targetILNS1_3genE10ELNS1_11target_archE1201ELNS1_3gpuE5ELNS1_3repE0EEENS1_30default_config_static_selectorELNS0_4arch9wavefront6targetE0EEEvT1_
	.p2align	8
	.type	_ZN7rocprim17ROCPRIM_400000_NS6detail17trampoline_kernelINS0_14default_configENS1_35adjacent_difference_config_selectorILb1EfEEZNS1_24adjacent_difference_implIS3_Lb1ELb0EPfN6thrust23THRUST_200600_302600_NS16discard_iteratorINS9_11use_defaultEEENS9_5minusIfEEEE10hipError_tPvRmT2_T3_mT4_P12ihipStream_tbEUlT_E_NS1_11comp_targetILNS1_3genE10ELNS1_11target_archE1201ELNS1_3gpuE5ELNS1_3repE0EEENS1_30default_config_static_selectorELNS0_4arch9wavefront6targetE0EEEvT1_,@function
_ZN7rocprim17ROCPRIM_400000_NS6detail17trampoline_kernelINS0_14default_configENS1_35adjacent_difference_config_selectorILb1EfEEZNS1_24adjacent_difference_implIS3_Lb1ELb0EPfN6thrust23THRUST_200600_302600_NS16discard_iteratorINS9_11use_defaultEEENS9_5minusIfEEEE10hipError_tPvRmT2_T3_mT4_P12ihipStream_tbEUlT_E_NS1_11comp_targetILNS1_3genE10ELNS1_11target_archE1201ELNS1_3gpuE5ELNS1_3repE0EEENS1_30default_config_static_selectorELNS0_4arch9wavefront6targetE0EEEvT1_: ; @_ZN7rocprim17ROCPRIM_400000_NS6detail17trampoline_kernelINS0_14default_configENS1_35adjacent_difference_config_selectorILb1EfEEZNS1_24adjacent_difference_implIS3_Lb1ELb0EPfN6thrust23THRUST_200600_302600_NS16discard_iteratorINS9_11use_defaultEEENS9_5minusIfEEEE10hipError_tPvRmT2_T3_mT4_P12ihipStream_tbEUlT_E_NS1_11comp_targetILNS1_3genE10ELNS1_11target_archE1201ELNS1_3gpuE5ELNS1_3repE0EEENS1_30default_config_static_selectorELNS0_4arch9wavefront6targetE0EEEvT1_
; %bb.0:
	.section	.rodata,"a",@progbits
	.p2align	6, 0x0
	.amdhsa_kernel _ZN7rocprim17ROCPRIM_400000_NS6detail17trampoline_kernelINS0_14default_configENS1_35adjacent_difference_config_selectorILb1EfEEZNS1_24adjacent_difference_implIS3_Lb1ELb0EPfN6thrust23THRUST_200600_302600_NS16discard_iteratorINS9_11use_defaultEEENS9_5minusIfEEEE10hipError_tPvRmT2_T3_mT4_P12ihipStream_tbEUlT_E_NS1_11comp_targetILNS1_3genE10ELNS1_11target_archE1201ELNS1_3gpuE5ELNS1_3repE0EEENS1_30default_config_static_selectorELNS0_4arch9wavefront6targetE0EEEvT1_
		.amdhsa_group_segment_fixed_size 0
		.amdhsa_private_segment_fixed_size 0
		.amdhsa_kernarg_size 64
		.amdhsa_user_sgpr_count 15
		.amdhsa_user_sgpr_dispatch_ptr 0
		.amdhsa_user_sgpr_queue_ptr 0
		.amdhsa_user_sgpr_kernarg_segment_ptr 1
		.amdhsa_user_sgpr_dispatch_id 0
		.amdhsa_user_sgpr_private_segment_size 0
		.amdhsa_wavefront_size32 1
		.amdhsa_uses_dynamic_stack 0
		.amdhsa_enable_private_segment 0
		.amdhsa_system_sgpr_workgroup_id_x 1
		.amdhsa_system_sgpr_workgroup_id_y 0
		.amdhsa_system_sgpr_workgroup_id_z 0
		.amdhsa_system_sgpr_workgroup_info 0
		.amdhsa_system_vgpr_workitem_id 0
		.amdhsa_next_free_vgpr 1
		.amdhsa_next_free_sgpr 1
		.amdhsa_reserve_vcc 0
		.amdhsa_float_round_mode_32 0
		.amdhsa_float_round_mode_16_64 0
		.amdhsa_float_denorm_mode_32 3
		.amdhsa_float_denorm_mode_16_64 3
		.amdhsa_dx10_clamp 1
		.amdhsa_ieee_mode 1
		.amdhsa_fp16_overflow 0
		.amdhsa_workgroup_processor_mode 1
		.amdhsa_memory_ordered 1
		.amdhsa_forward_progress 0
		.amdhsa_shared_vgpr_count 0
		.amdhsa_exception_fp_ieee_invalid_op 0
		.amdhsa_exception_fp_denorm_src 0
		.amdhsa_exception_fp_ieee_div_zero 0
		.amdhsa_exception_fp_ieee_overflow 0
		.amdhsa_exception_fp_ieee_underflow 0
		.amdhsa_exception_fp_ieee_inexact 0
		.amdhsa_exception_int_div_zero 0
	.end_amdhsa_kernel
	.section	.text._ZN7rocprim17ROCPRIM_400000_NS6detail17trampoline_kernelINS0_14default_configENS1_35adjacent_difference_config_selectorILb1EfEEZNS1_24adjacent_difference_implIS3_Lb1ELb0EPfN6thrust23THRUST_200600_302600_NS16discard_iteratorINS9_11use_defaultEEENS9_5minusIfEEEE10hipError_tPvRmT2_T3_mT4_P12ihipStream_tbEUlT_E_NS1_11comp_targetILNS1_3genE10ELNS1_11target_archE1201ELNS1_3gpuE5ELNS1_3repE0EEENS1_30default_config_static_selectorELNS0_4arch9wavefront6targetE0EEEvT1_,"axG",@progbits,_ZN7rocprim17ROCPRIM_400000_NS6detail17trampoline_kernelINS0_14default_configENS1_35adjacent_difference_config_selectorILb1EfEEZNS1_24adjacent_difference_implIS3_Lb1ELb0EPfN6thrust23THRUST_200600_302600_NS16discard_iteratorINS9_11use_defaultEEENS9_5minusIfEEEE10hipError_tPvRmT2_T3_mT4_P12ihipStream_tbEUlT_E_NS1_11comp_targetILNS1_3genE10ELNS1_11target_archE1201ELNS1_3gpuE5ELNS1_3repE0EEENS1_30default_config_static_selectorELNS0_4arch9wavefront6targetE0EEEvT1_,comdat
.Lfunc_end800:
	.size	_ZN7rocprim17ROCPRIM_400000_NS6detail17trampoline_kernelINS0_14default_configENS1_35adjacent_difference_config_selectorILb1EfEEZNS1_24adjacent_difference_implIS3_Lb1ELb0EPfN6thrust23THRUST_200600_302600_NS16discard_iteratorINS9_11use_defaultEEENS9_5minusIfEEEE10hipError_tPvRmT2_T3_mT4_P12ihipStream_tbEUlT_E_NS1_11comp_targetILNS1_3genE10ELNS1_11target_archE1201ELNS1_3gpuE5ELNS1_3repE0EEENS1_30default_config_static_selectorELNS0_4arch9wavefront6targetE0EEEvT1_, .Lfunc_end800-_ZN7rocprim17ROCPRIM_400000_NS6detail17trampoline_kernelINS0_14default_configENS1_35adjacent_difference_config_selectorILb1EfEEZNS1_24adjacent_difference_implIS3_Lb1ELb0EPfN6thrust23THRUST_200600_302600_NS16discard_iteratorINS9_11use_defaultEEENS9_5minusIfEEEE10hipError_tPvRmT2_T3_mT4_P12ihipStream_tbEUlT_E_NS1_11comp_targetILNS1_3genE10ELNS1_11target_archE1201ELNS1_3gpuE5ELNS1_3repE0EEENS1_30default_config_static_selectorELNS0_4arch9wavefront6targetE0EEEvT1_
                                        ; -- End function
	.section	.AMDGPU.csdata,"",@progbits
; Kernel info:
; codeLenInByte = 0
; NumSgprs: 0
; NumVgprs: 0
; ScratchSize: 0
; MemoryBound: 0
; FloatMode: 240
; IeeeMode: 1
; LDSByteSize: 0 bytes/workgroup (compile time only)
; SGPRBlocks: 0
; VGPRBlocks: 0
; NumSGPRsForWavesPerEU: 1
; NumVGPRsForWavesPerEU: 1
; Occupancy: 16
; WaveLimiterHint : 0
; COMPUTE_PGM_RSRC2:SCRATCH_EN: 0
; COMPUTE_PGM_RSRC2:USER_SGPR: 15
; COMPUTE_PGM_RSRC2:TRAP_HANDLER: 0
; COMPUTE_PGM_RSRC2:TGID_X_EN: 1
; COMPUTE_PGM_RSRC2:TGID_Y_EN: 0
; COMPUTE_PGM_RSRC2:TGID_Z_EN: 0
; COMPUTE_PGM_RSRC2:TIDIG_COMP_CNT: 0
	.section	.text._ZN7rocprim17ROCPRIM_400000_NS6detail17trampoline_kernelINS0_14default_configENS1_35adjacent_difference_config_selectorILb1EfEEZNS1_24adjacent_difference_implIS3_Lb1ELb0EPfN6thrust23THRUST_200600_302600_NS16discard_iteratorINS9_11use_defaultEEENS9_5minusIfEEEE10hipError_tPvRmT2_T3_mT4_P12ihipStream_tbEUlT_E_NS1_11comp_targetILNS1_3genE5ELNS1_11target_archE942ELNS1_3gpuE9ELNS1_3repE0EEENS1_30default_config_static_selectorELNS0_4arch9wavefront6targetE0EEEvT1_,"axG",@progbits,_ZN7rocprim17ROCPRIM_400000_NS6detail17trampoline_kernelINS0_14default_configENS1_35adjacent_difference_config_selectorILb1EfEEZNS1_24adjacent_difference_implIS3_Lb1ELb0EPfN6thrust23THRUST_200600_302600_NS16discard_iteratorINS9_11use_defaultEEENS9_5minusIfEEEE10hipError_tPvRmT2_T3_mT4_P12ihipStream_tbEUlT_E_NS1_11comp_targetILNS1_3genE5ELNS1_11target_archE942ELNS1_3gpuE9ELNS1_3repE0EEENS1_30default_config_static_selectorELNS0_4arch9wavefront6targetE0EEEvT1_,comdat
	.protected	_ZN7rocprim17ROCPRIM_400000_NS6detail17trampoline_kernelINS0_14default_configENS1_35adjacent_difference_config_selectorILb1EfEEZNS1_24adjacent_difference_implIS3_Lb1ELb0EPfN6thrust23THRUST_200600_302600_NS16discard_iteratorINS9_11use_defaultEEENS9_5minusIfEEEE10hipError_tPvRmT2_T3_mT4_P12ihipStream_tbEUlT_E_NS1_11comp_targetILNS1_3genE5ELNS1_11target_archE942ELNS1_3gpuE9ELNS1_3repE0EEENS1_30default_config_static_selectorELNS0_4arch9wavefront6targetE0EEEvT1_ ; -- Begin function _ZN7rocprim17ROCPRIM_400000_NS6detail17trampoline_kernelINS0_14default_configENS1_35adjacent_difference_config_selectorILb1EfEEZNS1_24adjacent_difference_implIS3_Lb1ELb0EPfN6thrust23THRUST_200600_302600_NS16discard_iteratorINS9_11use_defaultEEENS9_5minusIfEEEE10hipError_tPvRmT2_T3_mT4_P12ihipStream_tbEUlT_E_NS1_11comp_targetILNS1_3genE5ELNS1_11target_archE942ELNS1_3gpuE9ELNS1_3repE0EEENS1_30default_config_static_selectorELNS0_4arch9wavefront6targetE0EEEvT1_
	.globl	_ZN7rocprim17ROCPRIM_400000_NS6detail17trampoline_kernelINS0_14default_configENS1_35adjacent_difference_config_selectorILb1EfEEZNS1_24adjacent_difference_implIS3_Lb1ELb0EPfN6thrust23THRUST_200600_302600_NS16discard_iteratorINS9_11use_defaultEEENS9_5minusIfEEEE10hipError_tPvRmT2_T3_mT4_P12ihipStream_tbEUlT_E_NS1_11comp_targetILNS1_3genE5ELNS1_11target_archE942ELNS1_3gpuE9ELNS1_3repE0EEENS1_30default_config_static_selectorELNS0_4arch9wavefront6targetE0EEEvT1_
	.p2align	8
	.type	_ZN7rocprim17ROCPRIM_400000_NS6detail17trampoline_kernelINS0_14default_configENS1_35adjacent_difference_config_selectorILb1EfEEZNS1_24adjacent_difference_implIS3_Lb1ELb0EPfN6thrust23THRUST_200600_302600_NS16discard_iteratorINS9_11use_defaultEEENS9_5minusIfEEEE10hipError_tPvRmT2_T3_mT4_P12ihipStream_tbEUlT_E_NS1_11comp_targetILNS1_3genE5ELNS1_11target_archE942ELNS1_3gpuE9ELNS1_3repE0EEENS1_30default_config_static_selectorELNS0_4arch9wavefront6targetE0EEEvT1_,@function
_ZN7rocprim17ROCPRIM_400000_NS6detail17trampoline_kernelINS0_14default_configENS1_35adjacent_difference_config_selectorILb1EfEEZNS1_24adjacent_difference_implIS3_Lb1ELb0EPfN6thrust23THRUST_200600_302600_NS16discard_iteratorINS9_11use_defaultEEENS9_5minusIfEEEE10hipError_tPvRmT2_T3_mT4_P12ihipStream_tbEUlT_E_NS1_11comp_targetILNS1_3genE5ELNS1_11target_archE942ELNS1_3gpuE9ELNS1_3repE0EEENS1_30default_config_static_selectorELNS0_4arch9wavefront6targetE0EEEvT1_: ; @_ZN7rocprim17ROCPRIM_400000_NS6detail17trampoline_kernelINS0_14default_configENS1_35adjacent_difference_config_selectorILb1EfEEZNS1_24adjacent_difference_implIS3_Lb1ELb0EPfN6thrust23THRUST_200600_302600_NS16discard_iteratorINS9_11use_defaultEEENS9_5minusIfEEEE10hipError_tPvRmT2_T3_mT4_P12ihipStream_tbEUlT_E_NS1_11comp_targetILNS1_3genE5ELNS1_11target_archE942ELNS1_3gpuE9ELNS1_3repE0EEENS1_30default_config_static_selectorELNS0_4arch9wavefront6targetE0EEEvT1_
; %bb.0:
	.section	.rodata,"a",@progbits
	.p2align	6, 0x0
	.amdhsa_kernel _ZN7rocprim17ROCPRIM_400000_NS6detail17trampoline_kernelINS0_14default_configENS1_35adjacent_difference_config_selectorILb1EfEEZNS1_24adjacent_difference_implIS3_Lb1ELb0EPfN6thrust23THRUST_200600_302600_NS16discard_iteratorINS9_11use_defaultEEENS9_5minusIfEEEE10hipError_tPvRmT2_T3_mT4_P12ihipStream_tbEUlT_E_NS1_11comp_targetILNS1_3genE5ELNS1_11target_archE942ELNS1_3gpuE9ELNS1_3repE0EEENS1_30default_config_static_selectorELNS0_4arch9wavefront6targetE0EEEvT1_
		.amdhsa_group_segment_fixed_size 0
		.amdhsa_private_segment_fixed_size 0
		.amdhsa_kernarg_size 64
		.amdhsa_user_sgpr_count 15
		.amdhsa_user_sgpr_dispatch_ptr 0
		.amdhsa_user_sgpr_queue_ptr 0
		.amdhsa_user_sgpr_kernarg_segment_ptr 1
		.amdhsa_user_sgpr_dispatch_id 0
		.amdhsa_user_sgpr_private_segment_size 0
		.amdhsa_wavefront_size32 1
		.amdhsa_uses_dynamic_stack 0
		.amdhsa_enable_private_segment 0
		.amdhsa_system_sgpr_workgroup_id_x 1
		.amdhsa_system_sgpr_workgroup_id_y 0
		.amdhsa_system_sgpr_workgroup_id_z 0
		.amdhsa_system_sgpr_workgroup_info 0
		.amdhsa_system_vgpr_workitem_id 0
		.amdhsa_next_free_vgpr 1
		.amdhsa_next_free_sgpr 1
		.amdhsa_reserve_vcc 0
		.amdhsa_float_round_mode_32 0
		.amdhsa_float_round_mode_16_64 0
		.amdhsa_float_denorm_mode_32 3
		.amdhsa_float_denorm_mode_16_64 3
		.amdhsa_dx10_clamp 1
		.amdhsa_ieee_mode 1
		.amdhsa_fp16_overflow 0
		.amdhsa_workgroup_processor_mode 1
		.amdhsa_memory_ordered 1
		.amdhsa_forward_progress 0
		.amdhsa_shared_vgpr_count 0
		.amdhsa_exception_fp_ieee_invalid_op 0
		.amdhsa_exception_fp_denorm_src 0
		.amdhsa_exception_fp_ieee_div_zero 0
		.amdhsa_exception_fp_ieee_overflow 0
		.amdhsa_exception_fp_ieee_underflow 0
		.amdhsa_exception_fp_ieee_inexact 0
		.amdhsa_exception_int_div_zero 0
	.end_amdhsa_kernel
	.section	.text._ZN7rocprim17ROCPRIM_400000_NS6detail17trampoline_kernelINS0_14default_configENS1_35adjacent_difference_config_selectorILb1EfEEZNS1_24adjacent_difference_implIS3_Lb1ELb0EPfN6thrust23THRUST_200600_302600_NS16discard_iteratorINS9_11use_defaultEEENS9_5minusIfEEEE10hipError_tPvRmT2_T3_mT4_P12ihipStream_tbEUlT_E_NS1_11comp_targetILNS1_3genE5ELNS1_11target_archE942ELNS1_3gpuE9ELNS1_3repE0EEENS1_30default_config_static_selectorELNS0_4arch9wavefront6targetE0EEEvT1_,"axG",@progbits,_ZN7rocprim17ROCPRIM_400000_NS6detail17trampoline_kernelINS0_14default_configENS1_35adjacent_difference_config_selectorILb1EfEEZNS1_24adjacent_difference_implIS3_Lb1ELb0EPfN6thrust23THRUST_200600_302600_NS16discard_iteratorINS9_11use_defaultEEENS9_5minusIfEEEE10hipError_tPvRmT2_T3_mT4_P12ihipStream_tbEUlT_E_NS1_11comp_targetILNS1_3genE5ELNS1_11target_archE942ELNS1_3gpuE9ELNS1_3repE0EEENS1_30default_config_static_selectorELNS0_4arch9wavefront6targetE0EEEvT1_,comdat
.Lfunc_end801:
	.size	_ZN7rocprim17ROCPRIM_400000_NS6detail17trampoline_kernelINS0_14default_configENS1_35adjacent_difference_config_selectorILb1EfEEZNS1_24adjacent_difference_implIS3_Lb1ELb0EPfN6thrust23THRUST_200600_302600_NS16discard_iteratorINS9_11use_defaultEEENS9_5minusIfEEEE10hipError_tPvRmT2_T3_mT4_P12ihipStream_tbEUlT_E_NS1_11comp_targetILNS1_3genE5ELNS1_11target_archE942ELNS1_3gpuE9ELNS1_3repE0EEENS1_30default_config_static_selectorELNS0_4arch9wavefront6targetE0EEEvT1_, .Lfunc_end801-_ZN7rocprim17ROCPRIM_400000_NS6detail17trampoline_kernelINS0_14default_configENS1_35adjacent_difference_config_selectorILb1EfEEZNS1_24adjacent_difference_implIS3_Lb1ELb0EPfN6thrust23THRUST_200600_302600_NS16discard_iteratorINS9_11use_defaultEEENS9_5minusIfEEEE10hipError_tPvRmT2_T3_mT4_P12ihipStream_tbEUlT_E_NS1_11comp_targetILNS1_3genE5ELNS1_11target_archE942ELNS1_3gpuE9ELNS1_3repE0EEENS1_30default_config_static_selectorELNS0_4arch9wavefront6targetE0EEEvT1_
                                        ; -- End function
	.section	.AMDGPU.csdata,"",@progbits
; Kernel info:
; codeLenInByte = 0
; NumSgprs: 0
; NumVgprs: 0
; ScratchSize: 0
; MemoryBound: 0
; FloatMode: 240
; IeeeMode: 1
; LDSByteSize: 0 bytes/workgroup (compile time only)
; SGPRBlocks: 0
; VGPRBlocks: 0
; NumSGPRsForWavesPerEU: 1
; NumVGPRsForWavesPerEU: 1
; Occupancy: 16
; WaveLimiterHint : 0
; COMPUTE_PGM_RSRC2:SCRATCH_EN: 0
; COMPUTE_PGM_RSRC2:USER_SGPR: 15
; COMPUTE_PGM_RSRC2:TRAP_HANDLER: 0
; COMPUTE_PGM_RSRC2:TGID_X_EN: 1
; COMPUTE_PGM_RSRC2:TGID_Y_EN: 0
; COMPUTE_PGM_RSRC2:TGID_Z_EN: 0
; COMPUTE_PGM_RSRC2:TIDIG_COMP_CNT: 0
	.section	.text._ZN7rocprim17ROCPRIM_400000_NS6detail17trampoline_kernelINS0_14default_configENS1_35adjacent_difference_config_selectorILb1EfEEZNS1_24adjacent_difference_implIS3_Lb1ELb0EPfN6thrust23THRUST_200600_302600_NS16discard_iteratorINS9_11use_defaultEEENS9_5minusIfEEEE10hipError_tPvRmT2_T3_mT4_P12ihipStream_tbEUlT_E_NS1_11comp_targetILNS1_3genE4ELNS1_11target_archE910ELNS1_3gpuE8ELNS1_3repE0EEENS1_30default_config_static_selectorELNS0_4arch9wavefront6targetE0EEEvT1_,"axG",@progbits,_ZN7rocprim17ROCPRIM_400000_NS6detail17trampoline_kernelINS0_14default_configENS1_35adjacent_difference_config_selectorILb1EfEEZNS1_24adjacent_difference_implIS3_Lb1ELb0EPfN6thrust23THRUST_200600_302600_NS16discard_iteratorINS9_11use_defaultEEENS9_5minusIfEEEE10hipError_tPvRmT2_T3_mT4_P12ihipStream_tbEUlT_E_NS1_11comp_targetILNS1_3genE4ELNS1_11target_archE910ELNS1_3gpuE8ELNS1_3repE0EEENS1_30default_config_static_selectorELNS0_4arch9wavefront6targetE0EEEvT1_,comdat
	.protected	_ZN7rocprim17ROCPRIM_400000_NS6detail17trampoline_kernelINS0_14default_configENS1_35adjacent_difference_config_selectorILb1EfEEZNS1_24adjacent_difference_implIS3_Lb1ELb0EPfN6thrust23THRUST_200600_302600_NS16discard_iteratorINS9_11use_defaultEEENS9_5minusIfEEEE10hipError_tPvRmT2_T3_mT4_P12ihipStream_tbEUlT_E_NS1_11comp_targetILNS1_3genE4ELNS1_11target_archE910ELNS1_3gpuE8ELNS1_3repE0EEENS1_30default_config_static_selectorELNS0_4arch9wavefront6targetE0EEEvT1_ ; -- Begin function _ZN7rocprim17ROCPRIM_400000_NS6detail17trampoline_kernelINS0_14default_configENS1_35adjacent_difference_config_selectorILb1EfEEZNS1_24adjacent_difference_implIS3_Lb1ELb0EPfN6thrust23THRUST_200600_302600_NS16discard_iteratorINS9_11use_defaultEEENS9_5minusIfEEEE10hipError_tPvRmT2_T3_mT4_P12ihipStream_tbEUlT_E_NS1_11comp_targetILNS1_3genE4ELNS1_11target_archE910ELNS1_3gpuE8ELNS1_3repE0EEENS1_30default_config_static_selectorELNS0_4arch9wavefront6targetE0EEEvT1_
	.globl	_ZN7rocprim17ROCPRIM_400000_NS6detail17trampoline_kernelINS0_14default_configENS1_35adjacent_difference_config_selectorILb1EfEEZNS1_24adjacent_difference_implIS3_Lb1ELb0EPfN6thrust23THRUST_200600_302600_NS16discard_iteratorINS9_11use_defaultEEENS9_5minusIfEEEE10hipError_tPvRmT2_T3_mT4_P12ihipStream_tbEUlT_E_NS1_11comp_targetILNS1_3genE4ELNS1_11target_archE910ELNS1_3gpuE8ELNS1_3repE0EEENS1_30default_config_static_selectorELNS0_4arch9wavefront6targetE0EEEvT1_
	.p2align	8
	.type	_ZN7rocprim17ROCPRIM_400000_NS6detail17trampoline_kernelINS0_14default_configENS1_35adjacent_difference_config_selectorILb1EfEEZNS1_24adjacent_difference_implIS3_Lb1ELb0EPfN6thrust23THRUST_200600_302600_NS16discard_iteratorINS9_11use_defaultEEENS9_5minusIfEEEE10hipError_tPvRmT2_T3_mT4_P12ihipStream_tbEUlT_E_NS1_11comp_targetILNS1_3genE4ELNS1_11target_archE910ELNS1_3gpuE8ELNS1_3repE0EEENS1_30default_config_static_selectorELNS0_4arch9wavefront6targetE0EEEvT1_,@function
_ZN7rocprim17ROCPRIM_400000_NS6detail17trampoline_kernelINS0_14default_configENS1_35adjacent_difference_config_selectorILb1EfEEZNS1_24adjacent_difference_implIS3_Lb1ELb0EPfN6thrust23THRUST_200600_302600_NS16discard_iteratorINS9_11use_defaultEEENS9_5minusIfEEEE10hipError_tPvRmT2_T3_mT4_P12ihipStream_tbEUlT_E_NS1_11comp_targetILNS1_3genE4ELNS1_11target_archE910ELNS1_3gpuE8ELNS1_3repE0EEENS1_30default_config_static_selectorELNS0_4arch9wavefront6targetE0EEEvT1_: ; @_ZN7rocprim17ROCPRIM_400000_NS6detail17trampoline_kernelINS0_14default_configENS1_35adjacent_difference_config_selectorILb1EfEEZNS1_24adjacent_difference_implIS3_Lb1ELb0EPfN6thrust23THRUST_200600_302600_NS16discard_iteratorINS9_11use_defaultEEENS9_5minusIfEEEE10hipError_tPvRmT2_T3_mT4_P12ihipStream_tbEUlT_E_NS1_11comp_targetILNS1_3genE4ELNS1_11target_archE910ELNS1_3gpuE8ELNS1_3repE0EEENS1_30default_config_static_selectorELNS0_4arch9wavefront6targetE0EEEvT1_
; %bb.0:
	.section	.rodata,"a",@progbits
	.p2align	6, 0x0
	.amdhsa_kernel _ZN7rocprim17ROCPRIM_400000_NS6detail17trampoline_kernelINS0_14default_configENS1_35adjacent_difference_config_selectorILb1EfEEZNS1_24adjacent_difference_implIS3_Lb1ELb0EPfN6thrust23THRUST_200600_302600_NS16discard_iteratorINS9_11use_defaultEEENS9_5minusIfEEEE10hipError_tPvRmT2_T3_mT4_P12ihipStream_tbEUlT_E_NS1_11comp_targetILNS1_3genE4ELNS1_11target_archE910ELNS1_3gpuE8ELNS1_3repE0EEENS1_30default_config_static_selectorELNS0_4arch9wavefront6targetE0EEEvT1_
		.amdhsa_group_segment_fixed_size 0
		.amdhsa_private_segment_fixed_size 0
		.amdhsa_kernarg_size 64
		.amdhsa_user_sgpr_count 15
		.amdhsa_user_sgpr_dispatch_ptr 0
		.amdhsa_user_sgpr_queue_ptr 0
		.amdhsa_user_sgpr_kernarg_segment_ptr 1
		.amdhsa_user_sgpr_dispatch_id 0
		.amdhsa_user_sgpr_private_segment_size 0
		.amdhsa_wavefront_size32 1
		.amdhsa_uses_dynamic_stack 0
		.amdhsa_enable_private_segment 0
		.amdhsa_system_sgpr_workgroup_id_x 1
		.amdhsa_system_sgpr_workgroup_id_y 0
		.amdhsa_system_sgpr_workgroup_id_z 0
		.amdhsa_system_sgpr_workgroup_info 0
		.amdhsa_system_vgpr_workitem_id 0
		.amdhsa_next_free_vgpr 1
		.amdhsa_next_free_sgpr 1
		.amdhsa_reserve_vcc 0
		.amdhsa_float_round_mode_32 0
		.amdhsa_float_round_mode_16_64 0
		.amdhsa_float_denorm_mode_32 3
		.amdhsa_float_denorm_mode_16_64 3
		.amdhsa_dx10_clamp 1
		.amdhsa_ieee_mode 1
		.amdhsa_fp16_overflow 0
		.amdhsa_workgroup_processor_mode 1
		.amdhsa_memory_ordered 1
		.amdhsa_forward_progress 0
		.amdhsa_shared_vgpr_count 0
		.amdhsa_exception_fp_ieee_invalid_op 0
		.amdhsa_exception_fp_denorm_src 0
		.amdhsa_exception_fp_ieee_div_zero 0
		.amdhsa_exception_fp_ieee_overflow 0
		.amdhsa_exception_fp_ieee_underflow 0
		.amdhsa_exception_fp_ieee_inexact 0
		.amdhsa_exception_int_div_zero 0
	.end_amdhsa_kernel
	.section	.text._ZN7rocprim17ROCPRIM_400000_NS6detail17trampoline_kernelINS0_14default_configENS1_35adjacent_difference_config_selectorILb1EfEEZNS1_24adjacent_difference_implIS3_Lb1ELb0EPfN6thrust23THRUST_200600_302600_NS16discard_iteratorINS9_11use_defaultEEENS9_5minusIfEEEE10hipError_tPvRmT2_T3_mT4_P12ihipStream_tbEUlT_E_NS1_11comp_targetILNS1_3genE4ELNS1_11target_archE910ELNS1_3gpuE8ELNS1_3repE0EEENS1_30default_config_static_selectorELNS0_4arch9wavefront6targetE0EEEvT1_,"axG",@progbits,_ZN7rocprim17ROCPRIM_400000_NS6detail17trampoline_kernelINS0_14default_configENS1_35adjacent_difference_config_selectorILb1EfEEZNS1_24adjacent_difference_implIS3_Lb1ELb0EPfN6thrust23THRUST_200600_302600_NS16discard_iteratorINS9_11use_defaultEEENS9_5minusIfEEEE10hipError_tPvRmT2_T3_mT4_P12ihipStream_tbEUlT_E_NS1_11comp_targetILNS1_3genE4ELNS1_11target_archE910ELNS1_3gpuE8ELNS1_3repE0EEENS1_30default_config_static_selectorELNS0_4arch9wavefront6targetE0EEEvT1_,comdat
.Lfunc_end802:
	.size	_ZN7rocprim17ROCPRIM_400000_NS6detail17trampoline_kernelINS0_14default_configENS1_35adjacent_difference_config_selectorILb1EfEEZNS1_24adjacent_difference_implIS3_Lb1ELb0EPfN6thrust23THRUST_200600_302600_NS16discard_iteratorINS9_11use_defaultEEENS9_5minusIfEEEE10hipError_tPvRmT2_T3_mT4_P12ihipStream_tbEUlT_E_NS1_11comp_targetILNS1_3genE4ELNS1_11target_archE910ELNS1_3gpuE8ELNS1_3repE0EEENS1_30default_config_static_selectorELNS0_4arch9wavefront6targetE0EEEvT1_, .Lfunc_end802-_ZN7rocprim17ROCPRIM_400000_NS6detail17trampoline_kernelINS0_14default_configENS1_35adjacent_difference_config_selectorILb1EfEEZNS1_24adjacent_difference_implIS3_Lb1ELb0EPfN6thrust23THRUST_200600_302600_NS16discard_iteratorINS9_11use_defaultEEENS9_5minusIfEEEE10hipError_tPvRmT2_T3_mT4_P12ihipStream_tbEUlT_E_NS1_11comp_targetILNS1_3genE4ELNS1_11target_archE910ELNS1_3gpuE8ELNS1_3repE0EEENS1_30default_config_static_selectorELNS0_4arch9wavefront6targetE0EEEvT1_
                                        ; -- End function
	.section	.AMDGPU.csdata,"",@progbits
; Kernel info:
; codeLenInByte = 0
; NumSgprs: 0
; NumVgprs: 0
; ScratchSize: 0
; MemoryBound: 0
; FloatMode: 240
; IeeeMode: 1
; LDSByteSize: 0 bytes/workgroup (compile time only)
; SGPRBlocks: 0
; VGPRBlocks: 0
; NumSGPRsForWavesPerEU: 1
; NumVGPRsForWavesPerEU: 1
; Occupancy: 16
; WaveLimiterHint : 0
; COMPUTE_PGM_RSRC2:SCRATCH_EN: 0
; COMPUTE_PGM_RSRC2:USER_SGPR: 15
; COMPUTE_PGM_RSRC2:TRAP_HANDLER: 0
; COMPUTE_PGM_RSRC2:TGID_X_EN: 1
; COMPUTE_PGM_RSRC2:TGID_Y_EN: 0
; COMPUTE_PGM_RSRC2:TGID_Z_EN: 0
; COMPUTE_PGM_RSRC2:TIDIG_COMP_CNT: 0
	.section	.text._ZN7rocprim17ROCPRIM_400000_NS6detail17trampoline_kernelINS0_14default_configENS1_35adjacent_difference_config_selectorILb1EfEEZNS1_24adjacent_difference_implIS3_Lb1ELb0EPfN6thrust23THRUST_200600_302600_NS16discard_iteratorINS9_11use_defaultEEENS9_5minusIfEEEE10hipError_tPvRmT2_T3_mT4_P12ihipStream_tbEUlT_E_NS1_11comp_targetILNS1_3genE3ELNS1_11target_archE908ELNS1_3gpuE7ELNS1_3repE0EEENS1_30default_config_static_selectorELNS0_4arch9wavefront6targetE0EEEvT1_,"axG",@progbits,_ZN7rocprim17ROCPRIM_400000_NS6detail17trampoline_kernelINS0_14default_configENS1_35adjacent_difference_config_selectorILb1EfEEZNS1_24adjacent_difference_implIS3_Lb1ELb0EPfN6thrust23THRUST_200600_302600_NS16discard_iteratorINS9_11use_defaultEEENS9_5minusIfEEEE10hipError_tPvRmT2_T3_mT4_P12ihipStream_tbEUlT_E_NS1_11comp_targetILNS1_3genE3ELNS1_11target_archE908ELNS1_3gpuE7ELNS1_3repE0EEENS1_30default_config_static_selectorELNS0_4arch9wavefront6targetE0EEEvT1_,comdat
	.protected	_ZN7rocprim17ROCPRIM_400000_NS6detail17trampoline_kernelINS0_14default_configENS1_35adjacent_difference_config_selectorILb1EfEEZNS1_24adjacent_difference_implIS3_Lb1ELb0EPfN6thrust23THRUST_200600_302600_NS16discard_iteratorINS9_11use_defaultEEENS9_5minusIfEEEE10hipError_tPvRmT2_T3_mT4_P12ihipStream_tbEUlT_E_NS1_11comp_targetILNS1_3genE3ELNS1_11target_archE908ELNS1_3gpuE7ELNS1_3repE0EEENS1_30default_config_static_selectorELNS0_4arch9wavefront6targetE0EEEvT1_ ; -- Begin function _ZN7rocprim17ROCPRIM_400000_NS6detail17trampoline_kernelINS0_14default_configENS1_35adjacent_difference_config_selectorILb1EfEEZNS1_24adjacent_difference_implIS3_Lb1ELb0EPfN6thrust23THRUST_200600_302600_NS16discard_iteratorINS9_11use_defaultEEENS9_5minusIfEEEE10hipError_tPvRmT2_T3_mT4_P12ihipStream_tbEUlT_E_NS1_11comp_targetILNS1_3genE3ELNS1_11target_archE908ELNS1_3gpuE7ELNS1_3repE0EEENS1_30default_config_static_selectorELNS0_4arch9wavefront6targetE0EEEvT1_
	.globl	_ZN7rocprim17ROCPRIM_400000_NS6detail17trampoline_kernelINS0_14default_configENS1_35adjacent_difference_config_selectorILb1EfEEZNS1_24adjacent_difference_implIS3_Lb1ELb0EPfN6thrust23THRUST_200600_302600_NS16discard_iteratorINS9_11use_defaultEEENS9_5minusIfEEEE10hipError_tPvRmT2_T3_mT4_P12ihipStream_tbEUlT_E_NS1_11comp_targetILNS1_3genE3ELNS1_11target_archE908ELNS1_3gpuE7ELNS1_3repE0EEENS1_30default_config_static_selectorELNS0_4arch9wavefront6targetE0EEEvT1_
	.p2align	8
	.type	_ZN7rocprim17ROCPRIM_400000_NS6detail17trampoline_kernelINS0_14default_configENS1_35adjacent_difference_config_selectorILb1EfEEZNS1_24adjacent_difference_implIS3_Lb1ELb0EPfN6thrust23THRUST_200600_302600_NS16discard_iteratorINS9_11use_defaultEEENS9_5minusIfEEEE10hipError_tPvRmT2_T3_mT4_P12ihipStream_tbEUlT_E_NS1_11comp_targetILNS1_3genE3ELNS1_11target_archE908ELNS1_3gpuE7ELNS1_3repE0EEENS1_30default_config_static_selectorELNS0_4arch9wavefront6targetE0EEEvT1_,@function
_ZN7rocprim17ROCPRIM_400000_NS6detail17trampoline_kernelINS0_14default_configENS1_35adjacent_difference_config_selectorILb1EfEEZNS1_24adjacent_difference_implIS3_Lb1ELb0EPfN6thrust23THRUST_200600_302600_NS16discard_iteratorINS9_11use_defaultEEENS9_5minusIfEEEE10hipError_tPvRmT2_T3_mT4_P12ihipStream_tbEUlT_E_NS1_11comp_targetILNS1_3genE3ELNS1_11target_archE908ELNS1_3gpuE7ELNS1_3repE0EEENS1_30default_config_static_selectorELNS0_4arch9wavefront6targetE0EEEvT1_: ; @_ZN7rocprim17ROCPRIM_400000_NS6detail17trampoline_kernelINS0_14default_configENS1_35adjacent_difference_config_selectorILb1EfEEZNS1_24adjacent_difference_implIS3_Lb1ELb0EPfN6thrust23THRUST_200600_302600_NS16discard_iteratorINS9_11use_defaultEEENS9_5minusIfEEEE10hipError_tPvRmT2_T3_mT4_P12ihipStream_tbEUlT_E_NS1_11comp_targetILNS1_3genE3ELNS1_11target_archE908ELNS1_3gpuE7ELNS1_3repE0EEENS1_30default_config_static_selectorELNS0_4arch9wavefront6targetE0EEEvT1_
; %bb.0:
	.section	.rodata,"a",@progbits
	.p2align	6, 0x0
	.amdhsa_kernel _ZN7rocprim17ROCPRIM_400000_NS6detail17trampoline_kernelINS0_14default_configENS1_35adjacent_difference_config_selectorILb1EfEEZNS1_24adjacent_difference_implIS3_Lb1ELb0EPfN6thrust23THRUST_200600_302600_NS16discard_iteratorINS9_11use_defaultEEENS9_5minusIfEEEE10hipError_tPvRmT2_T3_mT4_P12ihipStream_tbEUlT_E_NS1_11comp_targetILNS1_3genE3ELNS1_11target_archE908ELNS1_3gpuE7ELNS1_3repE0EEENS1_30default_config_static_selectorELNS0_4arch9wavefront6targetE0EEEvT1_
		.amdhsa_group_segment_fixed_size 0
		.amdhsa_private_segment_fixed_size 0
		.amdhsa_kernarg_size 64
		.amdhsa_user_sgpr_count 15
		.amdhsa_user_sgpr_dispatch_ptr 0
		.amdhsa_user_sgpr_queue_ptr 0
		.amdhsa_user_sgpr_kernarg_segment_ptr 1
		.amdhsa_user_sgpr_dispatch_id 0
		.amdhsa_user_sgpr_private_segment_size 0
		.amdhsa_wavefront_size32 1
		.amdhsa_uses_dynamic_stack 0
		.amdhsa_enable_private_segment 0
		.amdhsa_system_sgpr_workgroup_id_x 1
		.amdhsa_system_sgpr_workgroup_id_y 0
		.amdhsa_system_sgpr_workgroup_id_z 0
		.amdhsa_system_sgpr_workgroup_info 0
		.amdhsa_system_vgpr_workitem_id 0
		.amdhsa_next_free_vgpr 1
		.amdhsa_next_free_sgpr 1
		.amdhsa_reserve_vcc 0
		.amdhsa_float_round_mode_32 0
		.amdhsa_float_round_mode_16_64 0
		.amdhsa_float_denorm_mode_32 3
		.amdhsa_float_denorm_mode_16_64 3
		.amdhsa_dx10_clamp 1
		.amdhsa_ieee_mode 1
		.amdhsa_fp16_overflow 0
		.amdhsa_workgroup_processor_mode 1
		.amdhsa_memory_ordered 1
		.amdhsa_forward_progress 0
		.amdhsa_shared_vgpr_count 0
		.amdhsa_exception_fp_ieee_invalid_op 0
		.amdhsa_exception_fp_denorm_src 0
		.amdhsa_exception_fp_ieee_div_zero 0
		.amdhsa_exception_fp_ieee_overflow 0
		.amdhsa_exception_fp_ieee_underflow 0
		.amdhsa_exception_fp_ieee_inexact 0
		.amdhsa_exception_int_div_zero 0
	.end_amdhsa_kernel
	.section	.text._ZN7rocprim17ROCPRIM_400000_NS6detail17trampoline_kernelINS0_14default_configENS1_35adjacent_difference_config_selectorILb1EfEEZNS1_24adjacent_difference_implIS3_Lb1ELb0EPfN6thrust23THRUST_200600_302600_NS16discard_iteratorINS9_11use_defaultEEENS9_5minusIfEEEE10hipError_tPvRmT2_T3_mT4_P12ihipStream_tbEUlT_E_NS1_11comp_targetILNS1_3genE3ELNS1_11target_archE908ELNS1_3gpuE7ELNS1_3repE0EEENS1_30default_config_static_selectorELNS0_4arch9wavefront6targetE0EEEvT1_,"axG",@progbits,_ZN7rocprim17ROCPRIM_400000_NS6detail17trampoline_kernelINS0_14default_configENS1_35adjacent_difference_config_selectorILb1EfEEZNS1_24adjacent_difference_implIS3_Lb1ELb0EPfN6thrust23THRUST_200600_302600_NS16discard_iteratorINS9_11use_defaultEEENS9_5minusIfEEEE10hipError_tPvRmT2_T3_mT4_P12ihipStream_tbEUlT_E_NS1_11comp_targetILNS1_3genE3ELNS1_11target_archE908ELNS1_3gpuE7ELNS1_3repE0EEENS1_30default_config_static_selectorELNS0_4arch9wavefront6targetE0EEEvT1_,comdat
.Lfunc_end803:
	.size	_ZN7rocprim17ROCPRIM_400000_NS6detail17trampoline_kernelINS0_14default_configENS1_35adjacent_difference_config_selectorILb1EfEEZNS1_24adjacent_difference_implIS3_Lb1ELb0EPfN6thrust23THRUST_200600_302600_NS16discard_iteratorINS9_11use_defaultEEENS9_5minusIfEEEE10hipError_tPvRmT2_T3_mT4_P12ihipStream_tbEUlT_E_NS1_11comp_targetILNS1_3genE3ELNS1_11target_archE908ELNS1_3gpuE7ELNS1_3repE0EEENS1_30default_config_static_selectorELNS0_4arch9wavefront6targetE0EEEvT1_, .Lfunc_end803-_ZN7rocprim17ROCPRIM_400000_NS6detail17trampoline_kernelINS0_14default_configENS1_35adjacent_difference_config_selectorILb1EfEEZNS1_24adjacent_difference_implIS3_Lb1ELb0EPfN6thrust23THRUST_200600_302600_NS16discard_iteratorINS9_11use_defaultEEENS9_5minusIfEEEE10hipError_tPvRmT2_T3_mT4_P12ihipStream_tbEUlT_E_NS1_11comp_targetILNS1_3genE3ELNS1_11target_archE908ELNS1_3gpuE7ELNS1_3repE0EEENS1_30default_config_static_selectorELNS0_4arch9wavefront6targetE0EEEvT1_
                                        ; -- End function
	.section	.AMDGPU.csdata,"",@progbits
; Kernel info:
; codeLenInByte = 0
; NumSgprs: 0
; NumVgprs: 0
; ScratchSize: 0
; MemoryBound: 0
; FloatMode: 240
; IeeeMode: 1
; LDSByteSize: 0 bytes/workgroup (compile time only)
; SGPRBlocks: 0
; VGPRBlocks: 0
; NumSGPRsForWavesPerEU: 1
; NumVGPRsForWavesPerEU: 1
; Occupancy: 16
; WaveLimiterHint : 0
; COMPUTE_PGM_RSRC2:SCRATCH_EN: 0
; COMPUTE_PGM_RSRC2:USER_SGPR: 15
; COMPUTE_PGM_RSRC2:TRAP_HANDLER: 0
; COMPUTE_PGM_RSRC2:TGID_X_EN: 1
; COMPUTE_PGM_RSRC2:TGID_Y_EN: 0
; COMPUTE_PGM_RSRC2:TGID_Z_EN: 0
; COMPUTE_PGM_RSRC2:TIDIG_COMP_CNT: 0
	.section	.text._ZN7rocprim17ROCPRIM_400000_NS6detail17trampoline_kernelINS0_14default_configENS1_35adjacent_difference_config_selectorILb1EfEEZNS1_24adjacent_difference_implIS3_Lb1ELb0EPfN6thrust23THRUST_200600_302600_NS16discard_iteratorINS9_11use_defaultEEENS9_5minusIfEEEE10hipError_tPvRmT2_T3_mT4_P12ihipStream_tbEUlT_E_NS1_11comp_targetILNS1_3genE2ELNS1_11target_archE906ELNS1_3gpuE6ELNS1_3repE0EEENS1_30default_config_static_selectorELNS0_4arch9wavefront6targetE0EEEvT1_,"axG",@progbits,_ZN7rocprim17ROCPRIM_400000_NS6detail17trampoline_kernelINS0_14default_configENS1_35adjacent_difference_config_selectorILb1EfEEZNS1_24adjacent_difference_implIS3_Lb1ELb0EPfN6thrust23THRUST_200600_302600_NS16discard_iteratorINS9_11use_defaultEEENS9_5minusIfEEEE10hipError_tPvRmT2_T3_mT4_P12ihipStream_tbEUlT_E_NS1_11comp_targetILNS1_3genE2ELNS1_11target_archE906ELNS1_3gpuE6ELNS1_3repE0EEENS1_30default_config_static_selectorELNS0_4arch9wavefront6targetE0EEEvT1_,comdat
	.protected	_ZN7rocprim17ROCPRIM_400000_NS6detail17trampoline_kernelINS0_14default_configENS1_35adjacent_difference_config_selectorILb1EfEEZNS1_24adjacent_difference_implIS3_Lb1ELb0EPfN6thrust23THRUST_200600_302600_NS16discard_iteratorINS9_11use_defaultEEENS9_5minusIfEEEE10hipError_tPvRmT2_T3_mT4_P12ihipStream_tbEUlT_E_NS1_11comp_targetILNS1_3genE2ELNS1_11target_archE906ELNS1_3gpuE6ELNS1_3repE0EEENS1_30default_config_static_selectorELNS0_4arch9wavefront6targetE0EEEvT1_ ; -- Begin function _ZN7rocprim17ROCPRIM_400000_NS6detail17trampoline_kernelINS0_14default_configENS1_35adjacent_difference_config_selectorILb1EfEEZNS1_24adjacent_difference_implIS3_Lb1ELb0EPfN6thrust23THRUST_200600_302600_NS16discard_iteratorINS9_11use_defaultEEENS9_5minusIfEEEE10hipError_tPvRmT2_T3_mT4_P12ihipStream_tbEUlT_E_NS1_11comp_targetILNS1_3genE2ELNS1_11target_archE906ELNS1_3gpuE6ELNS1_3repE0EEENS1_30default_config_static_selectorELNS0_4arch9wavefront6targetE0EEEvT1_
	.globl	_ZN7rocprim17ROCPRIM_400000_NS6detail17trampoline_kernelINS0_14default_configENS1_35adjacent_difference_config_selectorILb1EfEEZNS1_24adjacent_difference_implIS3_Lb1ELb0EPfN6thrust23THRUST_200600_302600_NS16discard_iteratorINS9_11use_defaultEEENS9_5minusIfEEEE10hipError_tPvRmT2_T3_mT4_P12ihipStream_tbEUlT_E_NS1_11comp_targetILNS1_3genE2ELNS1_11target_archE906ELNS1_3gpuE6ELNS1_3repE0EEENS1_30default_config_static_selectorELNS0_4arch9wavefront6targetE0EEEvT1_
	.p2align	8
	.type	_ZN7rocprim17ROCPRIM_400000_NS6detail17trampoline_kernelINS0_14default_configENS1_35adjacent_difference_config_selectorILb1EfEEZNS1_24adjacent_difference_implIS3_Lb1ELb0EPfN6thrust23THRUST_200600_302600_NS16discard_iteratorINS9_11use_defaultEEENS9_5minusIfEEEE10hipError_tPvRmT2_T3_mT4_P12ihipStream_tbEUlT_E_NS1_11comp_targetILNS1_3genE2ELNS1_11target_archE906ELNS1_3gpuE6ELNS1_3repE0EEENS1_30default_config_static_selectorELNS0_4arch9wavefront6targetE0EEEvT1_,@function
_ZN7rocprim17ROCPRIM_400000_NS6detail17trampoline_kernelINS0_14default_configENS1_35adjacent_difference_config_selectorILb1EfEEZNS1_24adjacent_difference_implIS3_Lb1ELb0EPfN6thrust23THRUST_200600_302600_NS16discard_iteratorINS9_11use_defaultEEENS9_5minusIfEEEE10hipError_tPvRmT2_T3_mT4_P12ihipStream_tbEUlT_E_NS1_11comp_targetILNS1_3genE2ELNS1_11target_archE906ELNS1_3gpuE6ELNS1_3repE0EEENS1_30default_config_static_selectorELNS0_4arch9wavefront6targetE0EEEvT1_: ; @_ZN7rocprim17ROCPRIM_400000_NS6detail17trampoline_kernelINS0_14default_configENS1_35adjacent_difference_config_selectorILb1EfEEZNS1_24adjacent_difference_implIS3_Lb1ELb0EPfN6thrust23THRUST_200600_302600_NS16discard_iteratorINS9_11use_defaultEEENS9_5minusIfEEEE10hipError_tPvRmT2_T3_mT4_P12ihipStream_tbEUlT_E_NS1_11comp_targetILNS1_3genE2ELNS1_11target_archE906ELNS1_3gpuE6ELNS1_3repE0EEENS1_30default_config_static_selectorELNS0_4arch9wavefront6targetE0EEEvT1_
; %bb.0:
	.section	.rodata,"a",@progbits
	.p2align	6, 0x0
	.amdhsa_kernel _ZN7rocprim17ROCPRIM_400000_NS6detail17trampoline_kernelINS0_14default_configENS1_35adjacent_difference_config_selectorILb1EfEEZNS1_24adjacent_difference_implIS3_Lb1ELb0EPfN6thrust23THRUST_200600_302600_NS16discard_iteratorINS9_11use_defaultEEENS9_5minusIfEEEE10hipError_tPvRmT2_T3_mT4_P12ihipStream_tbEUlT_E_NS1_11comp_targetILNS1_3genE2ELNS1_11target_archE906ELNS1_3gpuE6ELNS1_3repE0EEENS1_30default_config_static_selectorELNS0_4arch9wavefront6targetE0EEEvT1_
		.amdhsa_group_segment_fixed_size 0
		.amdhsa_private_segment_fixed_size 0
		.amdhsa_kernarg_size 64
		.amdhsa_user_sgpr_count 15
		.amdhsa_user_sgpr_dispatch_ptr 0
		.amdhsa_user_sgpr_queue_ptr 0
		.amdhsa_user_sgpr_kernarg_segment_ptr 1
		.amdhsa_user_sgpr_dispatch_id 0
		.amdhsa_user_sgpr_private_segment_size 0
		.amdhsa_wavefront_size32 1
		.amdhsa_uses_dynamic_stack 0
		.amdhsa_enable_private_segment 0
		.amdhsa_system_sgpr_workgroup_id_x 1
		.amdhsa_system_sgpr_workgroup_id_y 0
		.amdhsa_system_sgpr_workgroup_id_z 0
		.amdhsa_system_sgpr_workgroup_info 0
		.amdhsa_system_vgpr_workitem_id 0
		.amdhsa_next_free_vgpr 1
		.amdhsa_next_free_sgpr 1
		.amdhsa_reserve_vcc 0
		.amdhsa_float_round_mode_32 0
		.amdhsa_float_round_mode_16_64 0
		.amdhsa_float_denorm_mode_32 3
		.amdhsa_float_denorm_mode_16_64 3
		.amdhsa_dx10_clamp 1
		.amdhsa_ieee_mode 1
		.amdhsa_fp16_overflow 0
		.amdhsa_workgroup_processor_mode 1
		.amdhsa_memory_ordered 1
		.amdhsa_forward_progress 0
		.amdhsa_shared_vgpr_count 0
		.amdhsa_exception_fp_ieee_invalid_op 0
		.amdhsa_exception_fp_denorm_src 0
		.amdhsa_exception_fp_ieee_div_zero 0
		.amdhsa_exception_fp_ieee_overflow 0
		.amdhsa_exception_fp_ieee_underflow 0
		.amdhsa_exception_fp_ieee_inexact 0
		.amdhsa_exception_int_div_zero 0
	.end_amdhsa_kernel
	.section	.text._ZN7rocprim17ROCPRIM_400000_NS6detail17trampoline_kernelINS0_14default_configENS1_35adjacent_difference_config_selectorILb1EfEEZNS1_24adjacent_difference_implIS3_Lb1ELb0EPfN6thrust23THRUST_200600_302600_NS16discard_iteratorINS9_11use_defaultEEENS9_5minusIfEEEE10hipError_tPvRmT2_T3_mT4_P12ihipStream_tbEUlT_E_NS1_11comp_targetILNS1_3genE2ELNS1_11target_archE906ELNS1_3gpuE6ELNS1_3repE0EEENS1_30default_config_static_selectorELNS0_4arch9wavefront6targetE0EEEvT1_,"axG",@progbits,_ZN7rocprim17ROCPRIM_400000_NS6detail17trampoline_kernelINS0_14default_configENS1_35adjacent_difference_config_selectorILb1EfEEZNS1_24adjacent_difference_implIS3_Lb1ELb0EPfN6thrust23THRUST_200600_302600_NS16discard_iteratorINS9_11use_defaultEEENS9_5minusIfEEEE10hipError_tPvRmT2_T3_mT4_P12ihipStream_tbEUlT_E_NS1_11comp_targetILNS1_3genE2ELNS1_11target_archE906ELNS1_3gpuE6ELNS1_3repE0EEENS1_30default_config_static_selectorELNS0_4arch9wavefront6targetE0EEEvT1_,comdat
.Lfunc_end804:
	.size	_ZN7rocprim17ROCPRIM_400000_NS6detail17trampoline_kernelINS0_14default_configENS1_35adjacent_difference_config_selectorILb1EfEEZNS1_24adjacent_difference_implIS3_Lb1ELb0EPfN6thrust23THRUST_200600_302600_NS16discard_iteratorINS9_11use_defaultEEENS9_5minusIfEEEE10hipError_tPvRmT2_T3_mT4_P12ihipStream_tbEUlT_E_NS1_11comp_targetILNS1_3genE2ELNS1_11target_archE906ELNS1_3gpuE6ELNS1_3repE0EEENS1_30default_config_static_selectorELNS0_4arch9wavefront6targetE0EEEvT1_, .Lfunc_end804-_ZN7rocprim17ROCPRIM_400000_NS6detail17trampoline_kernelINS0_14default_configENS1_35adjacent_difference_config_selectorILb1EfEEZNS1_24adjacent_difference_implIS3_Lb1ELb0EPfN6thrust23THRUST_200600_302600_NS16discard_iteratorINS9_11use_defaultEEENS9_5minusIfEEEE10hipError_tPvRmT2_T3_mT4_P12ihipStream_tbEUlT_E_NS1_11comp_targetILNS1_3genE2ELNS1_11target_archE906ELNS1_3gpuE6ELNS1_3repE0EEENS1_30default_config_static_selectorELNS0_4arch9wavefront6targetE0EEEvT1_
                                        ; -- End function
	.section	.AMDGPU.csdata,"",@progbits
; Kernel info:
; codeLenInByte = 0
; NumSgprs: 0
; NumVgprs: 0
; ScratchSize: 0
; MemoryBound: 0
; FloatMode: 240
; IeeeMode: 1
; LDSByteSize: 0 bytes/workgroup (compile time only)
; SGPRBlocks: 0
; VGPRBlocks: 0
; NumSGPRsForWavesPerEU: 1
; NumVGPRsForWavesPerEU: 1
; Occupancy: 16
; WaveLimiterHint : 0
; COMPUTE_PGM_RSRC2:SCRATCH_EN: 0
; COMPUTE_PGM_RSRC2:USER_SGPR: 15
; COMPUTE_PGM_RSRC2:TRAP_HANDLER: 0
; COMPUTE_PGM_RSRC2:TGID_X_EN: 1
; COMPUTE_PGM_RSRC2:TGID_Y_EN: 0
; COMPUTE_PGM_RSRC2:TGID_Z_EN: 0
; COMPUTE_PGM_RSRC2:TIDIG_COMP_CNT: 0
	.section	.text._ZN7rocprim17ROCPRIM_400000_NS6detail17trampoline_kernelINS0_14default_configENS1_35adjacent_difference_config_selectorILb1EfEEZNS1_24adjacent_difference_implIS3_Lb1ELb0EPfN6thrust23THRUST_200600_302600_NS16discard_iteratorINS9_11use_defaultEEENS9_5minusIfEEEE10hipError_tPvRmT2_T3_mT4_P12ihipStream_tbEUlT_E_NS1_11comp_targetILNS1_3genE9ELNS1_11target_archE1100ELNS1_3gpuE3ELNS1_3repE0EEENS1_30default_config_static_selectorELNS0_4arch9wavefront6targetE0EEEvT1_,"axG",@progbits,_ZN7rocprim17ROCPRIM_400000_NS6detail17trampoline_kernelINS0_14default_configENS1_35adjacent_difference_config_selectorILb1EfEEZNS1_24adjacent_difference_implIS3_Lb1ELb0EPfN6thrust23THRUST_200600_302600_NS16discard_iteratorINS9_11use_defaultEEENS9_5minusIfEEEE10hipError_tPvRmT2_T3_mT4_P12ihipStream_tbEUlT_E_NS1_11comp_targetILNS1_3genE9ELNS1_11target_archE1100ELNS1_3gpuE3ELNS1_3repE0EEENS1_30default_config_static_selectorELNS0_4arch9wavefront6targetE0EEEvT1_,comdat
	.protected	_ZN7rocprim17ROCPRIM_400000_NS6detail17trampoline_kernelINS0_14default_configENS1_35adjacent_difference_config_selectorILb1EfEEZNS1_24adjacent_difference_implIS3_Lb1ELb0EPfN6thrust23THRUST_200600_302600_NS16discard_iteratorINS9_11use_defaultEEENS9_5minusIfEEEE10hipError_tPvRmT2_T3_mT4_P12ihipStream_tbEUlT_E_NS1_11comp_targetILNS1_3genE9ELNS1_11target_archE1100ELNS1_3gpuE3ELNS1_3repE0EEENS1_30default_config_static_selectorELNS0_4arch9wavefront6targetE0EEEvT1_ ; -- Begin function _ZN7rocprim17ROCPRIM_400000_NS6detail17trampoline_kernelINS0_14default_configENS1_35adjacent_difference_config_selectorILb1EfEEZNS1_24adjacent_difference_implIS3_Lb1ELb0EPfN6thrust23THRUST_200600_302600_NS16discard_iteratorINS9_11use_defaultEEENS9_5minusIfEEEE10hipError_tPvRmT2_T3_mT4_P12ihipStream_tbEUlT_E_NS1_11comp_targetILNS1_3genE9ELNS1_11target_archE1100ELNS1_3gpuE3ELNS1_3repE0EEENS1_30default_config_static_selectorELNS0_4arch9wavefront6targetE0EEEvT1_
	.globl	_ZN7rocprim17ROCPRIM_400000_NS6detail17trampoline_kernelINS0_14default_configENS1_35adjacent_difference_config_selectorILb1EfEEZNS1_24adjacent_difference_implIS3_Lb1ELb0EPfN6thrust23THRUST_200600_302600_NS16discard_iteratorINS9_11use_defaultEEENS9_5minusIfEEEE10hipError_tPvRmT2_T3_mT4_P12ihipStream_tbEUlT_E_NS1_11comp_targetILNS1_3genE9ELNS1_11target_archE1100ELNS1_3gpuE3ELNS1_3repE0EEENS1_30default_config_static_selectorELNS0_4arch9wavefront6targetE0EEEvT1_
	.p2align	8
	.type	_ZN7rocprim17ROCPRIM_400000_NS6detail17trampoline_kernelINS0_14default_configENS1_35adjacent_difference_config_selectorILb1EfEEZNS1_24adjacent_difference_implIS3_Lb1ELb0EPfN6thrust23THRUST_200600_302600_NS16discard_iteratorINS9_11use_defaultEEENS9_5minusIfEEEE10hipError_tPvRmT2_T3_mT4_P12ihipStream_tbEUlT_E_NS1_11comp_targetILNS1_3genE9ELNS1_11target_archE1100ELNS1_3gpuE3ELNS1_3repE0EEENS1_30default_config_static_selectorELNS0_4arch9wavefront6targetE0EEEvT1_,@function
_ZN7rocprim17ROCPRIM_400000_NS6detail17trampoline_kernelINS0_14default_configENS1_35adjacent_difference_config_selectorILb1EfEEZNS1_24adjacent_difference_implIS3_Lb1ELb0EPfN6thrust23THRUST_200600_302600_NS16discard_iteratorINS9_11use_defaultEEENS9_5minusIfEEEE10hipError_tPvRmT2_T3_mT4_P12ihipStream_tbEUlT_E_NS1_11comp_targetILNS1_3genE9ELNS1_11target_archE1100ELNS1_3gpuE3ELNS1_3repE0EEENS1_30default_config_static_selectorELNS0_4arch9wavefront6targetE0EEEvT1_: ; @_ZN7rocprim17ROCPRIM_400000_NS6detail17trampoline_kernelINS0_14default_configENS1_35adjacent_difference_config_selectorILb1EfEEZNS1_24adjacent_difference_implIS3_Lb1ELb0EPfN6thrust23THRUST_200600_302600_NS16discard_iteratorINS9_11use_defaultEEENS9_5minusIfEEEE10hipError_tPvRmT2_T3_mT4_P12ihipStream_tbEUlT_E_NS1_11comp_targetILNS1_3genE9ELNS1_11target_archE1100ELNS1_3gpuE3ELNS1_3repE0EEENS1_30default_config_static_selectorELNS0_4arch9wavefront6targetE0EEEvT1_
; %bb.0:
	s_clause 0x1
	s_load_b128 s[4:7], s[0:1], 0x0
	s_load_b64 s[30:31], s[0:1], 0x20
	s_mov_b32 s8, s15
	s_waitcnt lgkmcnt(0)
	s_lshl_b64 s[2:3], s[6:7], 2
	s_mov_b32 s6, 0x411a7a30
	s_add_u32 s14, s4, s2
	s_addc_u32 s15, s5, s3
	s_add_u32 s2, 0x76, s6
	s_addc_u32 s3, 0, 0
	v_add_co_u32 v1, s2, 0x20000000, s2
	s_delay_alu instid0(VALU_DEP_1) | instskip(SKIP_1) | instid1(VALU_DEP_1)
	s_cmp_lg_u32 s2, 0
	s_addc_u32 s3, s3, 0x11a7b9
	v_readfirstlane_b32 s2, v1
	s_mul_i32 s4, s3, 0xfffff180
	s_delay_alu instid0(VALU_DEP_1)
	s_mul_hi_u32 s5, s2, 0xfffff180
	s_mul_i32 s6, s2, 0xfffff180
	s_sub_i32 s5, s5, s2
	s_mul_hi_u32 s7, s2, s6
	s_add_i32 s5, s5, s4
	s_mul_hi_u32 s9, s3, s6
	s_mul_i32 s4, s3, s6
	s_mul_hi_u32 s6, s2, s5
	s_mul_i32 s2, s2, s5
	s_mul_hi_u32 s10, s3, s5
	s_add_u32 s2, s7, s2
	s_addc_u32 s6, 0, s6
	s_add_u32 s2, s2, s4
	s_mul_i32 s5, s3, s5
	s_addc_u32 s2, s6, s9
	s_addc_u32 s4, s10, 0
	s_add_u32 s2, s2, s5
	s_addc_u32 s4, 0, s4
	v_add_co_u32 v1, s2, v1, s2
	s_delay_alu instid0(VALU_DEP_1) | instskip(SKIP_1) | instid1(VALU_DEP_1)
	s_cmp_lg_u32 s2, 0
	s_addc_u32 s2, s3, s4
	v_readfirstlane_b32 s3, v1
	s_mul_i32 s5, s30, s2
	s_mul_hi_u32 s4, s30, s2
	s_mul_hi_u32 s6, s31, s2
	s_mul_i32 s2, s31, s2
	s_mul_hi_u32 s7, s30, s3
	s_mul_hi_u32 s9, s31, s3
	s_mul_i32 s3, s31, s3
	s_add_u32 s5, s7, s5
	s_addc_u32 s4, 0, s4
	s_add_u32 s3, s5, s3
	s_addc_u32 s3, s4, s9
	s_addc_u32 s4, s6, 0
	s_add_u32 s2, s3, s2
	s_addc_u32 s3, 0, s4
	s_mul_i32 s5, s2, 0xe80
	s_add_u32 s4, s2, 1
	v_sub_co_u32 v1, s5, s30, s5
	s_mul_hi_u32 s6, s2, 0xe80
	s_addc_u32 s7, s3, 0
	s_mul_i32 s9, s3, 0xe80
	s_delay_alu instid0(VALU_DEP_1)
	v_subrev_co_u32 v2, s10, 0xe80, v1
	s_add_u32 s11, s2, 2
	s_addc_u32 s12, s3, 0
	s_add_i32 s6, s6, s9
	s_cmp_lg_u32 s5, 0
	v_readfirstlane_b32 s5, v2
	s_subb_u32 s6, s31, s6
	s_cmp_lg_u32 s10, 0
	s_subb_u32 s9, s6, 0
	s_delay_alu instid0(VALU_DEP_1) | instskip(SKIP_4) | instid1(SALU_CYCLE_1)
	s_cmpk_gt_u32 s5, 0xe7f
	s_cselect_b32 s5, -1, 0
	s_cmp_eq_u32 s9, 0
	v_readfirstlane_b32 s9, v1
	s_cselect_b32 s5, s5, -1
	s_cmp_lg_u32 s5, 0
	s_cselect_b32 s10, s11, s4
	s_cselect_b32 s11, s12, s7
	s_cmpk_gt_u32 s9, 0xe7f
	s_cselect_b32 s4, -1, 0
	s_cmp_eq_u32 s6, 0
	s_cselect_b32 s4, s4, -1
	s_delay_alu instid0(SALU_CYCLE_1)
	s_cmp_lg_u32 s4, 0
	s_load_b128 s[4:7], s[0:1], 0x30
	s_cselect_b32 s3, s11, s3
	s_cselect_b32 s2, s10, s2
	s_mul_i32 s0, s3, 0xe80
	s_mul_hi_u32 s1, s2, 0xe80
	s_mul_i32 s9, s2, 0xe80
	s_add_i32 s1, s1, s0
	s_sub_u32 s0, s30, s9
	s_subb_u32 s1, s31, s1
	s_mul_i32 s10, s8, 0xe80
	s_cmp_lg_u64 s[0:1], 0
	s_mov_b32 s9, 0
	s_cselect_b32 s0, -1, 0
	s_mov_b32 s1, -1
	v_cndmask_b32_e64 v1, 0, 1, s0
	s_delay_alu instid0(VALU_DEP_1) | instskip(NEXT) | instid1(VALU_DEP_1)
	v_add_co_u32 v1, s0, s2, v1
	v_add_co_ci_u32_e64 v2, null, s3, 0, s0
	s_waitcnt lgkmcnt(0)
	s_add_u32 s2, s6, s8
	s_delay_alu instid0(VALU_DEP_2) | instskip(NEXT) | instid1(VALU_DEP_2)
	v_add_co_u32 v31, vcc_lo, v1, -1
	v_add_co_ci_u32_e32 v32, vcc_lo, -1, v2, vcc_lo
	s_addc_u32 s3, s7, 0
	s_delay_alu instid0(VALU_DEP_1) | instid1(SALU_CYCLE_1)
	v_cmp_ge_u64_e64 s0, s[2:3], v[31:32]
	s_delay_alu instid0(VALU_DEP_1)
	s_and_b32 vcc_lo, exec_lo, s0
	s_cbranch_vccz .LBB805_60
; %bb.1:
	v_mul_lo_u32 v3, 0xfffff180, v31
	s_mov_b32 s11, s9
	s_mov_b32 s1, exec_lo
	s_lshl_b64 s[12:13], s[10:11], 2
	s_delay_alu instid0(SALU_CYCLE_1) | instskip(SKIP_1) | instid1(VALU_DEP_1)
	s_add_u32 s12, s14, s12
	s_addc_u32 s13, s15, s13
	v_add_nc_u32_e32 v4, s30, v3
                                        ; implicit-def: $vgpr3
	s_delay_alu instid0(VALU_DEP_1)
	v_cmpx_lt_u32_e64 v0, v4
	s_cbranch_execz .LBB805_3
; %bb.2:
	v_lshlrev_b32_e32 v3, 2, v0
	global_load_b32 v3, v3, s[12:13]
.LBB805_3:
	s_or_b32 exec_lo, exec_lo, s1
	v_or_b32_e32 v5, 0x80, v0
	s_delay_alu instid0(VALU_DEP_1)
	v_cmp_lt_u32_e32 vcc_lo, v5, v4
                                        ; implicit-def: $vgpr5
	s_and_saveexec_b32 s1, vcc_lo
	s_cbranch_execz .LBB805_5
; %bb.4:
	v_lshlrev_b32_e32 v5, 2, v0
	global_load_b32 v5, v5, s[12:13] offset:512
.LBB805_5:
	s_or_b32 exec_lo, exec_lo, s1
	v_or_b32_e32 v6, 0x100, v0
	s_delay_alu instid0(VALU_DEP_1)
	v_cmp_lt_u32_e32 vcc_lo, v6, v4
                                        ; implicit-def: $vgpr6
	s_and_saveexec_b32 s1, vcc_lo
	s_cbranch_execz .LBB805_7
; %bb.6:
	v_lshlrev_b32_e32 v6, 2, v0
	global_load_b32 v6, v6, s[12:13] offset:1024
.LBB805_7:
	s_or_b32 exec_lo, exec_lo, s1
	v_or_b32_e32 v7, 0x180, v0
	s_delay_alu instid0(VALU_DEP_1)
	v_cmp_lt_u32_e32 vcc_lo, v7, v4
                                        ; implicit-def: $vgpr7
	s_and_saveexec_b32 s1, vcc_lo
	s_cbranch_execz .LBB805_9
; %bb.8:
	v_lshlrev_b32_e32 v7, 2, v0
	global_load_b32 v7, v7, s[12:13] offset:1536
.LBB805_9:
	s_or_b32 exec_lo, exec_lo, s1
	v_or_b32_e32 v8, 0x200, v0
	s_delay_alu instid0(VALU_DEP_1)
	v_cmp_lt_u32_e32 vcc_lo, v8, v4
                                        ; implicit-def: $vgpr8
	s_and_saveexec_b32 s1, vcc_lo
	s_cbranch_execz .LBB805_11
; %bb.10:
	v_lshlrev_b32_e32 v8, 2, v0
	global_load_b32 v8, v8, s[12:13] offset:2048
.LBB805_11:
	s_or_b32 exec_lo, exec_lo, s1
	v_or_b32_e32 v9, 0x280, v0
	s_delay_alu instid0(VALU_DEP_1)
	v_cmp_lt_u32_e32 vcc_lo, v9, v4
                                        ; implicit-def: $vgpr9
	s_and_saveexec_b32 s1, vcc_lo
	s_cbranch_execz .LBB805_13
; %bb.12:
	v_lshlrev_b32_e32 v9, 2, v0
	global_load_b32 v9, v9, s[12:13] offset:2560
.LBB805_13:
	s_or_b32 exec_lo, exec_lo, s1
	v_or_b32_e32 v10, 0x300, v0
	s_delay_alu instid0(VALU_DEP_1)
	v_cmp_lt_u32_e32 vcc_lo, v10, v4
                                        ; implicit-def: $vgpr10
	s_and_saveexec_b32 s1, vcc_lo
	s_cbranch_execz .LBB805_15
; %bb.14:
	v_lshlrev_b32_e32 v10, 2, v0
	global_load_b32 v10, v10, s[12:13] offset:3072
.LBB805_15:
	s_or_b32 exec_lo, exec_lo, s1
	v_or_b32_e32 v11, 0x380, v0
	s_delay_alu instid0(VALU_DEP_1)
	v_cmp_lt_u32_e32 vcc_lo, v11, v4
                                        ; implicit-def: $vgpr11
	s_and_saveexec_b32 s1, vcc_lo
	s_cbranch_execz .LBB805_17
; %bb.16:
	v_lshlrev_b32_e32 v11, 2, v0
	global_load_b32 v11, v11, s[12:13] offset:3584
.LBB805_17:
	s_or_b32 exec_lo, exec_lo, s1
	v_or_b32_e32 v13, 0x400, v0
	s_mov_b32 s1, exec_lo
                                        ; implicit-def: $vgpr12
	s_delay_alu instid0(VALU_DEP_1)
	v_cmpx_lt_u32_e64 v13, v4
	s_cbranch_execz .LBB805_19
; %bb.18:
	v_lshlrev_b32_e32 v12, 2, v13
	global_load_b32 v12, v12, s[12:13]
.LBB805_19:
	s_or_b32 exec_lo, exec_lo, s1
	v_or_b32_e32 v14, 0x480, v0
	s_mov_b32 s1, exec_lo
                                        ; implicit-def: $vgpr13
	s_delay_alu instid0(VALU_DEP_1)
	v_cmpx_lt_u32_e64 v14, v4
	s_cbranch_execz .LBB805_21
; %bb.20:
	v_lshlrev_b32_e32 v13, 2, v14
	global_load_b32 v13, v13, s[12:13]
.LBB805_21:
	s_or_b32 exec_lo, exec_lo, s1
	v_or_b32_e32 v15, 0x500, v0
	s_mov_b32 s1, exec_lo
                                        ; implicit-def: $vgpr14
	s_delay_alu instid0(VALU_DEP_1)
	v_cmpx_lt_u32_e64 v15, v4
	s_cbranch_execz .LBB805_23
; %bb.22:
	v_lshlrev_b32_e32 v14, 2, v15
	global_load_b32 v14, v14, s[12:13]
.LBB805_23:
	s_or_b32 exec_lo, exec_lo, s1
	v_or_b32_e32 v16, 0x580, v0
	s_mov_b32 s1, exec_lo
                                        ; implicit-def: $vgpr15
	s_delay_alu instid0(VALU_DEP_1)
	v_cmpx_lt_u32_e64 v16, v4
	s_cbranch_execz .LBB805_25
; %bb.24:
	v_lshlrev_b32_e32 v15, 2, v16
	global_load_b32 v15, v15, s[12:13]
.LBB805_25:
	s_or_b32 exec_lo, exec_lo, s1
	v_or_b32_e32 v17, 0x600, v0
	s_mov_b32 s1, exec_lo
                                        ; implicit-def: $vgpr16
	s_delay_alu instid0(VALU_DEP_1)
	v_cmpx_lt_u32_e64 v17, v4
	s_cbranch_execz .LBB805_27
; %bb.26:
	v_lshlrev_b32_e32 v16, 2, v17
	global_load_b32 v16, v16, s[12:13]
.LBB805_27:
	s_or_b32 exec_lo, exec_lo, s1
	v_or_b32_e32 v18, 0x680, v0
	s_mov_b32 s1, exec_lo
                                        ; implicit-def: $vgpr17
	s_delay_alu instid0(VALU_DEP_1)
	v_cmpx_lt_u32_e64 v18, v4
	s_cbranch_execz .LBB805_29
; %bb.28:
	v_lshlrev_b32_e32 v17, 2, v18
	global_load_b32 v17, v17, s[12:13]
.LBB805_29:
	s_or_b32 exec_lo, exec_lo, s1
	v_or_b32_e32 v19, 0x700, v0
	s_mov_b32 s1, exec_lo
                                        ; implicit-def: $vgpr18
	s_delay_alu instid0(VALU_DEP_1)
	v_cmpx_lt_u32_e64 v19, v4
	s_cbranch_execz .LBB805_31
; %bb.30:
	v_lshlrev_b32_e32 v18, 2, v19
	global_load_b32 v18, v18, s[12:13]
.LBB805_31:
	s_or_b32 exec_lo, exec_lo, s1
	v_or_b32_e32 v20, 0x780, v0
	s_mov_b32 s1, exec_lo
                                        ; implicit-def: $vgpr19
	s_delay_alu instid0(VALU_DEP_1)
	v_cmpx_lt_u32_e64 v20, v4
	s_cbranch_execz .LBB805_33
; %bb.32:
	v_lshlrev_b32_e32 v19, 2, v20
	global_load_b32 v19, v19, s[12:13]
.LBB805_33:
	s_or_b32 exec_lo, exec_lo, s1
	v_or_b32_e32 v21, 0x800, v0
	s_mov_b32 s1, exec_lo
                                        ; implicit-def: $vgpr20
	s_delay_alu instid0(VALU_DEP_1)
	v_cmpx_lt_u32_e64 v21, v4
	s_cbranch_execz .LBB805_35
; %bb.34:
	v_lshlrev_b32_e32 v20, 2, v21
	global_load_b32 v20, v20, s[12:13]
.LBB805_35:
	s_or_b32 exec_lo, exec_lo, s1
	v_or_b32_e32 v22, 0x880, v0
	s_mov_b32 s1, exec_lo
                                        ; implicit-def: $vgpr21
	s_delay_alu instid0(VALU_DEP_1)
	v_cmpx_lt_u32_e64 v22, v4
	s_cbranch_execz .LBB805_37
; %bb.36:
	v_lshlrev_b32_e32 v21, 2, v22
	global_load_b32 v21, v21, s[12:13]
.LBB805_37:
	s_or_b32 exec_lo, exec_lo, s1
	v_or_b32_e32 v23, 0x900, v0
	s_mov_b32 s1, exec_lo
                                        ; implicit-def: $vgpr22
	s_delay_alu instid0(VALU_DEP_1)
	v_cmpx_lt_u32_e64 v23, v4
	s_cbranch_execz .LBB805_39
; %bb.38:
	v_lshlrev_b32_e32 v22, 2, v23
	global_load_b32 v22, v22, s[12:13]
.LBB805_39:
	s_or_b32 exec_lo, exec_lo, s1
	v_or_b32_e32 v24, 0x980, v0
	s_mov_b32 s1, exec_lo
                                        ; implicit-def: $vgpr23
	s_delay_alu instid0(VALU_DEP_1)
	v_cmpx_lt_u32_e64 v24, v4
	s_cbranch_execz .LBB805_41
; %bb.40:
	v_lshlrev_b32_e32 v23, 2, v24
	global_load_b32 v23, v23, s[12:13]
.LBB805_41:
	s_or_b32 exec_lo, exec_lo, s1
	v_or_b32_e32 v25, 0xa00, v0
	s_mov_b32 s1, exec_lo
                                        ; implicit-def: $vgpr24
	s_delay_alu instid0(VALU_DEP_1)
	v_cmpx_lt_u32_e64 v25, v4
	s_cbranch_execz .LBB805_43
; %bb.42:
	v_lshlrev_b32_e32 v24, 2, v25
	global_load_b32 v24, v24, s[12:13]
.LBB805_43:
	s_or_b32 exec_lo, exec_lo, s1
	v_or_b32_e32 v26, 0xa80, v0
	s_mov_b32 s1, exec_lo
                                        ; implicit-def: $vgpr25
	s_delay_alu instid0(VALU_DEP_1)
	v_cmpx_lt_u32_e64 v26, v4
	s_cbranch_execz .LBB805_45
; %bb.44:
	v_lshlrev_b32_e32 v25, 2, v26
	global_load_b32 v25, v25, s[12:13]
.LBB805_45:
	s_or_b32 exec_lo, exec_lo, s1
	v_or_b32_e32 v27, 0xb00, v0
	s_mov_b32 s1, exec_lo
                                        ; implicit-def: $vgpr26
	s_delay_alu instid0(VALU_DEP_1)
	v_cmpx_lt_u32_e64 v27, v4
	s_cbranch_execz .LBB805_47
; %bb.46:
	v_lshlrev_b32_e32 v26, 2, v27
	global_load_b32 v26, v26, s[12:13]
.LBB805_47:
	s_or_b32 exec_lo, exec_lo, s1
	v_or_b32_e32 v28, 0xb80, v0
	s_mov_b32 s1, exec_lo
                                        ; implicit-def: $vgpr27
	s_delay_alu instid0(VALU_DEP_1)
	v_cmpx_lt_u32_e64 v28, v4
	s_cbranch_execz .LBB805_49
; %bb.48:
	v_lshlrev_b32_e32 v27, 2, v28
	global_load_b32 v27, v27, s[12:13]
.LBB805_49:
	s_or_b32 exec_lo, exec_lo, s1
	v_or_b32_e32 v29, 0xc00, v0
	s_mov_b32 s1, exec_lo
                                        ; implicit-def: $vgpr28
	s_delay_alu instid0(VALU_DEP_1)
	v_cmpx_lt_u32_e64 v29, v4
	s_cbranch_execz .LBB805_51
; %bb.50:
	v_lshlrev_b32_e32 v28, 2, v29
	global_load_b32 v28, v28, s[12:13]
.LBB805_51:
	s_or_b32 exec_lo, exec_lo, s1
	v_or_b32_e32 v30, 0xc80, v0
	s_mov_b32 s1, exec_lo
                                        ; implicit-def: $vgpr29
	s_delay_alu instid0(VALU_DEP_1)
	v_cmpx_lt_u32_e64 v30, v4
	s_cbranch_execz .LBB805_53
; %bb.52:
	v_lshlrev_b32_e32 v29, 2, v30
	global_load_b32 v29, v29, s[12:13]
.LBB805_53:
	s_or_b32 exec_lo, exec_lo, s1
	v_or_b32_e32 v33, 0xd00, v0
	s_mov_b32 s1, exec_lo
                                        ; implicit-def: $vgpr30
	s_delay_alu instid0(VALU_DEP_1)
	v_cmpx_lt_u32_e64 v33, v4
	s_cbranch_execz .LBB805_55
; %bb.54:
	v_lshlrev_b32_e32 v30, 2, v33
	global_load_b32 v30, v30, s[12:13]
.LBB805_55:
	s_or_b32 exec_lo, exec_lo, s1
	v_or_b32_e32 v34, 0xd80, v0
	s_mov_b32 s1, exec_lo
                                        ; implicit-def: $vgpr33
	s_delay_alu instid0(VALU_DEP_1)
	v_cmpx_lt_u32_e64 v34, v4
	s_cbranch_execz .LBB805_57
; %bb.56:
	v_lshlrev_b32_e32 v33, 2, v34
	global_load_b32 v33, v33, s[12:13]
.LBB805_57:
	s_or_b32 exec_lo, exec_lo, s1
	v_or_b32_e32 v34, 0xe00, v0
	s_delay_alu instid0(VALU_DEP_1)
	v_cmp_lt_u32_e32 vcc_lo, v34, v4
                                        ; implicit-def: $vgpr4
	s_and_saveexec_b32 s1, vcc_lo
	s_cbranch_execz .LBB805_59
; %bb.58:
	v_lshlrev_b32_e32 v4, 2, v34
	global_load_b32 v4, v4, s[12:13]
.LBB805_59:
	s_or_b32 exec_lo, exec_lo, s1
	v_lshlrev_b32_e32 v34, 2, v0
	s_mov_b32 s1, 0
	s_waitcnt vmcnt(0)
	ds_store_2addr_stride64_b32 v34, v3, v5 offset1:2
	ds_store_2addr_stride64_b32 v34, v6, v7 offset0:4 offset1:6
	ds_store_2addr_stride64_b32 v34, v8, v9 offset0:8 offset1:10
	;; [unrolled: 1-line block ×13, first 2 shown]
	ds_store_b32 v34, v4 offset:14336
	s_waitcnt lgkmcnt(0)
	s_barrier
.LBB805_60:
	v_lshlrev_b32_e32 v33, 2, v0
	s_and_b32 vcc_lo, exec_lo, s1
	s_cbranch_vccz .LBB805_62
; %bb.61:
	s_mov_b32 s11, 0
	s_delay_alu instid0(SALU_CYCLE_1) | instskip(NEXT) | instid1(SALU_CYCLE_1)
	s_lshl_b64 s[10:11], s[10:11], 2
	s_add_u32 s10, s14, s10
	s_addc_u32 s11, s15, s11
	v_add_co_u32 v9, s1, s10, v33
	s_delay_alu instid0(VALU_DEP_1)
	v_add_co_ci_u32_e64 v10, null, s11, 0, s1
	s_clause 0x6
	global_load_b32 v11, v33, s[10:11] offset:512
	global_load_b32 v12, v33, s[10:11] offset:1024
	global_load_b32 v13, v33, s[10:11] offset:1536
	global_load_b32 v14, v33, s[10:11] offset:2048
	global_load_b32 v15, v33, s[10:11] offset:2560
	global_load_b32 v16, v33, s[10:11] offset:3072
	global_load_b32 v17, v33, s[10:11] offset:3584
	v_add_co_u32 v3, vcc_lo, v9, 0x2000
	v_add_co_ci_u32_e32 v4, vcc_lo, 0, v10, vcc_lo
	v_add_co_u32 v5, vcc_lo, 0x1000, v9
	v_add_co_ci_u32_e32 v6, vcc_lo, 0, v10, vcc_lo
	;; [unrolled: 2-line block ×3, first 2 shown]
	s_clause 0xa
	global_load_b32 v18, v[3:4], off offset:-4096
	global_load_b32 v19, v33, s[10:11]
	global_load_b32 v20, v[3:4], off
	global_load_b32 v21, v[5:6], off offset:512
	global_load_b32 v22, v[5:6], off offset:1024
	;; [unrolled: 1-line block ×8, first 2 shown]
	v_add_co_u32 v3, vcc_lo, 0x3000, v9
	v_add_co_ci_u32_e32 v4, vcc_lo, 0, v10, vcc_lo
	s_clause 0xa
	global_load_b32 v9, v[7:8], off offset:1024
	global_load_b32 v10, v[7:8], off offset:1536
	;; [unrolled: 1-line block ×6, first 2 shown]
	global_load_b32 v8, v[3:4], off
	global_load_b32 v30, v[3:4], off offset:512
	global_load_b32 v34, v[3:4], off offset:1024
	global_load_b32 v35, v[3:4], off offset:1536
	global_load_b32 v3, v[3:4], off offset:2048
	s_waitcnt vmcnt(20)
	ds_store_2addr_stride64_b32 v33, v19, v11 offset1:2
	ds_store_2addr_stride64_b32 v33, v12, v13 offset0:4 offset1:6
	ds_store_2addr_stride64_b32 v33, v14, v15 offset0:8 offset1:10
	;; [unrolled: 1-line block ×3, first 2 shown]
	s_waitcnt vmcnt(18)
	ds_store_2addr_stride64_b32 v33, v18, v21 offset0:16 offset1:18
	s_waitcnt vmcnt(16)
	ds_store_2addr_stride64_b32 v33, v22, v23 offset0:20 offset1:22
	;; [unrolled: 2-line block ×10, first 2 shown]
	s_waitcnt vmcnt(0)
	ds_store_b32 v33, v3 offset:14336
	s_waitcnt lgkmcnt(0)
	s_barrier
.LBB805_62:
	v_mul_u32_u24_e32 v3, 29, v0
	buffer_gl0_inv
	s_cmp_eq_u64 s[2:3], 0
	v_lshlrev_b32_e32 v29, 2, v3
	ds_load_b32 v34, v29 offset:112
	ds_load_2addr_b32 v[21:22], v29 offset0:26 offset1:27
	ds_load_2addr_b32 v[19:20], v29 offset0:24 offset1:25
	ds_load_2addr_b32 v[3:4], v29 offset1:1
	ds_load_2addr_b32 v[5:6], v29 offset0:2 offset1:3
	ds_load_2addr_b32 v[7:8], v29 offset0:4 offset1:5
	ds_load_2addr_b32 v[9:10], v29 offset0:6 offset1:7
	ds_load_2addr_b32 v[11:12], v29 offset0:8 offset1:9
	ds_load_2addr_b32 v[13:14], v29 offset0:10 offset1:11
	ds_load_2addr_b32 v[15:16], v29 offset0:12 offset1:13
	ds_load_2addr_b32 v[17:18], v29 offset0:14 offset1:15
	ds_load_2addr_b32 v[23:24], v29 offset0:16 offset1:17
	ds_load_2addr_b32 v[25:26], v29 offset0:18 offset1:19
	ds_load_2addr_b32 v[27:28], v29 offset0:20 offset1:21
	ds_load_2addr_b32 v[29:30], v29 offset0:22 offset1:23
	s_waitcnt lgkmcnt(0)
	s_barrier
	buffer_gl0_inv
	s_cbranch_scc1 .LBB805_67
; %bb.63:
	s_lshl_b64 s[6:7], s[6:7], 2
	v_cmp_eq_u64_e32 vcc_lo, s[2:3], v[31:32]
	s_add_u32 s1, s4, s6
	s_addc_u32 s6, s5, s7
	s_lshl_b64 s[4:5], s[8:9], 2
	s_delay_alu instid0(SALU_CYCLE_1)
	s_add_u32 s1, s1, s4
	s_addc_u32 s5, s6, s5
	s_add_u32 s4, s1, -4
	s_addc_u32 s5, s5, -1
	s_load_b32 s1, s[4:5], 0x0
	s_cbranch_vccnz .LBB805_68
; %bb.64:
	s_waitcnt lgkmcnt(0)
	v_mov_b32_e32 v61, s1
	s_mov_b32 s3, 0
	s_mov_b32 s4, exec_lo
	ds_store_b32 v33, v34
	s_waitcnt lgkmcnt(0)
	s_barrier
	buffer_gl0_inv
	v_cmpx_ne_u32_e32 0, v0
	s_cbranch_execz .LBB805_66
; %bb.65:
	v_add_nc_u32_e32 v31, -4, v33
	ds_load_b32 v61, v31
.LBB805_66:
	s_or_b32 exec_lo, exec_lo, s4
	v_dual_sub_f32 v31, v34, v22 :: v_dual_sub_f32 v36, v20, v19
	v_dual_sub_f32 v32, v22, v21 :: v_dual_sub_f32 v35, v21, v20
	;; [unrolled: 1-line block ×14, first 2 shown]
	s_waitcnt lgkmcnt(0)
	v_sub_f32_e32 v61, v3, v61
	s_and_b32 vcc_lo, exec_lo, s3
	s_cbranch_vccnz .LBB805_69
	s_branch .LBB805_72
.LBB805_67:
                                        ; implicit-def: $vgpr61
                                        ; implicit-def: $vgpr60
                                        ; implicit-def: $vgpr59
                                        ; implicit-def: $vgpr58
                                        ; implicit-def: $vgpr57
                                        ; implicit-def: $vgpr56
                                        ; implicit-def: $vgpr55
                                        ; implicit-def: $vgpr54
                                        ; implicit-def: $vgpr53
                                        ; implicit-def: $vgpr52
                                        ; implicit-def: $vgpr51
                                        ; implicit-def: $vgpr50
                                        ; implicit-def: $vgpr49
                                        ; implicit-def: $vgpr48
                                        ; implicit-def: $vgpr47
                                        ; implicit-def: $vgpr46
                                        ; implicit-def: $vgpr45
                                        ; implicit-def: $vgpr44
                                        ; implicit-def: $vgpr43
                                        ; implicit-def: $vgpr42
                                        ; implicit-def: $vgpr41
                                        ; implicit-def: $vgpr40
                                        ; implicit-def: $vgpr39
                                        ; implicit-def: $vgpr38
                                        ; implicit-def: $vgpr37
                                        ; implicit-def: $vgpr36
                                        ; implicit-def: $vgpr35
                                        ; implicit-def: $vgpr32
                                        ; implicit-def: $vgpr31
	s_branch .LBB805_73
.LBB805_68:
                                        ; implicit-def: $vgpr61
                                        ; implicit-def: $vgpr60
                                        ; implicit-def: $vgpr59
                                        ; implicit-def: $vgpr58
                                        ; implicit-def: $vgpr57
                                        ; implicit-def: $vgpr56
                                        ; implicit-def: $vgpr55
                                        ; implicit-def: $vgpr54
                                        ; implicit-def: $vgpr53
                                        ; implicit-def: $vgpr52
                                        ; implicit-def: $vgpr51
                                        ; implicit-def: $vgpr50
                                        ; implicit-def: $vgpr49
                                        ; implicit-def: $vgpr48
                                        ; implicit-def: $vgpr47
                                        ; implicit-def: $vgpr46
                                        ; implicit-def: $vgpr45
                                        ; implicit-def: $vgpr44
                                        ; implicit-def: $vgpr43
                                        ; implicit-def: $vgpr42
                                        ; implicit-def: $vgpr41
                                        ; implicit-def: $vgpr40
                                        ; implicit-def: $vgpr39
                                        ; implicit-def: $vgpr38
                                        ; implicit-def: $vgpr37
                                        ; implicit-def: $vgpr36
                                        ; implicit-def: $vgpr35
                                        ; implicit-def: $vgpr32
                                        ; implicit-def: $vgpr31
	s_cbranch_execz .LBB805_72
.LBB805_69:
	v_mul_u32_u24_e32 v61, 29, v0
	s_waitcnt lgkmcnt(0)
	v_mov_b32_e32 v59, s1
	s_mov_b32 s1, exec_lo
	ds_store_b32 v33, v34
	s_waitcnt lgkmcnt(0)
	s_barrier
	buffer_gl0_inv
	v_cmpx_ne_u32_e32 0, v0
	s_cbranch_execz .LBB805_71
; %bb.70:
	v_add_nc_u32_e32 v31, -4, v33
	ds_load_b32 v59, v31
.LBB805_71:
	s_or_b32 exec_lo, exec_lo, s1
	v_dual_sub_f32 v32, v34, v22 :: v_dual_add_nc_u32 v31, 28, v61
	s_mul_i32 s1, s2, 0xfffff180
	v_dual_sub_f32 v40, v19, v30 :: v_dual_add_nc_u32 v37, 25, v61
	s_add_i32 s1, s1, s30
	v_sub_f32_e32 v36, v22, v21
	v_add_nc_u32_e32 v35, 27, v61
	v_cmp_gt_u32_e32 vcc_lo, s1, v31
	v_dual_sub_f32 v43, v28, v27 :: v_dual_add_nc_u32 v42, 21, v61
	v_dual_sub_f32 v38, v20, v19 :: v_dual_sub_f32 v47, v23, v18
	v_dual_cndmask_b32 v31, v34, v32 :: v_dual_add_nc_u32 v48, 15, v61
	v_cmp_gt_u32_e32 vcc_lo, s1, v35
	v_add_nc_u32_e32 v35, 26, v61
	v_sub_f32_e32 v49, v18, v17
	v_dual_sub_f32 v55, v12, v11 :: v_dual_add_nc_u32 v54, 9, v61
	v_cndmask_b32_e32 v32, v22, v36, vcc_lo
	v_sub_f32_e32 v36, v21, v20
	v_cmp_gt_u32_e32 vcc_lo, s1, v35
	v_dual_sub_f32 v60, v7, v6 :: v_dual_sub_f32 v63, v6, v5
	v_dual_sub_f32 v64, v4, v3 :: v_dual_sub_f32 v41, v29, v28
	s_delay_alu instid0(VALU_DEP_4)
	v_cndmask_b32_e32 v35, v21, v36, vcc_lo
	v_cmp_gt_u32_e32 vcc_lo, s1, v37
	v_dual_sub_f32 v46, v25, v24 :: v_dual_add_nc_u32 v39, 24, v61
	v_sub_f32_e32 v50, v16, v15
	v_sub_f32_e32 v52, v15, v14
	v_cndmask_b32_e32 v36, v20, v38, vcc_lo
	s_delay_alu instid0(VALU_DEP_4)
	v_cmp_gt_u32_e32 vcc_lo, s1, v39
	v_add_nc_u32_e32 v38, 23, v61
	v_sub_f32_e32 v39, v30, v29
	v_sub_f32_e32 v53, v13, v12
	v_sub_f32_e32 v58, v9, v8
	v_dual_cndmask_b32 v37, v19, v40 :: v_dual_add_nc_u32 v40, 22, v61
	v_cmp_gt_u32_e32 vcc_lo, s1, v38
	s_waitcnt lgkmcnt(0)
	v_sub_f32_e32 v65, v3, v59
	v_cndmask_b32_e32 v38, v30, v39, vcc_lo
	v_cmp_gt_u32_e32 vcc_lo, s1, v40
	v_cndmask_b32_e32 v39, v29, v41, vcc_lo
	v_cmp_gt_u32_e32 vcc_lo, s1, v42
	v_dual_sub_f32 v42, v27, v26 :: v_dual_add_nc_u32 v41, 20, v61
	v_dual_cndmask_b32 v40, v28, v43 :: v_dual_add_nc_u32 v43, 19, v61
	s_delay_alu instid0(VALU_DEP_2) | instskip(NEXT) | instid1(VALU_DEP_3)
	v_cmp_gt_u32_e32 vcc_lo, s1, v41
	v_dual_sub_f32 v44, v26, v25 :: v_dual_cndmask_b32 v41, v27, v42
	s_delay_alu instid0(VALU_DEP_3) | instskip(NEXT) | instid1(VALU_DEP_2)
	v_cmp_gt_u32_e32 vcc_lo, s1, v43
	v_dual_cndmask_b32 v42, v26, v44 :: v_dual_add_nc_u32 v45, 18, v61
	s_delay_alu instid0(VALU_DEP_1) | instskip(SKIP_2) | instid1(VALU_DEP_2)
	v_cmp_gt_u32_e32 vcc_lo, s1, v45
	v_dual_sub_f32 v45, v24, v23 :: v_dual_add_nc_u32 v44, 17, v61
	v_dual_cndmask_b32 v43, v25, v46 :: v_dual_add_nc_u32 v46, 16, v61
	v_cmp_gt_u32_e32 vcc_lo, s1, v44
	s_delay_alu instid0(VALU_DEP_3) | instskip(NEXT) | instid1(VALU_DEP_3)
	v_cndmask_b32_e32 v44, v24, v45, vcc_lo
	v_cmp_gt_u32_e32 vcc_lo, s1, v46
	v_cndmask_b32_e32 v45, v23, v47, vcc_lo
	v_cmp_gt_u32_e32 vcc_lo, s1, v48
	v_dual_sub_f32 v48, v17, v16 :: v_dual_add_nc_u32 v47, 14, v61
	v_cndmask_b32_e32 v46, v18, v49, vcc_lo
	v_add_nc_u32_e32 v49, 13, v61
	s_delay_alu instid0(VALU_DEP_3) | instskip(NEXT) | instid1(VALU_DEP_4)
	v_cmp_gt_u32_e32 vcc_lo, s1, v47
	v_cndmask_b32_e32 v47, v17, v48, vcc_lo
	s_delay_alu instid0(VALU_DEP_3) | instskip(SKIP_1) | instid1(VALU_DEP_1)
	v_cmp_gt_u32_e32 vcc_lo, s1, v49
	v_dual_cndmask_b32 v48, v16, v50 :: v_dual_add_nc_u32 v51, 12, v61
	v_cmp_gt_u32_e32 vcc_lo, s1, v51
	v_add_nc_u32_e32 v50, 11, v61
	v_sub_f32_e32 v51, v14, v13
	v_dual_cndmask_b32 v49, v15, v52 :: v_dual_add_nc_u32 v52, 10, v61
	s_delay_alu instid0(VALU_DEP_3) | instskip(NEXT) | instid1(VALU_DEP_3)
	v_cmp_gt_u32_e32 vcc_lo, s1, v50
	v_cndmask_b32_e32 v50, v14, v51, vcc_lo
	s_delay_alu instid0(VALU_DEP_3) | instskip(SKIP_4) | instid1(VALU_DEP_2)
	v_cmp_gt_u32_e32 vcc_lo, s1, v52
	v_cndmask_b32_e32 v51, v13, v53, vcc_lo
	v_cmp_gt_u32_e32 vcc_lo, s1, v54
	v_dual_sub_f32 v54, v11, v10 :: v_dual_add_nc_u32 v53, 8, v61
	v_dual_cndmask_b32 v52, v12, v55 :: v_dual_add_nc_u32 v55, 7, v61
	v_cmp_gt_u32_e32 vcc_lo, s1, v53
	s_delay_alu instid0(VALU_DEP_3) | instskip(NEXT) | instid1(VALU_DEP_3)
	v_dual_sub_f32 v56, v10, v9 :: v_dual_cndmask_b32 v53, v11, v54
	v_cmp_gt_u32_e32 vcc_lo, s1, v55
	s_delay_alu instid0(VALU_DEP_2) | instskip(NEXT) | instid1(VALU_DEP_1)
	v_dual_cndmask_b32 v54, v10, v56 :: v_dual_add_nc_u32 v57, 6, v61
	v_cmp_gt_u32_e32 vcc_lo, s1, v57
	v_dual_sub_f32 v57, v8, v7 :: v_dual_add_nc_u32 v56, 5, v61
	v_dual_cndmask_b32 v55, v9, v58 :: v_dual_add_nc_u32 v58, 4, v61
	s_delay_alu instid0(VALU_DEP_2) | instskip(NEXT) | instid1(VALU_DEP_3)
	v_cmp_gt_u32_e32 vcc_lo, s1, v56
	v_cndmask_b32_e32 v56, v8, v57, vcc_lo
	s_delay_alu instid0(VALU_DEP_3) | instskip(SKIP_1) | instid1(VALU_DEP_1)
	v_cmp_gt_u32_e32 vcc_lo, s1, v58
	v_dual_cndmask_b32 v57, v7, v60 :: v_dual_add_nc_u32 v62, 3, v61
	v_cmp_gt_u32_e32 vcc_lo, s1, v62
	v_sub_f32_e32 v62, v5, v4
	v_add_nc_u32_e32 v60, 2, v61
	v_dual_cndmask_b32 v58, v6, v63 :: v_dual_add_nc_u32 v63, 1, v61
	s_delay_alu instid0(VALU_DEP_2) | instskip(NEXT) | instid1(VALU_DEP_4)
	v_cmp_gt_u32_e32 vcc_lo, s1, v60
	v_cndmask_b32_e32 v59, v5, v62, vcc_lo
	s_delay_alu instid0(VALU_DEP_3)
	v_cmp_gt_u32_e32 vcc_lo, s1, v63
	v_cndmask_b32_e32 v60, v4, v64, vcc_lo
	v_cmp_gt_u32_e32 vcc_lo, s1, v61
	v_cndmask_b32_e32 v61, v3, v65, vcc_lo
.LBB805_72:
	s_waitcnt lgkmcnt(0)
	s_cbranch_execnz .LBB805_82
.LBB805_73:
	v_cmp_eq_u64_e32 vcc_lo, 1, v[1:2]
	v_dual_sub_f32 v31, v34, v22 :: v_dual_sub_f32 v36, v20, v19
	v_dual_sub_f32 v32, v22, v21 :: v_dual_sub_f32 v35, v21, v20
	;; [unrolled: 1-line block ×14, first 2 shown]
	v_cmp_ne_u32_e64 s1, 0, v0
	s_cbranch_vccnz .LBB805_77
; %bb.74:
	v_mov_b32_e32 v1, 0
	v_mov_b32_e32 v61, v3
	s_mov_b32 s2, 0
	ds_store_b32 v33, v34
	s_waitcnt lgkmcnt(0)
	s_barrier
	buffer_gl0_inv
	s_and_saveexec_b32 s3, s1
	s_cbranch_execz .LBB805_76
; %bb.75:
	v_add_nc_u32_e32 v1, -4, v33
	ds_load_b32 v1, v1
	s_waitcnt lgkmcnt(0)
	v_sub_f32_e32 v61, v3, v1
	v_mov_b32_e32 v1, v0
.LBB805_76:
	s_or_b32 exec_lo, exec_lo, s3
	s_delay_alu instid0(SALU_CYCLE_1)
	s_and_not1_b32 vcc_lo, exec_lo, s2
	s_cbranch_vccz .LBB805_78
	s_branch .LBB805_81
.LBB805_77:
                                        ; implicit-def: $vgpr61
                                        ; implicit-def: $vgpr1
.LBB805_78:
	v_mad_u32_u24 v1, v0, 29, 28
	v_mad_u32_u24 v61, v0, 29, 27
	v_mad_u32_u24 v62, v0, 29, 26
	v_mad_u32_u24 v63, v0, 29, 24
	v_mul_u32_u24_e32 v2, 29, v0
	v_cmp_gt_u32_e32 vcc_lo, s30, v1
	v_mad_u32_u24 v1, v0, 29, 25
	v_cmp_gt_u32_e64 s1, s30, v61
	v_mad_u32_u24 v61, v0, 29, 23
	v_cmp_gt_u32_e64 s2, s30, v62
	;; [unrolled: 2-line block ×17, first 2 shown]
	v_cmp_gt_u32_e64 s18, s30, v61
	v_mad_u32_u24 v61, v0, 29, 7
	v_mad_u32_u24 v62, v0, 29, 6
	v_cmp_gt_u32_e64 s20, s30, v1
	v_mad_u32_u24 v1, v0, 29, 5
	v_cmp_gt_u32_e64 s19, s30, v63
	;; [unrolled: 2-line block ×3, first 2 shown]
	v_cmp_gt_u32_e64 s22, s30, v62
	v_mad_u32_u24 v61, v0, 29, 3
	v_cmp_gt_u32_e64 s23, s30, v1
	v_mad_u32_u24 v1, v0, 29, 2
	v_mad_u32_u24 v62, v0, 29, 1
	v_cmp_ne_u32_e64 s28, 0, v0
	v_cmp_gt_u32_e64 s29, s30, v2
	v_cmp_gt_u32_e64 s24, s30, v63
	;; [unrolled: 1-line block ×5, first 2 shown]
	s_and_b32 s29, s28, s29
	ds_store_b32 v33, v34
	s_waitcnt lgkmcnt(0)
	s_barrier
	buffer_gl0_inv
	s_and_saveexec_b32 s28, s29
	s_cbranch_execz .LBB805_80
; %bb.79:
	v_add_nc_u32_e32 v1, -4, v33
	ds_load_b32 v1, v1
	s_waitcnt lgkmcnt(0)
	v_sub_f32_e32 v3, v3, v1
.LBB805_80:
	s_or_b32 exec_lo, exec_lo, s28
	v_cndmask_b32_e32 v31, v34, v31, vcc_lo
	v_cndmask_b32_e64 v32, v22, v32, s1
	v_cndmask_b32_e64 v35, v21, v35, s2
	;; [unrolled: 1-line block ×27, first 2 shown]
	v_mov_b32_e32 v61, v3
	v_mov_b32_e32 v1, v0
.LBB805_81:
	s_delay_alu instid0(VALU_DEP_1)
	v_mov_b32_e32 v0, v1
.LBB805_82:
	s_delay_alu instid0(VALU_DEP_1)
	v_mul_u32_u24_e32 v0, 0x74, v0
	s_and_b32 vcc_lo, exec_lo, s0
	s_mov_b32 s0, -1
	s_barrier
	buffer_gl0_inv
	ds_store_2addr_b32 v0, v61, v60 offset1:1
	ds_store_2addr_b32 v0, v59, v58 offset0:2 offset1:3
	ds_store_2addr_b32 v0, v57, v56 offset0:4 offset1:5
	;; [unrolled: 1-line block ×13, first 2 shown]
	ds_store_b32 v0, v31 offset:112
	s_waitcnt lgkmcnt(0)
	s_cbranch_vccnz .LBB805_85
; %bb.83:
	s_and_not1_b32 vcc_lo, exec_lo, s0
	s_cbranch_vccz .LBB805_86
.LBB805_84:
	buffer_gl0_inv
	s_endpgm
.LBB805_85:
	s_barrier
	s_cbranch_execnz .LBB805_84
.LBB805_86:
	s_barrier
	buffer_gl0_inv
	s_endpgm
	.section	.rodata,"a",@progbits
	.p2align	6, 0x0
	.amdhsa_kernel _ZN7rocprim17ROCPRIM_400000_NS6detail17trampoline_kernelINS0_14default_configENS1_35adjacent_difference_config_selectorILb1EfEEZNS1_24adjacent_difference_implIS3_Lb1ELb0EPfN6thrust23THRUST_200600_302600_NS16discard_iteratorINS9_11use_defaultEEENS9_5minusIfEEEE10hipError_tPvRmT2_T3_mT4_P12ihipStream_tbEUlT_E_NS1_11comp_targetILNS1_3genE9ELNS1_11target_archE1100ELNS1_3gpuE3ELNS1_3repE0EEENS1_30default_config_static_selectorELNS0_4arch9wavefront6targetE0EEEvT1_
		.amdhsa_group_segment_fixed_size 14848
		.amdhsa_private_segment_fixed_size 0
		.amdhsa_kernarg_size 64
		.amdhsa_user_sgpr_count 15
		.amdhsa_user_sgpr_dispatch_ptr 0
		.amdhsa_user_sgpr_queue_ptr 0
		.amdhsa_user_sgpr_kernarg_segment_ptr 1
		.amdhsa_user_sgpr_dispatch_id 0
		.amdhsa_user_sgpr_private_segment_size 0
		.amdhsa_wavefront_size32 1
		.amdhsa_uses_dynamic_stack 0
		.amdhsa_enable_private_segment 0
		.amdhsa_system_sgpr_workgroup_id_x 1
		.amdhsa_system_sgpr_workgroup_id_y 0
		.amdhsa_system_sgpr_workgroup_id_z 0
		.amdhsa_system_sgpr_workgroup_info 0
		.amdhsa_system_vgpr_workitem_id 0
		.amdhsa_next_free_vgpr 66
		.amdhsa_next_free_sgpr 32
		.amdhsa_reserve_vcc 1
		.amdhsa_float_round_mode_32 0
		.amdhsa_float_round_mode_16_64 0
		.amdhsa_float_denorm_mode_32 3
		.amdhsa_float_denorm_mode_16_64 3
		.amdhsa_dx10_clamp 1
		.amdhsa_ieee_mode 1
		.amdhsa_fp16_overflow 0
		.amdhsa_workgroup_processor_mode 1
		.amdhsa_memory_ordered 1
		.amdhsa_forward_progress 0
		.amdhsa_shared_vgpr_count 0
		.amdhsa_exception_fp_ieee_invalid_op 0
		.amdhsa_exception_fp_denorm_src 0
		.amdhsa_exception_fp_ieee_div_zero 0
		.amdhsa_exception_fp_ieee_overflow 0
		.amdhsa_exception_fp_ieee_underflow 0
		.amdhsa_exception_fp_ieee_inexact 0
		.amdhsa_exception_int_div_zero 0
	.end_amdhsa_kernel
	.section	.text._ZN7rocprim17ROCPRIM_400000_NS6detail17trampoline_kernelINS0_14default_configENS1_35adjacent_difference_config_selectorILb1EfEEZNS1_24adjacent_difference_implIS3_Lb1ELb0EPfN6thrust23THRUST_200600_302600_NS16discard_iteratorINS9_11use_defaultEEENS9_5minusIfEEEE10hipError_tPvRmT2_T3_mT4_P12ihipStream_tbEUlT_E_NS1_11comp_targetILNS1_3genE9ELNS1_11target_archE1100ELNS1_3gpuE3ELNS1_3repE0EEENS1_30default_config_static_selectorELNS0_4arch9wavefront6targetE0EEEvT1_,"axG",@progbits,_ZN7rocprim17ROCPRIM_400000_NS6detail17trampoline_kernelINS0_14default_configENS1_35adjacent_difference_config_selectorILb1EfEEZNS1_24adjacent_difference_implIS3_Lb1ELb0EPfN6thrust23THRUST_200600_302600_NS16discard_iteratorINS9_11use_defaultEEENS9_5minusIfEEEE10hipError_tPvRmT2_T3_mT4_P12ihipStream_tbEUlT_E_NS1_11comp_targetILNS1_3genE9ELNS1_11target_archE1100ELNS1_3gpuE3ELNS1_3repE0EEENS1_30default_config_static_selectorELNS0_4arch9wavefront6targetE0EEEvT1_,comdat
.Lfunc_end805:
	.size	_ZN7rocprim17ROCPRIM_400000_NS6detail17trampoline_kernelINS0_14default_configENS1_35adjacent_difference_config_selectorILb1EfEEZNS1_24adjacent_difference_implIS3_Lb1ELb0EPfN6thrust23THRUST_200600_302600_NS16discard_iteratorINS9_11use_defaultEEENS9_5minusIfEEEE10hipError_tPvRmT2_T3_mT4_P12ihipStream_tbEUlT_E_NS1_11comp_targetILNS1_3genE9ELNS1_11target_archE1100ELNS1_3gpuE3ELNS1_3repE0EEENS1_30default_config_static_selectorELNS0_4arch9wavefront6targetE0EEEvT1_, .Lfunc_end805-_ZN7rocprim17ROCPRIM_400000_NS6detail17trampoline_kernelINS0_14default_configENS1_35adjacent_difference_config_selectorILb1EfEEZNS1_24adjacent_difference_implIS3_Lb1ELb0EPfN6thrust23THRUST_200600_302600_NS16discard_iteratorINS9_11use_defaultEEENS9_5minusIfEEEE10hipError_tPvRmT2_T3_mT4_P12ihipStream_tbEUlT_E_NS1_11comp_targetILNS1_3genE9ELNS1_11target_archE1100ELNS1_3gpuE3ELNS1_3repE0EEENS1_30default_config_static_selectorELNS0_4arch9wavefront6targetE0EEEvT1_
                                        ; -- End function
	.section	.AMDGPU.csdata,"",@progbits
; Kernel info:
; codeLenInByte = 4724
; NumSgprs: 34
; NumVgprs: 66
; ScratchSize: 0
; MemoryBound: 0
; FloatMode: 240
; IeeeMode: 1
; LDSByteSize: 14848 bytes/workgroup (compile time only)
; SGPRBlocks: 4
; VGPRBlocks: 8
; NumSGPRsForWavesPerEU: 34
; NumVGPRsForWavesPerEU: 66
; Occupancy: 8
; WaveLimiterHint : 1
; COMPUTE_PGM_RSRC2:SCRATCH_EN: 0
; COMPUTE_PGM_RSRC2:USER_SGPR: 15
; COMPUTE_PGM_RSRC2:TRAP_HANDLER: 0
; COMPUTE_PGM_RSRC2:TGID_X_EN: 1
; COMPUTE_PGM_RSRC2:TGID_Y_EN: 0
; COMPUTE_PGM_RSRC2:TGID_Z_EN: 0
; COMPUTE_PGM_RSRC2:TIDIG_COMP_CNT: 0
	.section	.text._ZN7rocprim17ROCPRIM_400000_NS6detail17trampoline_kernelINS0_14default_configENS1_35adjacent_difference_config_selectorILb1EfEEZNS1_24adjacent_difference_implIS3_Lb1ELb0EPfN6thrust23THRUST_200600_302600_NS16discard_iteratorINS9_11use_defaultEEENS9_5minusIfEEEE10hipError_tPvRmT2_T3_mT4_P12ihipStream_tbEUlT_E_NS1_11comp_targetILNS1_3genE8ELNS1_11target_archE1030ELNS1_3gpuE2ELNS1_3repE0EEENS1_30default_config_static_selectorELNS0_4arch9wavefront6targetE0EEEvT1_,"axG",@progbits,_ZN7rocprim17ROCPRIM_400000_NS6detail17trampoline_kernelINS0_14default_configENS1_35adjacent_difference_config_selectorILb1EfEEZNS1_24adjacent_difference_implIS3_Lb1ELb0EPfN6thrust23THRUST_200600_302600_NS16discard_iteratorINS9_11use_defaultEEENS9_5minusIfEEEE10hipError_tPvRmT2_T3_mT4_P12ihipStream_tbEUlT_E_NS1_11comp_targetILNS1_3genE8ELNS1_11target_archE1030ELNS1_3gpuE2ELNS1_3repE0EEENS1_30default_config_static_selectorELNS0_4arch9wavefront6targetE0EEEvT1_,comdat
	.protected	_ZN7rocprim17ROCPRIM_400000_NS6detail17trampoline_kernelINS0_14default_configENS1_35adjacent_difference_config_selectorILb1EfEEZNS1_24adjacent_difference_implIS3_Lb1ELb0EPfN6thrust23THRUST_200600_302600_NS16discard_iteratorINS9_11use_defaultEEENS9_5minusIfEEEE10hipError_tPvRmT2_T3_mT4_P12ihipStream_tbEUlT_E_NS1_11comp_targetILNS1_3genE8ELNS1_11target_archE1030ELNS1_3gpuE2ELNS1_3repE0EEENS1_30default_config_static_selectorELNS0_4arch9wavefront6targetE0EEEvT1_ ; -- Begin function _ZN7rocprim17ROCPRIM_400000_NS6detail17trampoline_kernelINS0_14default_configENS1_35adjacent_difference_config_selectorILb1EfEEZNS1_24adjacent_difference_implIS3_Lb1ELb0EPfN6thrust23THRUST_200600_302600_NS16discard_iteratorINS9_11use_defaultEEENS9_5minusIfEEEE10hipError_tPvRmT2_T3_mT4_P12ihipStream_tbEUlT_E_NS1_11comp_targetILNS1_3genE8ELNS1_11target_archE1030ELNS1_3gpuE2ELNS1_3repE0EEENS1_30default_config_static_selectorELNS0_4arch9wavefront6targetE0EEEvT1_
	.globl	_ZN7rocprim17ROCPRIM_400000_NS6detail17trampoline_kernelINS0_14default_configENS1_35adjacent_difference_config_selectorILb1EfEEZNS1_24adjacent_difference_implIS3_Lb1ELb0EPfN6thrust23THRUST_200600_302600_NS16discard_iteratorINS9_11use_defaultEEENS9_5minusIfEEEE10hipError_tPvRmT2_T3_mT4_P12ihipStream_tbEUlT_E_NS1_11comp_targetILNS1_3genE8ELNS1_11target_archE1030ELNS1_3gpuE2ELNS1_3repE0EEENS1_30default_config_static_selectorELNS0_4arch9wavefront6targetE0EEEvT1_
	.p2align	8
	.type	_ZN7rocprim17ROCPRIM_400000_NS6detail17trampoline_kernelINS0_14default_configENS1_35adjacent_difference_config_selectorILb1EfEEZNS1_24adjacent_difference_implIS3_Lb1ELb0EPfN6thrust23THRUST_200600_302600_NS16discard_iteratorINS9_11use_defaultEEENS9_5minusIfEEEE10hipError_tPvRmT2_T3_mT4_P12ihipStream_tbEUlT_E_NS1_11comp_targetILNS1_3genE8ELNS1_11target_archE1030ELNS1_3gpuE2ELNS1_3repE0EEENS1_30default_config_static_selectorELNS0_4arch9wavefront6targetE0EEEvT1_,@function
_ZN7rocprim17ROCPRIM_400000_NS6detail17trampoline_kernelINS0_14default_configENS1_35adjacent_difference_config_selectorILb1EfEEZNS1_24adjacent_difference_implIS3_Lb1ELb0EPfN6thrust23THRUST_200600_302600_NS16discard_iteratorINS9_11use_defaultEEENS9_5minusIfEEEE10hipError_tPvRmT2_T3_mT4_P12ihipStream_tbEUlT_E_NS1_11comp_targetILNS1_3genE8ELNS1_11target_archE1030ELNS1_3gpuE2ELNS1_3repE0EEENS1_30default_config_static_selectorELNS0_4arch9wavefront6targetE0EEEvT1_: ; @_ZN7rocprim17ROCPRIM_400000_NS6detail17trampoline_kernelINS0_14default_configENS1_35adjacent_difference_config_selectorILb1EfEEZNS1_24adjacent_difference_implIS3_Lb1ELb0EPfN6thrust23THRUST_200600_302600_NS16discard_iteratorINS9_11use_defaultEEENS9_5minusIfEEEE10hipError_tPvRmT2_T3_mT4_P12ihipStream_tbEUlT_E_NS1_11comp_targetILNS1_3genE8ELNS1_11target_archE1030ELNS1_3gpuE2ELNS1_3repE0EEENS1_30default_config_static_selectorELNS0_4arch9wavefront6targetE0EEEvT1_
; %bb.0:
	.section	.rodata,"a",@progbits
	.p2align	6, 0x0
	.amdhsa_kernel _ZN7rocprim17ROCPRIM_400000_NS6detail17trampoline_kernelINS0_14default_configENS1_35adjacent_difference_config_selectorILb1EfEEZNS1_24adjacent_difference_implIS3_Lb1ELb0EPfN6thrust23THRUST_200600_302600_NS16discard_iteratorINS9_11use_defaultEEENS9_5minusIfEEEE10hipError_tPvRmT2_T3_mT4_P12ihipStream_tbEUlT_E_NS1_11comp_targetILNS1_3genE8ELNS1_11target_archE1030ELNS1_3gpuE2ELNS1_3repE0EEENS1_30default_config_static_selectorELNS0_4arch9wavefront6targetE0EEEvT1_
		.amdhsa_group_segment_fixed_size 0
		.amdhsa_private_segment_fixed_size 0
		.amdhsa_kernarg_size 64
		.amdhsa_user_sgpr_count 15
		.amdhsa_user_sgpr_dispatch_ptr 0
		.amdhsa_user_sgpr_queue_ptr 0
		.amdhsa_user_sgpr_kernarg_segment_ptr 1
		.amdhsa_user_sgpr_dispatch_id 0
		.amdhsa_user_sgpr_private_segment_size 0
		.amdhsa_wavefront_size32 1
		.amdhsa_uses_dynamic_stack 0
		.amdhsa_enable_private_segment 0
		.amdhsa_system_sgpr_workgroup_id_x 1
		.amdhsa_system_sgpr_workgroup_id_y 0
		.amdhsa_system_sgpr_workgroup_id_z 0
		.amdhsa_system_sgpr_workgroup_info 0
		.amdhsa_system_vgpr_workitem_id 0
		.amdhsa_next_free_vgpr 1
		.amdhsa_next_free_sgpr 1
		.amdhsa_reserve_vcc 0
		.amdhsa_float_round_mode_32 0
		.amdhsa_float_round_mode_16_64 0
		.amdhsa_float_denorm_mode_32 3
		.amdhsa_float_denorm_mode_16_64 3
		.amdhsa_dx10_clamp 1
		.amdhsa_ieee_mode 1
		.amdhsa_fp16_overflow 0
		.amdhsa_workgroup_processor_mode 1
		.amdhsa_memory_ordered 1
		.amdhsa_forward_progress 0
		.amdhsa_shared_vgpr_count 0
		.amdhsa_exception_fp_ieee_invalid_op 0
		.amdhsa_exception_fp_denorm_src 0
		.amdhsa_exception_fp_ieee_div_zero 0
		.amdhsa_exception_fp_ieee_overflow 0
		.amdhsa_exception_fp_ieee_underflow 0
		.amdhsa_exception_fp_ieee_inexact 0
		.amdhsa_exception_int_div_zero 0
	.end_amdhsa_kernel
	.section	.text._ZN7rocprim17ROCPRIM_400000_NS6detail17trampoline_kernelINS0_14default_configENS1_35adjacent_difference_config_selectorILb1EfEEZNS1_24adjacent_difference_implIS3_Lb1ELb0EPfN6thrust23THRUST_200600_302600_NS16discard_iteratorINS9_11use_defaultEEENS9_5minusIfEEEE10hipError_tPvRmT2_T3_mT4_P12ihipStream_tbEUlT_E_NS1_11comp_targetILNS1_3genE8ELNS1_11target_archE1030ELNS1_3gpuE2ELNS1_3repE0EEENS1_30default_config_static_selectorELNS0_4arch9wavefront6targetE0EEEvT1_,"axG",@progbits,_ZN7rocprim17ROCPRIM_400000_NS6detail17trampoline_kernelINS0_14default_configENS1_35adjacent_difference_config_selectorILb1EfEEZNS1_24adjacent_difference_implIS3_Lb1ELb0EPfN6thrust23THRUST_200600_302600_NS16discard_iteratorINS9_11use_defaultEEENS9_5minusIfEEEE10hipError_tPvRmT2_T3_mT4_P12ihipStream_tbEUlT_E_NS1_11comp_targetILNS1_3genE8ELNS1_11target_archE1030ELNS1_3gpuE2ELNS1_3repE0EEENS1_30default_config_static_selectorELNS0_4arch9wavefront6targetE0EEEvT1_,comdat
.Lfunc_end806:
	.size	_ZN7rocprim17ROCPRIM_400000_NS6detail17trampoline_kernelINS0_14default_configENS1_35adjacent_difference_config_selectorILb1EfEEZNS1_24adjacent_difference_implIS3_Lb1ELb0EPfN6thrust23THRUST_200600_302600_NS16discard_iteratorINS9_11use_defaultEEENS9_5minusIfEEEE10hipError_tPvRmT2_T3_mT4_P12ihipStream_tbEUlT_E_NS1_11comp_targetILNS1_3genE8ELNS1_11target_archE1030ELNS1_3gpuE2ELNS1_3repE0EEENS1_30default_config_static_selectorELNS0_4arch9wavefront6targetE0EEEvT1_, .Lfunc_end806-_ZN7rocprim17ROCPRIM_400000_NS6detail17trampoline_kernelINS0_14default_configENS1_35adjacent_difference_config_selectorILb1EfEEZNS1_24adjacent_difference_implIS3_Lb1ELb0EPfN6thrust23THRUST_200600_302600_NS16discard_iteratorINS9_11use_defaultEEENS9_5minusIfEEEE10hipError_tPvRmT2_T3_mT4_P12ihipStream_tbEUlT_E_NS1_11comp_targetILNS1_3genE8ELNS1_11target_archE1030ELNS1_3gpuE2ELNS1_3repE0EEENS1_30default_config_static_selectorELNS0_4arch9wavefront6targetE0EEEvT1_
                                        ; -- End function
	.section	.AMDGPU.csdata,"",@progbits
; Kernel info:
; codeLenInByte = 0
; NumSgprs: 0
; NumVgprs: 0
; ScratchSize: 0
; MemoryBound: 0
; FloatMode: 240
; IeeeMode: 1
; LDSByteSize: 0 bytes/workgroup (compile time only)
; SGPRBlocks: 0
; VGPRBlocks: 0
; NumSGPRsForWavesPerEU: 1
; NumVGPRsForWavesPerEU: 1
; Occupancy: 16
; WaveLimiterHint : 0
; COMPUTE_PGM_RSRC2:SCRATCH_EN: 0
; COMPUTE_PGM_RSRC2:USER_SGPR: 15
; COMPUTE_PGM_RSRC2:TRAP_HANDLER: 0
; COMPUTE_PGM_RSRC2:TGID_X_EN: 1
; COMPUTE_PGM_RSRC2:TGID_Y_EN: 0
; COMPUTE_PGM_RSRC2:TGID_Z_EN: 0
; COMPUTE_PGM_RSRC2:TIDIG_COMP_CNT: 0
	.section	.text._ZN7rocprim17ROCPRIM_400000_NS6detail17trampoline_kernelINS0_14default_configENS1_25transform_config_selectorIyLb0EEEZNS1_14transform_implILb0ES3_S5_NS0_18transform_iteratorINS0_17counting_iteratorImlEEZNS1_24adjacent_difference_implIS3_Lb1ELb0EPyN6thrust23THRUST_200600_302600_NS16discard_iteratorINSD_11use_defaultEEENSD_5minusIyEEEE10hipError_tPvRmT2_T3_mT4_P12ihipStream_tbEUlmE_yEESB_NS0_8identityIvEEEESJ_SM_SN_mSO_SQ_bEUlT_E_NS1_11comp_targetILNS1_3genE0ELNS1_11target_archE4294967295ELNS1_3gpuE0ELNS1_3repE0EEENS1_30default_config_static_selectorELNS0_4arch9wavefront6targetE0EEEvT1_,"axG",@progbits,_ZN7rocprim17ROCPRIM_400000_NS6detail17trampoline_kernelINS0_14default_configENS1_25transform_config_selectorIyLb0EEEZNS1_14transform_implILb0ES3_S5_NS0_18transform_iteratorINS0_17counting_iteratorImlEEZNS1_24adjacent_difference_implIS3_Lb1ELb0EPyN6thrust23THRUST_200600_302600_NS16discard_iteratorINSD_11use_defaultEEENSD_5minusIyEEEE10hipError_tPvRmT2_T3_mT4_P12ihipStream_tbEUlmE_yEESB_NS0_8identityIvEEEESJ_SM_SN_mSO_SQ_bEUlT_E_NS1_11comp_targetILNS1_3genE0ELNS1_11target_archE4294967295ELNS1_3gpuE0ELNS1_3repE0EEENS1_30default_config_static_selectorELNS0_4arch9wavefront6targetE0EEEvT1_,comdat
	.protected	_ZN7rocprim17ROCPRIM_400000_NS6detail17trampoline_kernelINS0_14default_configENS1_25transform_config_selectorIyLb0EEEZNS1_14transform_implILb0ES3_S5_NS0_18transform_iteratorINS0_17counting_iteratorImlEEZNS1_24adjacent_difference_implIS3_Lb1ELb0EPyN6thrust23THRUST_200600_302600_NS16discard_iteratorINSD_11use_defaultEEENSD_5minusIyEEEE10hipError_tPvRmT2_T3_mT4_P12ihipStream_tbEUlmE_yEESB_NS0_8identityIvEEEESJ_SM_SN_mSO_SQ_bEUlT_E_NS1_11comp_targetILNS1_3genE0ELNS1_11target_archE4294967295ELNS1_3gpuE0ELNS1_3repE0EEENS1_30default_config_static_selectorELNS0_4arch9wavefront6targetE0EEEvT1_ ; -- Begin function _ZN7rocprim17ROCPRIM_400000_NS6detail17trampoline_kernelINS0_14default_configENS1_25transform_config_selectorIyLb0EEEZNS1_14transform_implILb0ES3_S5_NS0_18transform_iteratorINS0_17counting_iteratorImlEEZNS1_24adjacent_difference_implIS3_Lb1ELb0EPyN6thrust23THRUST_200600_302600_NS16discard_iteratorINSD_11use_defaultEEENSD_5minusIyEEEE10hipError_tPvRmT2_T3_mT4_P12ihipStream_tbEUlmE_yEESB_NS0_8identityIvEEEESJ_SM_SN_mSO_SQ_bEUlT_E_NS1_11comp_targetILNS1_3genE0ELNS1_11target_archE4294967295ELNS1_3gpuE0ELNS1_3repE0EEENS1_30default_config_static_selectorELNS0_4arch9wavefront6targetE0EEEvT1_
	.globl	_ZN7rocprim17ROCPRIM_400000_NS6detail17trampoline_kernelINS0_14default_configENS1_25transform_config_selectorIyLb0EEEZNS1_14transform_implILb0ES3_S5_NS0_18transform_iteratorINS0_17counting_iteratorImlEEZNS1_24adjacent_difference_implIS3_Lb1ELb0EPyN6thrust23THRUST_200600_302600_NS16discard_iteratorINSD_11use_defaultEEENSD_5minusIyEEEE10hipError_tPvRmT2_T3_mT4_P12ihipStream_tbEUlmE_yEESB_NS0_8identityIvEEEESJ_SM_SN_mSO_SQ_bEUlT_E_NS1_11comp_targetILNS1_3genE0ELNS1_11target_archE4294967295ELNS1_3gpuE0ELNS1_3repE0EEENS1_30default_config_static_selectorELNS0_4arch9wavefront6targetE0EEEvT1_
	.p2align	8
	.type	_ZN7rocprim17ROCPRIM_400000_NS6detail17trampoline_kernelINS0_14default_configENS1_25transform_config_selectorIyLb0EEEZNS1_14transform_implILb0ES3_S5_NS0_18transform_iteratorINS0_17counting_iteratorImlEEZNS1_24adjacent_difference_implIS3_Lb1ELb0EPyN6thrust23THRUST_200600_302600_NS16discard_iteratorINSD_11use_defaultEEENSD_5minusIyEEEE10hipError_tPvRmT2_T3_mT4_P12ihipStream_tbEUlmE_yEESB_NS0_8identityIvEEEESJ_SM_SN_mSO_SQ_bEUlT_E_NS1_11comp_targetILNS1_3genE0ELNS1_11target_archE4294967295ELNS1_3gpuE0ELNS1_3repE0EEENS1_30default_config_static_selectorELNS0_4arch9wavefront6targetE0EEEvT1_,@function
_ZN7rocprim17ROCPRIM_400000_NS6detail17trampoline_kernelINS0_14default_configENS1_25transform_config_selectorIyLb0EEEZNS1_14transform_implILb0ES3_S5_NS0_18transform_iteratorINS0_17counting_iteratorImlEEZNS1_24adjacent_difference_implIS3_Lb1ELb0EPyN6thrust23THRUST_200600_302600_NS16discard_iteratorINSD_11use_defaultEEENSD_5minusIyEEEE10hipError_tPvRmT2_T3_mT4_P12ihipStream_tbEUlmE_yEESB_NS0_8identityIvEEEESJ_SM_SN_mSO_SQ_bEUlT_E_NS1_11comp_targetILNS1_3genE0ELNS1_11target_archE4294967295ELNS1_3gpuE0ELNS1_3repE0EEENS1_30default_config_static_selectorELNS0_4arch9wavefront6targetE0EEEvT1_: ; @_ZN7rocprim17ROCPRIM_400000_NS6detail17trampoline_kernelINS0_14default_configENS1_25transform_config_selectorIyLb0EEEZNS1_14transform_implILb0ES3_S5_NS0_18transform_iteratorINS0_17counting_iteratorImlEEZNS1_24adjacent_difference_implIS3_Lb1ELb0EPyN6thrust23THRUST_200600_302600_NS16discard_iteratorINSD_11use_defaultEEENSD_5minusIyEEEE10hipError_tPvRmT2_T3_mT4_P12ihipStream_tbEUlmE_yEESB_NS0_8identityIvEEEESJ_SM_SN_mSO_SQ_bEUlT_E_NS1_11comp_targetILNS1_3genE0ELNS1_11target_archE4294967295ELNS1_3gpuE0ELNS1_3repE0EEENS1_30default_config_static_selectorELNS0_4arch9wavefront6targetE0EEEvT1_
; %bb.0:
	.section	.rodata,"a",@progbits
	.p2align	6, 0x0
	.amdhsa_kernel _ZN7rocprim17ROCPRIM_400000_NS6detail17trampoline_kernelINS0_14default_configENS1_25transform_config_selectorIyLb0EEEZNS1_14transform_implILb0ES3_S5_NS0_18transform_iteratorINS0_17counting_iteratorImlEEZNS1_24adjacent_difference_implIS3_Lb1ELb0EPyN6thrust23THRUST_200600_302600_NS16discard_iteratorINSD_11use_defaultEEENSD_5minusIyEEEE10hipError_tPvRmT2_T3_mT4_P12ihipStream_tbEUlmE_yEESB_NS0_8identityIvEEEESJ_SM_SN_mSO_SQ_bEUlT_E_NS1_11comp_targetILNS1_3genE0ELNS1_11target_archE4294967295ELNS1_3gpuE0ELNS1_3repE0EEENS1_30default_config_static_selectorELNS0_4arch9wavefront6targetE0EEEvT1_
		.amdhsa_group_segment_fixed_size 0
		.amdhsa_private_segment_fixed_size 0
		.amdhsa_kernarg_size 56
		.amdhsa_user_sgpr_count 15
		.amdhsa_user_sgpr_dispatch_ptr 0
		.amdhsa_user_sgpr_queue_ptr 0
		.amdhsa_user_sgpr_kernarg_segment_ptr 1
		.amdhsa_user_sgpr_dispatch_id 0
		.amdhsa_user_sgpr_private_segment_size 0
		.amdhsa_wavefront_size32 1
		.amdhsa_uses_dynamic_stack 0
		.amdhsa_enable_private_segment 0
		.amdhsa_system_sgpr_workgroup_id_x 1
		.amdhsa_system_sgpr_workgroup_id_y 0
		.amdhsa_system_sgpr_workgroup_id_z 0
		.amdhsa_system_sgpr_workgroup_info 0
		.amdhsa_system_vgpr_workitem_id 0
		.amdhsa_next_free_vgpr 1
		.amdhsa_next_free_sgpr 1
		.amdhsa_reserve_vcc 0
		.amdhsa_float_round_mode_32 0
		.amdhsa_float_round_mode_16_64 0
		.amdhsa_float_denorm_mode_32 3
		.amdhsa_float_denorm_mode_16_64 3
		.amdhsa_dx10_clamp 1
		.amdhsa_ieee_mode 1
		.amdhsa_fp16_overflow 0
		.amdhsa_workgroup_processor_mode 1
		.amdhsa_memory_ordered 1
		.amdhsa_forward_progress 0
		.amdhsa_shared_vgpr_count 0
		.amdhsa_exception_fp_ieee_invalid_op 0
		.amdhsa_exception_fp_denorm_src 0
		.amdhsa_exception_fp_ieee_div_zero 0
		.amdhsa_exception_fp_ieee_overflow 0
		.amdhsa_exception_fp_ieee_underflow 0
		.amdhsa_exception_fp_ieee_inexact 0
		.amdhsa_exception_int_div_zero 0
	.end_amdhsa_kernel
	.section	.text._ZN7rocprim17ROCPRIM_400000_NS6detail17trampoline_kernelINS0_14default_configENS1_25transform_config_selectorIyLb0EEEZNS1_14transform_implILb0ES3_S5_NS0_18transform_iteratorINS0_17counting_iteratorImlEEZNS1_24adjacent_difference_implIS3_Lb1ELb0EPyN6thrust23THRUST_200600_302600_NS16discard_iteratorINSD_11use_defaultEEENSD_5minusIyEEEE10hipError_tPvRmT2_T3_mT4_P12ihipStream_tbEUlmE_yEESB_NS0_8identityIvEEEESJ_SM_SN_mSO_SQ_bEUlT_E_NS1_11comp_targetILNS1_3genE0ELNS1_11target_archE4294967295ELNS1_3gpuE0ELNS1_3repE0EEENS1_30default_config_static_selectorELNS0_4arch9wavefront6targetE0EEEvT1_,"axG",@progbits,_ZN7rocprim17ROCPRIM_400000_NS6detail17trampoline_kernelINS0_14default_configENS1_25transform_config_selectorIyLb0EEEZNS1_14transform_implILb0ES3_S5_NS0_18transform_iteratorINS0_17counting_iteratorImlEEZNS1_24adjacent_difference_implIS3_Lb1ELb0EPyN6thrust23THRUST_200600_302600_NS16discard_iteratorINSD_11use_defaultEEENSD_5minusIyEEEE10hipError_tPvRmT2_T3_mT4_P12ihipStream_tbEUlmE_yEESB_NS0_8identityIvEEEESJ_SM_SN_mSO_SQ_bEUlT_E_NS1_11comp_targetILNS1_3genE0ELNS1_11target_archE4294967295ELNS1_3gpuE0ELNS1_3repE0EEENS1_30default_config_static_selectorELNS0_4arch9wavefront6targetE0EEEvT1_,comdat
.Lfunc_end807:
	.size	_ZN7rocprim17ROCPRIM_400000_NS6detail17trampoline_kernelINS0_14default_configENS1_25transform_config_selectorIyLb0EEEZNS1_14transform_implILb0ES3_S5_NS0_18transform_iteratorINS0_17counting_iteratorImlEEZNS1_24adjacent_difference_implIS3_Lb1ELb0EPyN6thrust23THRUST_200600_302600_NS16discard_iteratorINSD_11use_defaultEEENSD_5minusIyEEEE10hipError_tPvRmT2_T3_mT4_P12ihipStream_tbEUlmE_yEESB_NS0_8identityIvEEEESJ_SM_SN_mSO_SQ_bEUlT_E_NS1_11comp_targetILNS1_3genE0ELNS1_11target_archE4294967295ELNS1_3gpuE0ELNS1_3repE0EEENS1_30default_config_static_selectorELNS0_4arch9wavefront6targetE0EEEvT1_, .Lfunc_end807-_ZN7rocprim17ROCPRIM_400000_NS6detail17trampoline_kernelINS0_14default_configENS1_25transform_config_selectorIyLb0EEEZNS1_14transform_implILb0ES3_S5_NS0_18transform_iteratorINS0_17counting_iteratorImlEEZNS1_24adjacent_difference_implIS3_Lb1ELb0EPyN6thrust23THRUST_200600_302600_NS16discard_iteratorINSD_11use_defaultEEENSD_5minusIyEEEE10hipError_tPvRmT2_T3_mT4_P12ihipStream_tbEUlmE_yEESB_NS0_8identityIvEEEESJ_SM_SN_mSO_SQ_bEUlT_E_NS1_11comp_targetILNS1_3genE0ELNS1_11target_archE4294967295ELNS1_3gpuE0ELNS1_3repE0EEENS1_30default_config_static_selectorELNS0_4arch9wavefront6targetE0EEEvT1_
                                        ; -- End function
	.section	.AMDGPU.csdata,"",@progbits
; Kernel info:
; codeLenInByte = 0
; NumSgprs: 0
; NumVgprs: 0
; ScratchSize: 0
; MemoryBound: 0
; FloatMode: 240
; IeeeMode: 1
; LDSByteSize: 0 bytes/workgroup (compile time only)
; SGPRBlocks: 0
; VGPRBlocks: 0
; NumSGPRsForWavesPerEU: 1
; NumVGPRsForWavesPerEU: 1
; Occupancy: 16
; WaveLimiterHint : 0
; COMPUTE_PGM_RSRC2:SCRATCH_EN: 0
; COMPUTE_PGM_RSRC2:USER_SGPR: 15
; COMPUTE_PGM_RSRC2:TRAP_HANDLER: 0
; COMPUTE_PGM_RSRC2:TGID_X_EN: 1
; COMPUTE_PGM_RSRC2:TGID_Y_EN: 0
; COMPUTE_PGM_RSRC2:TGID_Z_EN: 0
; COMPUTE_PGM_RSRC2:TIDIG_COMP_CNT: 0
	.section	.text._ZN7rocprim17ROCPRIM_400000_NS6detail17trampoline_kernelINS0_14default_configENS1_25transform_config_selectorIyLb0EEEZNS1_14transform_implILb0ES3_S5_NS0_18transform_iteratorINS0_17counting_iteratorImlEEZNS1_24adjacent_difference_implIS3_Lb1ELb0EPyN6thrust23THRUST_200600_302600_NS16discard_iteratorINSD_11use_defaultEEENSD_5minusIyEEEE10hipError_tPvRmT2_T3_mT4_P12ihipStream_tbEUlmE_yEESB_NS0_8identityIvEEEESJ_SM_SN_mSO_SQ_bEUlT_E_NS1_11comp_targetILNS1_3genE5ELNS1_11target_archE942ELNS1_3gpuE9ELNS1_3repE0EEENS1_30default_config_static_selectorELNS0_4arch9wavefront6targetE0EEEvT1_,"axG",@progbits,_ZN7rocprim17ROCPRIM_400000_NS6detail17trampoline_kernelINS0_14default_configENS1_25transform_config_selectorIyLb0EEEZNS1_14transform_implILb0ES3_S5_NS0_18transform_iteratorINS0_17counting_iteratorImlEEZNS1_24adjacent_difference_implIS3_Lb1ELb0EPyN6thrust23THRUST_200600_302600_NS16discard_iteratorINSD_11use_defaultEEENSD_5minusIyEEEE10hipError_tPvRmT2_T3_mT4_P12ihipStream_tbEUlmE_yEESB_NS0_8identityIvEEEESJ_SM_SN_mSO_SQ_bEUlT_E_NS1_11comp_targetILNS1_3genE5ELNS1_11target_archE942ELNS1_3gpuE9ELNS1_3repE0EEENS1_30default_config_static_selectorELNS0_4arch9wavefront6targetE0EEEvT1_,comdat
	.protected	_ZN7rocprim17ROCPRIM_400000_NS6detail17trampoline_kernelINS0_14default_configENS1_25transform_config_selectorIyLb0EEEZNS1_14transform_implILb0ES3_S5_NS0_18transform_iteratorINS0_17counting_iteratorImlEEZNS1_24adjacent_difference_implIS3_Lb1ELb0EPyN6thrust23THRUST_200600_302600_NS16discard_iteratorINSD_11use_defaultEEENSD_5minusIyEEEE10hipError_tPvRmT2_T3_mT4_P12ihipStream_tbEUlmE_yEESB_NS0_8identityIvEEEESJ_SM_SN_mSO_SQ_bEUlT_E_NS1_11comp_targetILNS1_3genE5ELNS1_11target_archE942ELNS1_3gpuE9ELNS1_3repE0EEENS1_30default_config_static_selectorELNS0_4arch9wavefront6targetE0EEEvT1_ ; -- Begin function _ZN7rocprim17ROCPRIM_400000_NS6detail17trampoline_kernelINS0_14default_configENS1_25transform_config_selectorIyLb0EEEZNS1_14transform_implILb0ES3_S5_NS0_18transform_iteratorINS0_17counting_iteratorImlEEZNS1_24adjacent_difference_implIS3_Lb1ELb0EPyN6thrust23THRUST_200600_302600_NS16discard_iteratorINSD_11use_defaultEEENSD_5minusIyEEEE10hipError_tPvRmT2_T3_mT4_P12ihipStream_tbEUlmE_yEESB_NS0_8identityIvEEEESJ_SM_SN_mSO_SQ_bEUlT_E_NS1_11comp_targetILNS1_3genE5ELNS1_11target_archE942ELNS1_3gpuE9ELNS1_3repE0EEENS1_30default_config_static_selectorELNS0_4arch9wavefront6targetE0EEEvT1_
	.globl	_ZN7rocprim17ROCPRIM_400000_NS6detail17trampoline_kernelINS0_14default_configENS1_25transform_config_selectorIyLb0EEEZNS1_14transform_implILb0ES3_S5_NS0_18transform_iteratorINS0_17counting_iteratorImlEEZNS1_24adjacent_difference_implIS3_Lb1ELb0EPyN6thrust23THRUST_200600_302600_NS16discard_iteratorINSD_11use_defaultEEENSD_5minusIyEEEE10hipError_tPvRmT2_T3_mT4_P12ihipStream_tbEUlmE_yEESB_NS0_8identityIvEEEESJ_SM_SN_mSO_SQ_bEUlT_E_NS1_11comp_targetILNS1_3genE5ELNS1_11target_archE942ELNS1_3gpuE9ELNS1_3repE0EEENS1_30default_config_static_selectorELNS0_4arch9wavefront6targetE0EEEvT1_
	.p2align	8
	.type	_ZN7rocprim17ROCPRIM_400000_NS6detail17trampoline_kernelINS0_14default_configENS1_25transform_config_selectorIyLb0EEEZNS1_14transform_implILb0ES3_S5_NS0_18transform_iteratorINS0_17counting_iteratorImlEEZNS1_24adjacent_difference_implIS3_Lb1ELb0EPyN6thrust23THRUST_200600_302600_NS16discard_iteratorINSD_11use_defaultEEENSD_5minusIyEEEE10hipError_tPvRmT2_T3_mT4_P12ihipStream_tbEUlmE_yEESB_NS0_8identityIvEEEESJ_SM_SN_mSO_SQ_bEUlT_E_NS1_11comp_targetILNS1_3genE5ELNS1_11target_archE942ELNS1_3gpuE9ELNS1_3repE0EEENS1_30default_config_static_selectorELNS0_4arch9wavefront6targetE0EEEvT1_,@function
_ZN7rocprim17ROCPRIM_400000_NS6detail17trampoline_kernelINS0_14default_configENS1_25transform_config_selectorIyLb0EEEZNS1_14transform_implILb0ES3_S5_NS0_18transform_iteratorINS0_17counting_iteratorImlEEZNS1_24adjacent_difference_implIS3_Lb1ELb0EPyN6thrust23THRUST_200600_302600_NS16discard_iteratorINSD_11use_defaultEEENSD_5minusIyEEEE10hipError_tPvRmT2_T3_mT4_P12ihipStream_tbEUlmE_yEESB_NS0_8identityIvEEEESJ_SM_SN_mSO_SQ_bEUlT_E_NS1_11comp_targetILNS1_3genE5ELNS1_11target_archE942ELNS1_3gpuE9ELNS1_3repE0EEENS1_30default_config_static_selectorELNS0_4arch9wavefront6targetE0EEEvT1_: ; @_ZN7rocprim17ROCPRIM_400000_NS6detail17trampoline_kernelINS0_14default_configENS1_25transform_config_selectorIyLb0EEEZNS1_14transform_implILb0ES3_S5_NS0_18transform_iteratorINS0_17counting_iteratorImlEEZNS1_24adjacent_difference_implIS3_Lb1ELb0EPyN6thrust23THRUST_200600_302600_NS16discard_iteratorINSD_11use_defaultEEENSD_5minusIyEEEE10hipError_tPvRmT2_T3_mT4_P12ihipStream_tbEUlmE_yEESB_NS0_8identityIvEEEESJ_SM_SN_mSO_SQ_bEUlT_E_NS1_11comp_targetILNS1_3genE5ELNS1_11target_archE942ELNS1_3gpuE9ELNS1_3repE0EEENS1_30default_config_static_selectorELNS0_4arch9wavefront6targetE0EEEvT1_
; %bb.0:
	.section	.rodata,"a",@progbits
	.p2align	6, 0x0
	.amdhsa_kernel _ZN7rocprim17ROCPRIM_400000_NS6detail17trampoline_kernelINS0_14default_configENS1_25transform_config_selectorIyLb0EEEZNS1_14transform_implILb0ES3_S5_NS0_18transform_iteratorINS0_17counting_iteratorImlEEZNS1_24adjacent_difference_implIS3_Lb1ELb0EPyN6thrust23THRUST_200600_302600_NS16discard_iteratorINSD_11use_defaultEEENSD_5minusIyEEEE10hipError_tPvRmT2_T3_mT4_P12ihipStream_tbEUlmE_yEESB_NS0_8identityIvEEEESJ_SM_SN_mSO_SQ_bEUlT_E_NS1_11comp_targetILNS1_3genE5ELNS1_11target_archE942ELNS1_3gpuE9ELNS1_3repE0EEENS1_30default_config_static_selectorELNS0_4arch9wavefront6targetE0EEEvT1_
		.amdhsa_group_segment_fixed_size 0
		.amdhsa_private_segment_fixed_size 0
		.amdhsa_kernarg_size 56
		.amdhsa_user_sgpr_count 15
		.amdhsa_user_sgpr_dispatch_ptr 0
		.amdhsa_user_sgpr_queue_ptr 0
		.amdhsa_user_sgpr_kernarg_segment_ptr 1
		.amdhsa_user_sgpr_dispatch_id 0
		.amdhsa_user_sgpr_private_segment_size 0
		.amdhsa_wavefront_size32 1
		.amdhsa_uses_dynamic_stack 0
		.amdhsa_enable_private_segment 0
		.amdhsa_system_sgpr_workgroup_id_x 1
		.amdhsa_system_sgpr_workgroup_id_y 0
		.amdhsa_system_sgpr_workgroup_id_z 0
		.amdhsa_system_sgpr_workgroup_info 0
		.amdhsa_system_vgpr_workitem_id 0
		.amdhsa_next_free_vgpr 1
		.amdhsa_next_free_sgpr 1
		.amdhsa_reserve_vcc 0
		.amdhsa_float_round_mode_32 0
		.amdhsa_float_round_mode_16_64 0
		.amdhsa_float_denorm_mode_32 3
		.amdhsa_float_denorm_mode_16_64 3
		.amdhsa_dx10_clamp 1
		.amdhsa_ieee_mode 1
		.amdhsa_fp16_overflow 0
		.amdhsa_workgroup_processor_mode 1
		.amdhsa_memory_ordered 1
		.amdhsa_forward_progress 0
		.amdhsa_shared_vgpr_count 0
		.amdhsa_exception_fp_ieee_invalid_op 0
		.amdhsa_exception_fp_denorm_src 0
		.amdhsa_exception_fp_ieee_div_zero 0
		.amdhsa_exception_fp_ieee_overflow 0
		.amdhsa_exception_fp_ieee_underflow 0
		.amdhsa_exception_fp_ieee_inexact 0
		.amdhsa_exception_int_div_zero 0
	.end_amdhsa_kernel
	.section	.text._ZN7rocprim17ROCPRIM_400000_NS6detail17trampoline_kernelINS0_14default_configENS1_25transform_config_selectorIyLb0EEEZNS1_14transform_implILb0ES3_S5_NS0_18transform_iteratorINS0_17counting_iteratorImlEEZNS1_24adjacent_difference_implIS3_Lb1ELb0EPyN6thrust23THRUST_200600_302600_NS16discard_iteratorINSD_11use_defaultEEENSD_5minusIyEEEE10hipError_tPvRmT2_T3_mT4_P12ihipStream_tbEUlmE_yEESB_NS0_8identityIvEEEESJ_SM_SN_mSO_SQ_bEUlT_E_NS1_11comp_targetILNS1_3genE5ELNS1_11target_archE942ELNS1_3gpuE9ELNS1_3repE0EEENS1_30default_config_static_selectorELNS0_4arch9wavefront6targetE0EEEvT1_,"axG",@progbits,_ZN7rocprim17ROCPRIM_400000_NS6detail17trampoline_kernelINS0_14default_configENS1_25transform_config_selectorIyLb0EEEZNS1_14transform_implILb0ES3_S5_NS0_18transform_iteratorINS0_17counting_iteratorImlEEZNS1_24adjacent_difference_implIS3_Lb1ELb0EPyN6thrust23THRUST_200600_302600_NS16discard_iteratorINSD_11use_defaultEEENSD_5minusIyEEEE10hipError_tPvRmT2_T3_mT4_P12ihipStream_tbEUlmE_yEESB_NS0_8identityIvEEEESJ_SM_SN_mSO_SQ_bEUlT_E_NS1_11comp_targetILNS1_3genE5ELNS1_11target_archE942ELNS1_3gpuE9ELNS1_3repE0EEENS1_30default_config_static_selectorELNS0_4arch9wavefront6targetE0EEEvT1_,comdat
.Lfunc_end808:
	.size	_ZN7rocprim17ROCPRIM_400000_NS6detail17trampoline_kernelINS0_14default_configENS1_25transform_config_selectorIyLb0EEEZNS1_14transform_implILb0ES3_S5_NS0_18transform_iteratorINS0_17counting_iteratorImlEEZNS1_24adjacent_difference_implIS3_Lb1ELb0EPyN6thrust23THRUST_200600_302600_NS16discard_iteratorINSD_11use_defaultEEENSD_5minusIyEEEE10hipError_tPvRmT2_T3_mT4_P12ihipStream_tbEUlmE_yEESB_NS0_8identityIvEEEESJ_SM_SN_mSO_SQ_bEUlT_E_NS1_11comp_targetILNS1_3genE5ELNS1_11target_archE942ELNS1_3gpuE9ELNS1_3repE0EEENS1_30default_config_static_selectorELNS0_4arch9wavefront6targetE0EEEvT1_, .Lfunc_end808-_ZN7rocprim17ROCPRIM_400000_NS6detail17trampoline_kernelINS0_14default_configENS1_25transform_config_selectorIyLb0EEEZNS1_14transform_implILb0ES3_S5_NS0_18transform_iteratorINS0_17counting_iteratorImlEEZNS1_24adjacent_difference_implIS3_Lb1ELb0EPyN6thrust23THRUST_200600_302600_NS16discard_iteratorINSD_11use_defaultEEENSD_5minusIyEEEE10hipError_tPvRmT2_T3_mT4_P12ihipStream_tbEUlmE_yEESB_NS0_8identityIvEEEESJ_SM_SN_mSO_SQ_bEUlT_E_NS1_11comp_targetILNS1_3genE5ELNS1_11target_archE942ELNS1_3gpuE9ELNS1_3repE0EEENS1_30default_config_static_selectorELNS0_4arch9wavefront6targetE0EEEvT1_
                                        ; -- End function
	.section	.AMDGPU.csdata,"",@progbits
; Kernel info:
; codeLenInByte = 0
; NumSgprs: 0
; NumVgprs: 0
; ScratchSize: 0
; MemoryBound: 0
; FloatMode: 240
; IeeeMode: 1
; LDSByteSize: 0 bytes/workgroup (compile time only)
; SGPRBlocks: 0
; VGPRBlocks: 0
; NumSGPRsForWavesPerEU: 1
; NumVGPRsForWavesPerEU: 1
; Occupancy: 16
; WaveLimiterHint : 0
; COMPUTE_PGM_RSRC2:SCRATCH_EN: 0
; COMPUTE_PGM_RSRC2:USER_SGPR: 15
; COMPUTE_PGM_RSRC2:TRAP_HANDLER: 0
; COMPUTE_PGM_RSRC2:TGID_X_EN: 1
; COMPUTE_PGM_RSRC2:TGID_Y_EN: 0
; COMPUTE_PGM_RSRC2:TGID_Z_EN: 0
; COMPUTE_PGM_RSRC2:TIDIG_COMP_CNT: 0
	.section	.text._ZN7rocprim17ROCPRIM_400000_NS6detail17trampoline_kernelINS0_14default_configENS1_25transform_config_selectorIyLb0EEEZNS1_14transform_implILb0ES3_S5_NS0_18transform_iteratorINS0_17counting_iteratorImlEEZNS1_24adjacent_difference_implIS3_Lb1ELb0EPyN6thrust23THRUST_200600_302600_NS16discard_iteratorINSD_11use_defaultEEENSD_5minusIyEEEE10hipError_tPvRmT2_T3_mT4_P12ihipStream_tbEUlmE_yEESB_NS0_8identityIvEEEESJ_SM_SN_mSO_SQ_bEUlT_E_NS1_11comp_targetILNS1_3genE4ELNS1_11target_archE910ELNS1_3gpuE8ELNS1_3repE0EEENS1_30default_config_static_selectorELNS0_4arch9wavefront6targetE0EEEvT1_,"axG",@progbits,_ZN7rocprim17ROCPRIM_400000_NS6detail17trampoline_kernelINS0_14default_configENS1_25transform_config_selectorIyLb0EEEZNS1_14transform_implILb0ES3_S5_NS0_18transform_iteratorINS0_17counting_iteratorImlEEZNS1_24adjacent_difference_implIS3_Lb1ELb0EPyN6thrust23THRUST_200600_302600_NS16discard_iteratorINSD_11use_defaultEEENSD_5minusIyEEEE10hipError_tPvRmT2_T3_mT4_P12ihipStream_tbEUlmE_yEESB_NS0_8identityIvEEEESJ_SM_SN_mSO_SQ_bEUlT_E_NS1_11comp_targetILNS1_3genE4ELNS1_11target_archE910ELNS1_3gpuE8ELNS1_3repE0EEENS1_30default_config_static_selectorELNS0_4arch9wavefront6targetE0EEEvT1_,comdat
	.protected	_ZN7rocprim17ROCPRIM_400000_NS6detail17trampoline_kernelINS0_14default_configENS1_25transform_config_selectorIyLb0EEEZNS1_14transform_implILb0ES3_S5_NS0_18transform_iteratorINS0_17counting_iteratorImlEEZNS1_24adjacent_difference_implIS3_Lb1ELb0EPyN6thrust23THRUST_200600_302600_NS16discard_iteratorINSD_11use_defaultEEENSD_5minusIyEEEE10hipError_tPvRmT2_T3_mT4_P12ihipStream_tbEUlmE_yEESB_NS0_8identityIvEEEESJ_SM_SN_mSO_SQ_bEUlT_E_NS1_11comp_targetILNS1_3genE4ELNS1_11target_archE910ELNS1_3gpuE8ELNS1_3repE0EEENS1_30default_config_static_selectorELNS0_4arch9wavefront6targetE0EEEvT1_ ; -- Begin function _ZN7rocprim17ROCPRIM_400000_NS6detail17trampoline_kernelINS0_14default_configENS1_25transform_config_selectorIyLb0EEEZNS1_14transform_implILb0ES3_S5_NS0_18transform_iteratorINS0_17counting_iteratorImlEEZNS1_24adjacent_difference_implIS3_Lb1ELb0EPyN6thrust23THRUST_200600_302600_NS16discard_iteratorINSD_11use_defaultEEENSD_5minusIyEEEE10hipError_tPvRmT2_T3_mT4_P12ihipStream_tbEUlmE_yEESB_NS0_8identityIvEEEESJ_SM_SN_mSO_SQ_bEUlT_E_NS1_11comp_targetILNS1_3genE4ELNS1_11target_archE910ELNS1_3gpuE8ELNS1_3repE0EEENS1_30default_config_static_selectorELNS0_4arch9wavefront6targetE0EEEvT1_
	.globl	_ZN7rocprim17ROCPRIM_400000_NS6detail17trampoline_kernelINS0_14default_configENS1_25transform_config_selectorIyLb0EEEZNS1_14transform_implILb0ES3_S5_NS0_18transform_iteratorINS0_17counting_iteratorImlEEZNS1_24adjacent_difference_implIS3_Lb1ELb0EPyN6thrust23THRUST_200600_302600_NS16discard_iteratorINSD_11use_defaultEEENSD_5minusIyEEEE10hipError_tPvRmT2_T3_mT4_P12ihipStream_tbEUlmE_yEESB_NS0_8identityIvEEEESJ_SM_SN_mSO_SQ_bEUlT_E_NS1_11comp_targetILNS1_3genE4ELNS1_11target_archE910ELNS1_3gpuE8ELNS1_3repE0EEENS1_30default_config_static_selectorELNS0_4arch9wavefront6targetE0EEEvT1_
	.p2align	8
	.type	_ZN7rocprim17ROCPRIM_400000_NS6detail17trampoline_kernelINS0_14default_configENS1_25transform_config_selectorIyLb0EEEZNS1_14transform_implILb0ES3_S5_NS0_18transform_iteratorINS0_17counting_iteratorImlEEZNS1_24adjacent_difference_implIS3_Lb1ELb0EPyN6thrust23THRUST_200600_302600_NS16discard_iteratorINSD_11use_defaultEEENSD_5minusIyEEEE10hipError_tPvRmT2_T3_mT4_P12ihipStream_tbEUlmE_yEESB_NS0_8identityIvEEEESJ_SM_SN_mSO_SQ_bEUlT_E_NS1_11comp_targetILNS1_3genE4ELNS1_11target_archE910ELNS1_3gpuE8ELNS1_3repE0EEENS1_30default_config_static_selectorELNS0_4arch9wavefront6targetE0EEEvT1_,@function
_ZN7rocprim17ROCPRIM_400000_NS6detail17trampoline_kernelINS0_14default_configENS1_25transform_config_selectorIyLb0EEEZNS1_14transform_implILb0ES3_S5_NS0_18transform_iteratorINS0_17counting_iteratorImlEEZNS1_24adjacent_difference_implIS3_Lb1ELb0EPyN6thrust23THRUST_200600_302600_NS16discard_iteratorINSD_11use_defaultEEENSD_5minusIyEEEE10hipError_tPvRmT2_T3_mT4_P12ihipStream_tbEUlmE_yEESB_NS0_8identityIvEEEESJ_SM_SN_mSO_SQ_bEUlT_E_NS1_11comp_targetILNS1_3genE4ELNS1_11target_archE910ELNS1_3gpuE8ELNS1_3repE0EEENS1_30default_config_static_selectorELNS0_4arch9wavefront6targetE0EEEvT1_: ; @_ZN7rocprim17ROCPRIM_400000_NS6detail17trampoline_kernelINS0_14default_configENS1_25transform_config_selectorIyLb0EEEZNS1_14transform_implILb0ES3_S5_NS0_18transform_iteratorINS0_17counting_iteratorImlEEZNS1_24adjacent_difference_implIS3_Lb1ELb0EPyN6thrust23THRUST_200600_302600_NS16discard_iteratorINSD_11use_defaultEEENSD_5minusIyEEEE10hipError_tPvRmT2_T3_mT4_P12ihipStream_tbEUlmE_yEESB_NS0_8identityIvEEEESJ_SM_SN_mSO_SQ_bEUlT_E_NS1_11comp_targetILNS1_3genE4ELNS1_11target_archE910ELNS1_3gpuE8ELNS1_3repE0EEENS1_30default_config_static_selectorELNS0_4arch9wavefront6targetE0EEEvT1_
; %bb.0:
	.section	.rodata,"a",@progbits
	.p2align	6, 0x0
	.amdhsa_kernel _ZN7rocprim17ROCPRIM_400000_NS6detail17trampoline_kernelINS0_14default_configENS1_25transform_config_selectorIyLb0EEEZNS1_14transform_implILb0ES3_S5_NS0_18transform_iteratorINS0_17counting_iteratorImlEEZNS1_24adjacent_difference_implIS3_Lb1ELb0EPyN6thrust23THRUST_200600_302600_NS16discard_iteratorINSD_11use_defaultEEENSD_5minusIyEEEE10hipError_tPvRmT2_T3_mT4_P12ihipStream_tbEUlmE_yEESB_NS0_8identityIvEEEESJ_SM_SN_mSO_SQ_bEUlT_E_NS1_11comp_targetILNS1_3genE4ELNS1_11target_archE910ELNS1_3gpuE8ELNS1_3repE0EEENS1_30default_config_static_selectorELNS0_4arch9wavefront6targetE0EEEvT1_
		.amdhsa_group_segment_fixed_size 0
		.amdhsa_private_segment_fixed_size 0
		.amdhsa_kernarg_size 56
		.amdhsa_user_sgpr_count 15
		.amdhsa_user_sgpr_dispatch_ptr 0
		.amdhsa_user_sgpr_queue_ptr 0
		.amdhsa_user_sgpr_kernarg_segment_ptr 1
		.amdhsa_user_sgpr_dispatch_id 0
		.amdhsa_user_sgpr_private_segment_size 0
		.amdhsa_wavefront_size32 1
		.amdhsa_uses_dynamic_stack 0
		.amdhsa_enable_private_segment 0
		.amdhsa_system_sgpr_workgroup_id_x 1
		.amdhsa_system_sgpr_workgroup_id_y 0
		.amdhsa_system_sgpr_workgroup_id_z 0
		.amdhsa_system_sgpr_workgroup_info 0
		.amdhsa_system_vgpr_workitem_id 0
		.amdhsa_next_free_vgpr 1
		.amdhsa_next_free_sgpr 1
		.amdhsa_reserve_vcc 0
		.amdhsa_float_round_mode_32 0
		.amdhsa_float_round_mode_16_64 0
		.amdhsa_float_denorm_mode_32 3
		.amdhsa_float_denorm_mode_16_64 3
		.amdhsa_dx10_clamp 1
		.amdhsa_ieee_mode 1
		.amdhsa_fp16_overflow 0
		.amdhsa_workgroup_processor_mode 1
		.amdhsa_memory_ordered 1
		.amdhsa_forward_progress 0
		.amdhsa_shared_vgpr_count 0
		.amdhsa_exception_fp_ieee_invalid_op 0
		.amdhsa_exception_fp_denorm_src 0
		.amdhsa_exception_fp_ieee_div_zero 0
		.amdhsa_exception_fp_ieee_overflow 0
		.amdhsa_exception_fp_ieee_underflow 0
		.amdhsa_exception_fp_ieee_inexact 0
		.amdhsa_exception_int_div_zero 0
	.end_amdhsa_kernel
	.section	.text._ZN7rocprim17ROCPRIM_400000_NS6detail17trampoline_kernelINS0_14default_configENS1_25transform_config_selectorIyLb0EEEZNS1_14transform_implILb0ES3_S5_NS0_18transform_iteratorINS0_17counting_iteratorImlEEZNS1_24adjacent_difference_implIS3_Lb1ELb0EPyN6thrust23THRUST_200600_302600_NS16discard_iteratorINSD_11use_defaultEEENSD_5minusIyEEEE10hipError_tPvRmT2_T3_mT4_P12ihipStream_tbEUlmE_yEESB_NS0_8identityIvEEEESJ_SM_SN_mSO_SQ_bEUlT_E_NS1_11comp_targetILNS1_3genE4ELNS1_11target_archE910ELNS1_3gpuE8ELNS1_3repE0EEENS1_30default_config_static_selectorELNS0_4arch9wavefront6targetE0EEEvT1_,"axG",@progbits,_ZN7rocprim17ROCPRIM_400000_NS6detail17trampoline_kernelINS0_14default_configENS1_25transform_config_selectorIyLb0EEEZNS1_14transform_implILb0ES3_S5_NS0_18transform_iteratorINS0_17counting_iteratorImlEEZNS1_24adjacent_difference_implIS3_Lb1ELb0EPyN6thrust23THRUST_200600_302600_NS16discard_iteratorINSD_11use_defaultEEENSD_5minusIyEEEE10hipError_tPvRmT2_T3_mT4_P12ihipStream_tbEUlmE_yEESB_NS0_8identityIvEEEESJ_SM_SN_mSO_SQ_bEUlT_E_NS1_11comp_targetILNS1_3genE4ELNS1_11target_archE910ELNS1_3gpuE8ELNS1_3repE0EEENS1_30default_config_static_selectorELNS0_4arch9wavefront6targetE0EEEvT1_,comdat
.Lfunc_end809:
	.size	_ZN7rocprim17ROCPRIM_400000_NS6detail17trampoline_kernelINS0_14default_configENS1_25transform_config_selectorIyLb0EEEZNS1_14transform_implILb0ES3_S5_NS0_18transform_iteratorINS0_17counting_iteratorImlEEZNS1_24adjacent_difference_implIS3_Lb1ELb0EPyN6thrust23THRUST_200600_302600_NS16discard_iteratorINSD_11use_defaultEEENSD_5minusIyEEEE10hipError_tPvRmT2_T3_mT4_P12ihipStream_tbEUlmE_yEESB_NS0_8identityIvEEEESJ_SM_SN_mSO_SQ_bEUlT_E_NS1_11comp_targetILNS1_3genE4ELNS1_11target_archE910ELNS1_3gpuE8ELNS1_3repE0EEENS1_30default_config_static_selectorELNS0_4arch9wavefront6targetE0EEEvT1_, .Lfunc_end809-_ZN7rocprim17ROCPRIM_400000_NS6detail17trampoline_kernelINS0_14default_configENS1_25transform_config_selectorIyLb0EEEZNS1_14transform_implILb0ES3_S5_NS0_18transform_iteratorINS0_17counting_iteratorImlEEZNS1_24adjacent_difference_implIS3_Lb1ELb0EPyN6thrust23THRUST_200600_302600_NS16discard_iteratorINSD_11use_defaultEEENSD_5minusIyEEEE10hipError_tPvRmT2_T3_mT4_P12ihipStream_tbEUlmE_yEESB_NS0_8identityIvEEEESJ_SM_SN_mSO_SQ_bEUlT_E_NS1_11comp_targetILNS1_3genE4ELNS1_11target_archE910ELNS1_3gpuE8ELNS1_3repE0EEENS1_30default_config_static_selectorELNS0_4arch9wavefront6targetE0EEEvT1_
                                        ; -- End function
	.section	.AMDGPU.csdata,"",@progbits
; Kernel info:
; codeLenInByte = 0
; NumSgprs: 0
; NumVgprs: 0
; ScratchSize: 0
; MemoryBound: 0
; FloatMode: 240
; IeeeMode: 1
; LDSByteSize: 0 bytes/workgroup (compile time only)
; SGPRBlocks: 0
; VGPRBlocks: 0
; NumSGPRsForWavesPerEU: 1
; NumVGPRsForWavesPerEU: 1
; Occupancy: 16
; WaveLimiterHint : 0
; COMPUTE_PGM_RSRC2:SCRATCH_EN: 0
; COMPUTE_PGM_RSRC2:USER_SGPR: 15
; COMPUTE_PGM_RSRC2:TRAP_HANDLER: 0
; COMPUTE_PGM_RSRC2:TGID_X_EN: 1
; COMPUTE_PGM_RSRC2:TGID_Y_EN: 0
; COMPUTE_PGM_RSRC2:TGID_Z_EN: 0
; COMPUTE_PGM_RSRC2:TIDIG_COMP_CNT: 0
	.section	.text._ZN7rocprim17ROCPRIM_400000_NS6detail17trampoline_kernelINS0_14default_configENS1_25transform_config_selectorIyLb0EEEZNS1_14transform_implILb0ES3_S5_NS0_18transform_iteratorINS0_17counting_iteratorImlEEZNS1_24adjacent_difference_implIS3_Lb1ELb0EPyN6thrust23THRUST_200600_302600_NS16discard_iteratorINSD_11use_defaultEEENSD_5minusIyEEEE10hipError_tPvRmT2_T3_mT4_P12ihipStream_tbEUlmE_yEESB_NS0_8identityIvEEEESJ_SM_SN_mSO_SQ_bEUlT_E_NS1_11comp_targetILNS1_3genE3ELNS1_11target_archE908ELNS1_3gpuE7ELNS1_3repE0EEENS1_30default_config_static_selectorELNS0_4arch9wavefront6targetE0EEEvT1_,"axG",@progbits,_ZN7rocprim17ROCPRIM_400000_NS6detail17trampoline_kernelINS0_14default_configENS1_25transform_config_selectorIyLb0EEEZNS1_14transform_implILb0ES3_S5_NS0_18transform_iteratorINS0_17counting_iteratorImlEEZNS1_24adjacent_difference_implIS3_Lb1ELb0EPyN6thrust23THRUST_200600_302600_NS16discard_iteratorINSD_11use_defaultEEENSD_5minusIyEEEE10hipError_tPvRmT2_T3_mT4_P12ihipStream_tbEUlmE_yEESB_NS0_8identityIvEEEESJ_SM_SN_mSO_SQ_bEUlT_E_NS1_11comp_targetILNS1_3genE3ELNS1_11target_archE908ELNS1_3gpuE7ELNS1_3repE0EEENS1_30default_config_static_selectorELNS0_4arch9wavefront6targetE0EEEvT1_,comdat
	.protected	_ZN7rocprim17ROCPRIM_400000_NS6detail17trampoline_kernelINS0_14default_configENS1_25transform_config_selectorIyLb0EEEZNS1_14transform_implILb0ES3_S5_NS0_18transform_iteratorINS0_17counting_iteratorImlEEZNS1_24adjacent_difference_implIS3_Lb1ELb0EPyN6thrust23THRUST_200600_302600_NS16discard_iteratorINSD_11use_defaultEEENSD_5minusIyEEEE10hipError_tPvRmT2_T3_mT4_P12ihipStream_tbEUlmE_yEESB_NS0_8identityIvEEEESJ_SM_SN_mSO_SQ_bEUlT_E_NS1_11comp_targetILNS1_3genE3ELNS1_11target_archE908ELNS1_3gpuE7ELNS1_3repE0EEENS1_30default_config_static_selectorELNS0_4arch9wavefront6targetE0EEEvT1_ ; -- Begin function _ZN7rocprim17ROCPRIM_400000_NS6detail17trampoline_kernelINS0_14default_configENS1_25transform_config_selectorIyLb0EEEZNS1_14transform_implILb0ES3_S5_NS0_18transform_iteratorINS0_17counting_iteratorImlEEZNS1_24adjacent_difference_implIS3_Lb1ELb0EPyN6thrust23THRUST_200600_302600_NS16discard_iteratorINSD_11use_defaultEEENSD_5minusIyEEEE10hipError_tPvRmT2_T3_mT4_P12ihipStream_tbEUlmE_yEESB_NS0_8identityIvEEEESJ_SM_SN_mSO_SQ_bEUlT_E_NS1_11comp_targetILNS1_3genE3ELNS1_11target_archE908ELNS1_3gpuE7ELNS1_3repE0EEENS1_30default_config_static_selectorELNS0_4arch9wavefront6targetE0EEEvT1_
	.globl	_ZN7rocprim17ROCPRIM_400000_NS6detail17trampoline_kernelINS0_14default_configENS1_25transform_config_selectorIyLb0EEEZNS1_14transform_implILb0ES3_S5_NS0_18transform_iteratorINS0_17counting_iteratorImlEEZNS1_24adjacent_difference_implIS3_Lb1ELb0EPyN6thrust23THRUST_200600_302600_NS16discard_iteratorINSD_11use_defaultEEENSD_5minusIyEEEE10hipError_tPvRmT2_T3_mT4_P12ihipStream_tbEUlmE_yEESB_NS0_8identityIvEEEESJ_SM_SN_mSO_SQ_bEUlT_E_NS1_11comp_targetILNS1_3genE3ELNS1_11target_archE908ELNS1_3gpuE7ELNS1_3repE0EEENS1_30default_config_static_selectorELNS0_4arch9wavefront6targetE0EEEvT1_
	.p2align	8
	.type	_ZN7rocprim17ROCPRIM_400000_NS6detail17trampoline_kernelINS0_14default_configENS1_25transform_config_selectorIyLb0EEEZNS1_14transform_implILb0ES3_S5_NS0_18transform_iteratorINS0_17counting_iteratorImlEEZNS1_24adjacent_difference_implIS3_Lb1ELb0EPyN6thrust23THRUST_200600_302600_NS16discard_iteratorINSD_11use_defaultEEENSD_5minusIyEEEE10hipError_tPvRmT2_T3_mT4_P12ihipStream_tbEUlmE_yEESB_NS0_8identityIvEEEESJ_SM_SN_mSO_SQ_bEUlT_E_NS1_11comp_targetILNS1_3genE3ELNS1_11target_archE908ELNS1_3gpuE7ELNS1_3repE0EEENS1_30default_config_static_selectorELNS0_4arch9wavefront6targetE0EEEvT1_,@function
_ZN7rocprim17ROCPRIM_400000_NS6detail17trampoline_kernelINS0_14default_configENS1_25transform_config_selectorIyLb0EEEZNS1_14transform_implILb0ES3_S5_NS0_18transform_iteratorINS0_17counting_iteratorImlEEZNS1_24adjacent_difference_implIS3_Lb1ELb0EPyN6thrust23THRUST_200600_302600_NS16discard_iteratorINSD_11use_defaultEEENSD_5minusIyEEEE10hipError_tPvRmT2_T3_mT4_P12ihipStream_tbEUlmE_yEESB_NS0_8identityIvEEEESJ_SM_SN_mSO_SQ_bEUlT_E_NS1_11comp_targetILNS1_3genE3ELNS1_11target_archE908ELNS1_3gpuE7ELNS1_3repE0EEENS1_30default_config_static_selectorELNS0_4arch9wavefront6targetE0EEEvT1_: ; @_ZN7rocprim17ROCPRIM_400000_NS6detail17trampoline_kernelINS0_14default_configENS1_25transform_config_selectorIyLb0EEEZNS1_14transform_implILb0ES3_S5_NS0_18transform_iteratorINS0_17counting_iteratorImlEEZNS1_24adjacent_difference_implIS3_Lb1ELb0EPyN6thrust23THRUST_200600_302600_NS16discard_iteratorINSD_11use_defaultEEENSD_5minusIyEEEE10hipError_tPvRmT2_T3_mT4_P12ihipStream_tbEUlmE_yEESB_NS0_8identityIvEEEESJ_SM_SN_mSO_SQ_bEUlT_E_NS1_11comp_targetILNS1_3genE3ELNS1_11target_archE908ELNS1_3gpuE7ELNS1_3repE0EEENS1_30default_config_static_selectorELNS0_4arch9wavefront6targetE0EEEvT1_
; %bb.0:
	.section	.rodata,"a",@progbits
	.p2align	6, 0x0
	.amdhsa_kernel _ZN7rocprim17ROCPRIM_400000_NS6detail17trampoline_kernelINS0_14default_configENS1_25transform_config_selectorIyLb0EEEZNS1_14transform_implILb0ES3_S5_NS0_18transform_iteratorINS0_17counting_iteratorImlEEZNS1_24adjacent_difference_implIS3_Lb1ELb0EPyN6thrust23THRUST_200600_302600_NS16discard_iteratorINSD_11use_defaultEEENSD_5minusIyEEEE10hipError_tPvRmT2_T3_mT4_P12ihipStream_tbEUlmE_yEESB_NS0_8identityIvEEEESJ_SM_SN_mSO_SQ_bEUlT_E_NS1_11comp_targetILNS1_3genE3ELNS1_11target_archE908ELNS1_3gpuE7ELNS1_3repE0EEENS1_30default_config_static_selectorELNS0_4arch9wavefront6targetE0EEEvT1_
		.amdhsa_group_segment_fixed_size 0
		.amdhsa_private_segment_fixed_size 0
		.amdhsa_kernarg_size 56
		.amdhsa_user_sgpr_count 15
		.amdhsa_user_sgpr_dispatch_ptr 0
		.amdhsa_user_sgpr_queue_ptr 0
		.amdhsa_user_sgpr_kernarg_segment_ptr 1
		.amdhsa_user_sgpr_dispatch_id 0
		.amdhsa_user_sgpr_private_segment_size 0
		.amdhsa_wavefront_size32 1
		.amdhsa_uses_dynamic_stack 0
		.amdhsa_enable_private_segment 0
		.amdhsa_system_sgpr_workgroup_id_x 1
		.amdhsa_system_sgpr_workgroup_id_y 0
		.amdhsa_system_sgpr_workgroup_id_z 0
		.amdhsa_system_sgpr_workgroup_info 0
		.amdhsa_system_vgpr_workitem_id 0
		.amdhsa_next_free_vgpr 1
		.amdhsa_next_free_sgpr 1
		.amdhsa_reserve_vcc 0
		.amdhsa_float_round_mode_32 0
		.amdhsa_float_round_mode_16_64 0
		.amdhsa_float_denorm_mode_32 3
		.amdhsa_float_denorm_mode_16_64 3
		.amdhsa_dx10_clamp 1
		.amdhsa_ieee_mode 1
		.amdhsa_fp16_overflow 0
		.amdhsa_workgroup_processor_mode 1
		.amdhsa_memory_ordered 1
		.amdhsa_forward_progress 0
		.amdhsa_shared_vgpr_count 0
		.amdhsa_exception_fp_ieee_invalid_op 0
		.amdhsa_exception_fp_denorm_src 0
		.amdhsa_exception_fp_ieee_div_zero 0
		.amdhsa_exception_fp_ieee_overflow 0
		.amdhsa_exception_fp_ieee_underflow 0
		.amdhsa_exception_fp_ieee_inexact 0
		.amdhsa_exception_int_div_zero 0
	.end_amdhsa_kernel
	.section	.text._ZN7rocprim17ROCPRIM_400000_NS6detail17trampoline_kernelINS0_14default_configENS1_25transform_config_selectorIyLb0EEEZNS1_14transform_implILb0ES3_S5_NS0_18transform_iteratorINS0_17counting_iteratorImlEEZNS1_24adjacent_difference_implIS3_Lb1ELb0EPyN6thrust23THRUST_200600_302600_NS16discard_iteratorINSD_11use_defaultEEENSD_5minusIyEEEE10hipError_tPvRmT2_T3_mT4_P12ihipStream_tbEUlmE_yEESB_NS0_8identityIvEEEESJ_SM_SN_mSO_SQ_bEUlT_E_NS1_11comp_targetILNS1_3genE3ELNS1_11target_archE908ELNS1_3gpuE7ELNS1_3repE0EEENS1_30default_config_static_selectorELNS0_4arch9wavefront6targetE0EEEvT1_,"axG",@progbits,_ZN7rocprim17ROCPRIM_400000_NS6detail17trampoline_kernelINS0_14default_configENS1_25transform_config_selectorIyLb0EEEZNS1_14transform_implILb0ES3_S5_NS0_18transform_iteratorINS0_17counting_iteratorImlEEZNS1_24adjacent_difference_implIS3_Lb1ELb0EPyN6thrust23THRUST_200600_302600_NS16discard_iteratorINSD_11use_defaultEEENSD_5minusIyEEEE10hipError_tPvRmT2_T3_mT4_P12ihipStream_tbEUlmE_yEESB_NS0_8identityIvEEEESJ_SM_SN_mSO_SQ_bEUlT_E_NS1_11comp_targetILNS1_3genE3ELNS1_11target_archE908ELNS1_3gpuE7ELNS1_3repE0EEENS1_30default_config_static_selectorELNS0_4arch9wavefront6targetE0EEEvT1_,comdat
.Lfunc_end810:
	.size	_ZN7rocprim17ROCPRIM_400000_NS6detail17trampoline_kernelINS0_14default_configENS1_25transform_config_selectorIyLb0EEEZNS1_14transform_implILb0ES3_S5_NS0_18transform_iteratorINS0_17counting_iteratorImlEEZNS1_24adjacent_difference_implIS3_Lb1ELb0EPyN6thrust23THRUST_200600_302600_NS16discard_iteratorINSD_11use_defaultEEENSD_5minusIyEEEE10hipError_tPvRmT2_T3_mT4_P12ihipStream_tbEUlmE_yEESB_NS0_8identityIvEEEESJ_SM_SN_mSO_SQ_bEUlT_E_NS1_11comp_targetILNS1_3genE3ELNS1_11target_archE908ELNS1_3gpuE7ELNS1_3repE0EEENS1_30default_config_static_selectorELNS0_4arch9wavefront6targetE0EEEvT1_, .Lfunc_end810-_ZN7rocprim17ROCPRIM_400000_NS6detail17trampoline_kernelINS0_14default_configENS1_25transform_config_selectorIyLb0EEEZNS1_14transform_implILb0ES3_S5_NS0_18transform_iteratorINS0_17counting_iteratorImlEEZNS1_24adjacent_difference_implIS3_Lb1ELb0EPyN6thrust23THRUST_200600_302600_NS16discard_iteratorINSD_11use_defaultEEENSD_5minusIyEEEE10hipError_tPvRmT2_T3_mT4_P12ihipStream_tbEUlmE_yEESB_NS0_8identityIvEEEESJ_SM_SN_mSO_SQ_bEUlT_E_NS1_11comp_targetILNS1_3genE3ELNS1_11target_archE908ELNS1_3gpuE7ELNS1_3repE0EEENS1_30default_config_static_selectorELNS0_4arch9wavefront6targetE0EEEvT1_
                                        ; -- End function
	.section	.AMDGPU.csdata,"",@progbits
; Kernel info:
; codeLenInByte = 0
; NumSgprs: 0
; NumVgprs: 0
; ScratchSize: 0
; MemoryBound: 0
; FloatMode: 240
; IeeeMode: 1
; LDSByteSize: 0 bytes/workgroup (compile time only)
; SGPRBlocks: 0
; VGPRBlocks: 0
; NumSGPRsForWavesPerEU: 1
; NumVGPRsForWavesPerEU: 1
; Occupancy: 16
; WaveLimiterHint : 0
; COMPUTE_PGM_RSRC2:SCRATCH_EN: 0
; COMPUTE_PGM_RSRC2:USER_SGPR: 15
; COMPUTE_PGM_RSRC2:TRAP_HANDLER: 0
; COMPUTE_PGM_RSRC2:TGID_X_EN: 1
; COMPUTE_PGM_RSRC2:TGID_Y_EN: 0
; COMPUTE_PGM_RSRC2:TGID_Z_EN: 0
; COMPUTE_PGM_RSRC2:TIDIG_COMP_CNT: 0
	.section	.text._ZN7rocprim17ROCPRIM_400000_NS6detail17trampoline_kernelINS0_14default_configENS1_25transform_config_selectorIyLb0EEEZNS1_14transform_implILb0ES3_S5_NS0_18transform_iteratorINS0_17counting_iteratorImlEEZNS1_24adjacent_difference_implIS3_Lb1ELb0EPyN6thrust23THRUST_200600_302600_NS16discard_iteratorINSD_11use_defaultEEENSD_5minusIyEEEE10hipError_tPvRmT2_T3_mT4_P12ihipStream_tbEUlmE_yEESB_NS0_8identityIvEEEESJ_SM_SN_mSO_SQ_bEUlT_E_NS1_11comp_targetILNS1_3genE2ELNS1_11target_archE906ELNS1_3gpuE6ELNS1_3repE0EEENS1_30default_config_static_selectorELNS0_4arch9wavefront6targetE0EEEvT1_,"axG",@progbits,_ZN7rocprim17ROCPRIM_400000_NS6detail17trampoline_kernelINS0_14default_configENS1_25transform_config_selectorIyLb0EEEZNS1_14transform_implILb0ES3_S5_NS0_18transform_iteratorINS0_17counting_iteratorImlEEZNS1_24adjacent_difference_implIS3_Lb1ELb0EPyN6thrust23THRUST_200600_302600_NS16discard_iteratorINSD_11use_defaultEEENSD_5minusIyEEEE10hipError_tPvRmT2_T3_mT4_P12ihipStream_tbEUlmE_yEESB_NS0_8identityIvEEEESJ_SM_SN_mSO_SQ_bEUlT_E_NS1_11comp_targetILNS1_3genE2ELNS1_11target_archE906ELNS1_3gpuE6ELNS1_3repE0EEENS1_30default_config_static_selectorELNS0_4arch9wavefront6targetE0EEEvT1_,comdat
	.protected	_ZN7rocprim17ROCPRIM_400000_NS6detail17trampoline_kernelINS0_14default_configENS1_25transform_config_selectorIyLb0EEEZNS1_14transform_implILb0ES3_S5_NS0_18transform_iteratorINS0_17counting_iteratorImlEEZNS1_24adjacent_difference_implIS3_Lb1ELb0EPyN6thrust23THRUST_200600_302600_NS16discard_iteratorINSD_11use_defaultEEENSD_5minusIyEEEE10hipError_tPvRmT2_T3_mT4_P12ihipStream_tbEUlmE_yEESB_NS0_8identityIvEEEESJ_SM_SN_mSO_SQ_bEUlT_E_NS1_11comp_targetILNS1_3genE2ELNS1_11target_archE906ELNS1_3gpuE6ELNS1_3repE0EEENS1_30default_config_static_selectorELNS0_4arch9wavefront6targetE0EEEvT1_ ; -- Begin function _ZN7rocprim17ROCPRIM_400000_NS6detail17trampoline_kernelINS0_14default_configENS1_25transform_config_selectorIyLb0EEEZNS1_14transform_implILb0ES3_S5_NS0_18transform_iteratorINS0_17counting_iteratorImlEEZNS1_24adjacent_difference_implIS3_Lb1ELb0EPyN6thrust23THRUST_200600_302600_NS16discard_iteratorINSD_11use_defaultEEENSD_5minusIyEEEE10hipError_tPvRmT2_T3_mT4_P12ihipStream_tbEUlmE_yEESB_NS0_8identityIvEEEESJ_SM_SN_mSO_SQ_bEUlT_E_NS1_11comp_targetILNS1_3genE2ELNS1_11target_archE906ELNS1_3gpuE6ELNS1_3repE0EEENS1_30default_config_static_selectorELNS0_4arch9wavefront6targetE0EEEvT1_
	.globl	_ZN7rocprim17ROCPRIM_400000_NS6detail17trampoline_kernelINS0_14default_configENS1_25transform_config_selectorIyLb0EEEZNS1_14transform_implILb0ES3_S5_NS0_18transform_iteratorINS0_17counting_iteratorImlEEZNS1_24adjacent_difference_implIS3_Lb1ELb0EPyN6thrust23THRUST_200600_302600_NS16discard_iteratorINSD_11use_defaultEEENSD_5minusIyEEEE10hipError_tPvRmT2_T3_mT4_P12ihipStream_tbEUlmE_yEESB_NS0_8identityIvEEEESJ_SM_SN_mSO_SQ_bEUlT_E_NS1_11comp_targetILNS1_3genE2ELNS1_11target_archE906ELNS1_3gpuE6ELNS1_3repE0EEENS1_30default_config_static_selectorELNS0_4arch9wavefront6targetE0EEEvT1_
	.p2align	8
	.type	_ZN7rocprim17ROCPRIM_400000_NS6detail17trampoline_kernelINS0_14default_configENS1_25transform_config_selectorIyLb0EEEZNS1_14transform_implILb0ES3_S5_NS0_18transform_iteratorINS0_17counting_iteratorImlEEZNS1_24adjacent_difference_implIS3_Lb1ELb0EPyN6thrust23THRUST_200600_302600_NS16discard_iteratorINSD_11use_defaultEEENSD_5minusIyEEEE10hipError_tPvRmT2_T3_mT4_P12ihipStream_tbEUlmE_yEESB_NS0_8identityIvEEEESJ_SM_SN_mSO_SQ_bEUlT_E_NS1_11comp_targetILNS1_3genE2ELNS1_11target_archE906ELNS1_3gpuE6ELNS1_3repE0EEENS1_30default_config_static_selectorELNS0_4arch9wavefront6targetE0EEEvT1_,@function
_ZN7rocprim17ROCPRIM_400000_NS6detail17trampoline_kernelINS0_14default_configENS1_25transform_config_selectorIyLb0EEEZNS1_14transform_implILb0ES3_S5_NS0_18transform_iteratorINS0_17counting_iteratorImlEEZNS1_24adjacent_difference_implIS3_Lb1ELb0EPyN6thrust23THRUST_200600_302600_NS16discard_iteratorINSD_11use_defaultEEENSD_5minusIyEEEE10hipError_tPvRmT2_T3_mT4_P12ihipStream_tbEUlmE_yEESB_NS0_8identityIvEEEESJ_SM_SN_mSO_SQ_bEUlT_E_NS1_11comp_targetILNS1_3genE2ELNS1_11target_archE906ELNS1_3gpuE6ELNS1_3repE0EEENS1_30default_config_static_selectorELNS0_4arch9wavefront6targetE0EEEvT1_: ; @_ZN7rocprim17ROCPRIM_400000_NS6detail17trampoline_kernelINS0_14default_configENS1_25transform_config_selectorIyLb0EEEZNS1_14transform_implILb0ES3_S5_NS0_18transform_iteratorINS0_17counting_iteratorImlEEZNS1_24adjacent_difference_implIS3_Lb1ELb0EPyN6thrust23THRUST_200600_302600_NS16discard_iteratorINSD_11use_defaultEEENSD_5minusIyEEEE10hipError_tPvRmT2_T3_mT4_P12ihipStream_tbEUlmE_yEESB_NS0_8identityIvEEEESJ_SM_SN_mSO_SQ_bEUlT_E_NS1_11comp_targetILNS1_3genE2ELNS1_11target_archE906ELNS1_3gpuE6ELNS1_3repE0EEENS1_30default_config_static_selectorELNS0_4arch9wavefront6targetE0EEEvT1_
; %bb.0:
	.section	.rodata,"a",@progbits
	.p2align	6, 0x0
	.amdhsa_kernel _ZN7rocprim17ROCPRIM_400000_NS6detail17trampoline_kernelINS0_14default_configENS1_25transform_config_selectorIyLb0EEEZNS1_14transform_implILb0ES3_S5_NS0_18transform_iteratorINS0_17counting_iteratorImlEEZNS1_24adjacent_difference_implIS3_Lb1ELb0EPyN6thrust23THRUST_200600_302600_NS16discard_iteratorINSD_11use_defaultEEENSD_5minusIyEEEE10hipError_tPvRmT2_T3_mT4_P12ihipStream_tbEUlmE_yEESB_NS0_8identityIvEEEESJ_SM_SN_mSO_SQ_bEUlT_E_NS1_11comp_targetILNS1_3genE2ELNS1_11target_archE906ELNS1_3gpuE6ELNS1_3repE0EEENS1_30default_config_static_selectorELNS0_4arch9wavefront6targetE0EEEvT1_
		.amdhsa_group_segment_fixed_size 0
		.amdhsa_private_segment_fixed_size 0
		.amdhsa_kernarg_size 56
		.amdhsa_user_sgpr_count 15
		.amdhsa_user_sgpr_dispatch_ptr 0
		.amdhsa_user_sgpr_queue_ptr 0
		.amdhsa_user_sgpr_kernarg_segment_ptr 1
		.amdhsa_user_sgpr_dispatch_id 0
		.amdhsa_user_sgpr_private_segment_size 0
		.amdhsa_wavefront_size32 1
		.amdhsa_uses_dynamic_stack 0
		.amdhsa_enable_private_segment 0
		.amdhsa_system_sgpr_workgroup_id_x 1
		.amdhsa_system_sgpr_workgroup_id_y 0
		.amdhsa_system_sgpr_workgroup_id_z 0
		.amdhsa_system_sgpr_workgroup_info 0
		.amdhsa_system_vgpr_workitem_id 0
		.amdhsa_next_free_vgpr 1
		.amdhsa_next_free_sgpr 1
		.amdhsa_reserve_vcc 0
		.amdhsa_float_round_mode_32 0
		.amdhsa_float_round_mode_16_64 0
		.amdhsa_float_denorm_mode_32 3
		.amdhsa_float_denorm_mode_16_64 3
		.amdhsa_dx10_clamp 1
		.amdhsa_ieee_mode 1
		.amdhsa_fp16_overflow 0
		.amdhsa_workgroup_processor_mode 1
		.amdhsa_memory_ordered 1
		.amdhsa_forward_progress 0
		.amdhsa_shared_vgpr_count 0
		.amdhsa_exception_fp_ieee_invalid_op 0
		.amdhsa_exception_fp_denorm_src 0
		.amdhsa_exception_fp_ieee_div_zero 0
		.amdhsa_exception_fp_ieee_overflow 0
		.amdhsa_exception_fp_ieee_underflow 0
		.amdhsa_exception_fp_ieee_inexact 0
		.amdhsa_exception_int_div_zero 0
	.end_amdhsa_kernel
	.section	.text._ZN7rocprim17ROCPRIM_400000_NS6detail17trampoline_kernelINS0_14default_configENS1_25transform_config_selectorIyLb0EEEZNS1_14transform_implILb0ES3_S5_NS0_18transform_iteratorINS0_17counting_iteratorImlEEZNS1_24adjacent_difference_implIS3_Lb1ELb0EPyN6thrust23THRUST_200600_302600_NS16discard_iteratorINSD_11use_defaultEEENSD_5minusIyEEEE10hipError_tPvRmT2_T3_mT4_P12ihipStream_tbEUlmE_yEESB_NS0_8identityIvEEEESJ_SM_SN_mSO_SQ_bEUlT_E_NS1_11comp_targetILNS1_3genE2ELNS1_11target_archE906ELNS1_3gpuE6ELNS1_3repE0EEENS1_30default_config_static_selectorELNS0_4arch9wavefront6targetE0EEEvT1_,"axG",@progbits,_ZN7rocprim17ROCPRIM_400000_NS6detail17trampoline_kernelINS0_14default_configENS1_25transform_config_selectorIyLb0EEEZNS1_14transform_implILb0ES3_S5_NS0_18transform_iteratorINS0_17counting_iteratorImlEEZNS1_24adjacent_difference_implIS3_Lb1ELb0EPyN6thrust23THRUST_200600_302600_NS16discard_iteratorINSD_11use_defaultEEENSD_5minusIyEEEE10hipError_tPvRmT2_T3_mT4_P12ihipStream_tbEUlmE_yEESB_NS0_8identityIvEEEESJ_SM_SN_mSO_SQ_bEUlT_E_NS1_11comp_targetILNS1_3genE2ELNS1_11target_archE906ELNS1_3gpuE6ELNS1_3repE0EEENS1_30default_config_static_selectorELNS0_4arch9wavefront6targetE0EEEvT1_,comdat
.Lfunc_end811:
	.size	_ZN7rocprim17ROCPRIM_400000_NS6detail17trampoline_kernelINS0_14default_configENS1_25transform_config_selectorIyLb0EEEZNS1_14transform_implILb0ES3_S5_NS0_18transform_iteratorINS0_17counting_iteratorImlEEZNS1_24adjacent_difference_implIS3_Lb1ELb0EPyN6thrust23THRUST_200600_302600_NS16discard_iteratorINSD_11use_defaultEEENSD_5minusIyEEEE10hipError_tPvRmT2_T3_mT4_P12ihipStream_tbEUlmE_yEESB_NS0_8identityIvEEEESJ_SM_SN_mSO_SQ_bEUlT_E_NS1_11comp_targetILNS1_3genE2ELNS1_11target_archE906ELNS1_3gpuE6ELNS1_3repE0EEENS1_30default_config_static_selectorELNS0_4arch9wavefront6targetE0EEEvT1_, .Lfunc_end811-_ZN7rocprim17ROCPRIM_400000_NS6detail17trampoline_kernelINS0_14default_configENS1_25transform_config_selectorIyLb0EEEZNS1_14transform_implILb0ES3_S5_NS0_18transform_iteratorINS0_17counting_iteratorImlEEZNS1_24adjacent_difference_implIS3_Lb1ELb0EPyN6thrust23THRUST_200600_302600_NS16discard_iteratorINSD_11use_defaultEEENSD_5minusIyEEEE10hipError_tPvRmT2_T3_mT4_P12ihipStream_tbEUlmE_yEESB_NS0_8identityIvEEEESJ_SM_SN_mSO_SQ_bEUlT_E_NS1_11comp_targetILNS1_3genE2ELNS1_11target_archE906ELNS1_3gpuE6ELNS1_3repE0EEENS1_30default_config_static_selectorELNS0_4arch9wavefront6targetE0EEEvT1_
                                        ; -- End function
	.section	.AMDGPU.csdata,"",@progbits
; Kernel info:
; codeLenInByte = 0
; NumSgprs: 0
; NumVgprs: 0
; ScratchSize: 0
; MemoryBound: 0
; FloatMode: 240
; IeeeMode: 1
; LDSByteSize: 0 bytes/workgroup (compile time only)
; SGPRBlocks: 0
; VGPRBlocks: 0
; NumSGPRsForWavesPerEU: 1
; NumVGPRsForWavesPerEU: 1
; Occupancy: 16
; WaveLimiterHint : 0
; COMPUTE_PGM_RSRC2:SCRATCH_EN: 0
; COMPUTE_PGM_RSRC2:USER_SGPR: 15
; COMPUTE_PGM_RSRC2:TRAP_HANDLER: 0
; COMPUTE_PGM_RSRC2:TGID_X_EN: 1
; COMPUTE_PGM_RSRC2:TGID_Y_EN: 0
; COMPUTE_PGM_RSRC2:TGID_Z_EN: 0
; COMPUTE_PGM_RSRC2:TIDIG_COMP_CNT: 0
	.section	.text._ZN7rocprim17ROCPRIM_400000_NS6detail17trampoline_kernelINS0_14default_configENS1_25transform_config_selectorIyLb0EEEZNS1_14transform_implILb0ES3_S5_NS0_18transform_iteratorINS0_17counting_iteratorImlEEZNS1_24adjacent_difference_implIS3_Lb1ELb0EPyN6thrust23THRUST_200600_302600_NS16discard_iteratorINSD_11use_defaultEEENSD_5minusIyEEEE10hipError_tPvRmT2_T3_mT4_P12ihipStream_tbEUlmE_yEESB_NS0_8identityIvEEEESJ_SM_SN_mSO_SQ_bEUlT_E_NS1_11comp_targetILNS1_3genE10ELNS1_11target_archE1201ELNS1_3gpuE5ELNS1_3repE0EEENS1_30default_config_static_selectorELNS0_4arch9wavefront6targetE0EEEvT1_,"axG",@progbits,_ZN7rocprim17ROCPRIM_400000_NS6detail17trampoline_kernelINS0_14default_configENS1_25transform_config_selectorIyLb0EEEZNS1_14transform_implILb0ES3_S5_NS0_18transform_iteratorINS0_17counting_iteratorImlEEZNS1_24adjacent_difference_implIS3_Lb1ELb0EPyN6thrust23THRUST_200600_302600_NS16discard_iteratorINSD_11use_defaultEEENSD_5minusIyEEEE10hipError_tPvRmT2_T3_mT4_P12ihipStream_tbEUlmE_yEESB_NS0_8identityIvEEEESJ_SM_SN_mSO_SQ_bEUlT_E_NS1_11comp_targetILNS1_3genE10ELNS1_11target_archE1201ELNS1_3gpuE5ELNS1_3repE0EEENS1_30default_config_static_selectorELNS0_4arch9wavefront6targetE0EEEvT1_,comdat
	.protected	_ZN7rocprim17ROCPRIM_400000_NS6detail17trampoline_kernelINS0_14default_configENS1_25transform_config_selectorIyLb0EEEZNS1_14transform_implILb0ES3_S5_NS0_18transform_iteratorINS0_17counting_iteratorImlEEZNS1_24adjacent_difference_implIS3_Lb1ELb0EPyN6thrust23THRUST_200600_302600_NS16discard_iteratorINSD_11use_defaultEEENSD_5minusIyEEEE10hipError_tPvRmT2_T3_mT4_P12ihipStream_tbEUlmE_yEESB_NS0_8identityIvEEEESJ_SM_SN_mSO_SQ_bEUlT_E_NS1_11comp_targetILNS1_3genE10ELNS1_11target_archE1201ELNS1_3gpuE5ELNS1_3repE0EEENS1_30default_config_static_selectorELNS0_4arch9wavefront6targetE0EEEvT1_ ; -- Begin function _ZN7rocprim17ROCPRIM_400000_NS6detail17trampoline_kernelINS0_14default_configENS1_25transform_config_selectorIyLb0EEEZNS1_14transform_implILb0ES3_S5_NS0_18transform_iteratorINS0_17counting_iteratorImlEEZNS1_24adjacent_difference_implIS3_Lb1ELb0EPyN6thrust23THRUST_200600_302600_NS16discard_iteratorINSD_11use_defaultEEENSD_5minusIyEEEE10hipError_tPvRmT2_T3_mT4_P12ihipStream_tbEUlmE_yEESB_NS0_8identityIvEEEESJ_SM_SN_mSO_SQ_bEUlT_E_NS1_11comp_targetILNS1_3genE10ELNS1_11target_archE1201ELNS1_3gpuE5ELNS1_3repE0EEENS1_30default_config_static_selectorELNS0_4arch9wavefront6targetE0EEEvT1_
	.globl	_ZN7rocprim17ROCPRIM_400000_NS6detail17trampoline_kernelINS0_14default_configENS1_25transform_config_selectorIyLb0EEEZNS1_14transform_implILb0ES3_S5_NS0_18transform_iteratorINS0_17counting_iteratorImlEEZNS1_24adjacent_difference_implIS3_Lb1ELb0EPyN6thrust23THRUST_200600_302600_NS16discard_iteratorINSD_11use_defaultEEENSD_5minusIyEEEE10hipError_tPvRmT2_T3_mT4_P12ihipStream_tbEUlmE_yEESB_NS0_8identityIvEEEESJ_SM_SN_mSO_SQ_bEUlT_E_NS1_11comp_targetILNS1_3genE10ELNS1_11target_archE1201ELNS1_3gpuE5ELNS1_3repE0EEENS1_30default_config_static_selectorELNS0_4arch9wavefront6targetE0EEEvT1_
	.p2align	8
	.type	_ZN7rocprim17ROCPRIM_400000_NS6detail17trampoline_kernelINS0_14default_configENS1_25transform_config_selectorIyLb0EEEZNS1_14transform_implILb0ES3_S5_NS0_18transform_iteratorINS0_17counting_iteratorImlEEZNS1_24adjacent_difference_implIS3_Lb1ELb0EPyN6thrust23THRUST_200600_302600_NS16discard_iteratorINSD_11use_defaultEEENSD_5minusIyEEEE10hipError_tPvRmT2_T3_mT4_P12ihipStream_tbEUlmE_yEESB_NS0_8identityIvEEEESJ_SM_SN_mSO_SQ_bEUlT_E_NS1_11comp_targetILNS1_3genE10ELNS1_11target_archE1201ELNS1_3gpuE5ELNS1_3repE0EEENS1_30default_config_static_selectorELNS0_4arch9wavefront6targetE0EEEvT1_,@function
_ZN7rocprim17ROCPRIM_400000_NS6detail17trampoline_kernelINS0_14default_configENS1_25transform_config_selectorIyLb0EEEZNS1_14transform_implILb0ES3_S5_NS0_18transform_iteratorINS0_17counting_iteratorImlEEZNS1_24adjacent_difference_implIS3_Lb1ELb0EPyN6thrust23THRUST_200600_302600_NS16discard_iteratorINSD_11use_defaultEEENSD_5minusIyEEEE10hipError_tPvRmT2_T3_mT4_P12ihipStream_tbEUlmE_yEESB_NS0_8identityIvEEEESJ_SM_SN_mSO_SQ_bEUlT_E_NS1_11comp_targetILNS1_3genE10ELNS1_11target_archE1201ELNS1_3gpuE5ELNS1_3repE0EEENS1_30default_config_static_selectorELNS0_4arch9wavefront6targetE0EEEvT1_: ; @_ZN7rocprim17ROCPRIM_400000_NS6detail17trampoline_kernelINS0_14default_configENS1_25transform_config_selectorIyLb0EEEZNS1_14transform_implILb0ES3_S5_NS0_18transform_iteratorINS0_17counting_iteratorImlEEZNS1_24adjacent_difference_implIS3_Lb1ELb0EPyN6thrust23THRUST_200600_302600_NS16discard_iteratorINSD_11use_defaultEEENSD_5minusIyEEEE10hipError_tPvRmT2_T3_mT4_P12ihipStream_tbEUlmE_yEESB_NS0_8identityIvEEEESJ_SM_SN_mSO_SQ_bEUlT_E_NS1_11comp_targetILNS1_3genE10ELNS1_11target_archE1201ELNS1_3gpuE5ELNS1_3repE0EEENS1_30default_config_static_selectorELNS0_4arch9wavefront6targetE0EEEvT1_
; %bb.0:
	.section	.rodata,"a",@progbits
	.p2align	6, 0x0
	.amdhsa_kernel _ZN7rocprim17ROCPRIM_400000_NS6detail17trampoline_kernelINS0_14default_configENS1_25transform_config_selectorIyLb0EEEZNS1_14transform_implILb0ES3_S5_NS0_18transform_iteratorINS0_17counting_iteratorImlEEZNS1_24adjacent_difference_implIS3_Lb1ELb0EPyN6thrust23THRUST_200600_302600_NS16discard_iteratorINSD_11use_defaultEEENSD_5minusIyEEEE10hipError_tPvRmT2_T3_mT4_P12ihipStream_tbEUlmE_yEESB_NS0_8identityIvEEEESJ_SM_SN_mSO_SQ_bEUlT_E_NS1_11comp_targetILNS1_3genE10ELNS1_11target_archE1201ELNS1_3gpuE5ELNS1_3repE0EEENS1_30default_config_static_selectorELNS0_4arch9wavefront6targetE0EEEvT1_
		.amdhsa_group_segment_fixed_size 0
		.amdhsa_private_segment_fixed_size 0
		.amdhsa_kernarg_size 56
		.amdhsa_user_sgpr_count 15
		.amdhsa_user_sgpr_dispatch_ptr 0
		.amdhsa_user_sgpr_queue_ptr 0
		.amdhsa_user_sgpr_kernarg_segment_ptr 1
		.amdhsa_user_sgpr_dispatch_id 0
		.amdhsa_user_sgpr_private_segment_size 0
		.amdhsa_wavefront_size32 1
		.amdhsa_uses_dynamic_stack 0
		.amdhsa_enable_private_segment 0
		.amdhsa_system_sgpr_workgroup_id_x 1
		.amdhsa_system_sgpr_workgroup_id_y 0
		.amdhsa_system_sgpr_workgroup_id_z 0
		.amdhsa_system_sgpr_workgroup_info 0
		.amdhsa_system_vgpr_workitem_id 0
		.amdhsa_next_free_vgpr 1
		.amdhsa_next_free_sgpr 1
		.amdhsa_reserve_vcc 0
		.amdhsa_float_round_mode_32 0
		.amdhsa_float_round_mode_16_64 0
		.amdhsa_float_denorm_mode_32 3
		.amdhsa_float_denorm_mode_16_64 3
		.amdhsa_dx10_clamp 1
		.amdhsa_ieee_mode 1
		.amdhsa_fp16_overflow 0
		.amdhsa_workgroup_processor_mode 1
		.amdhsa_memory_ordered 1
		.amdhsa_forward_progress 0
		.amdhsa_shared_vgpr_count 0
		.amdhsa_exception_fp_ieee_invalid_op 0
		.amdhsa_exception_fp_denorm_src 0
		.amdhsa_exception_fp_ieee_div_zero 0
		.amdhsa_exception_fp_ieee_overflow 0
		.amdhsa_exception_fp_ieee_underflow 0
		.amdhsa_exception_fp_ieee_inexact 0
		.amdhsa_exception_int_div_zero 0
	.end_amdhsa_kernel
	.section	.text._ZN7rocprim17ROCPRIM_400000_NS6detail17trampoline_kernelINS0_14default_configENS1_25transform_config_selectorIyLb0EEEZNS1_14transform_implILb0ES3_S5_NS0_18transform_iteratorINS0_17counting_iteratorImlEEZNS1_24adjacent_difference_implIS3_Lb1ELb0EPyN6thrust23THRUST_200600_302600_NS16discard_iteratorINSD_11use_defaultEEENSD_5minusIyEEEE10hipError_tPvRmT2_T3_mT4_P12ihipStream_tbEUlmE_yEESB_NS0_8identityIvEEEESJ_SM_SN_mSO_SQ_bEUlT_E_NS1_11comp_targetILNS1_3genE10ELNS1_11target_archE1201ELNS1_3gpuE5ELNS1_3repE0EEENS1_30default_config_static_selectorELNS0_4arch9wavefront6targetE0EEEvT1_,"axG",@progbits,_ZN7rocprim17ROCPRIM_400000_NS6detail17trampoline_kernelINS0_14default_configENS1_25transform_config_selectorIyLb0EEEZNS1_14transform_implILb0ES3_S5_NS0_18transform_iteratorINS0_17counting_iteratorImlEEZNS1_24adjacent_difference_implIS3_Lb1ELb0EPyN6thrust23THRUST_200600_302600_NS16discard_iteratorINSD_11use_defaultEEENSD_5minusIyEEEE10hipError_tPvRmT2_T3_mT4_P12ihipStream_tbEUlmE_yEESB_NS0_8identityIvEEEESJ_SM_SN_mSO_SQ_bEUlT_E_NS1_11comp_targetILNS1_3genE10ELNS1_11target_archE1201ELNS1_3gpuE5ELNS1_3repE0EEENS1_30default_config_static_selectorELNS0_4arch9wavefront6targetE0EEEvT1_,comdat
.Lfunc_end812:
	.size	_ZN7rocprim17ROCPRIM_400000_NS6detail17trampoline_kernelINS0_14default_configENS1_25transform_config_selectorIyLb0EEEZNS1_14transform_implILb0ES3_S5_NS0_18transform_iteratorINS0_17counting_iteratorImlEEZNS1_24adjacent_difference_implIS3_Lb1ELb0EPyN6thrust23THRUST_200600_302600_NS16discard_iteratorINSD_11use_defaultEEENSD_5minusIyEEEE10hipError_tPvRmT2_T3_mT4_P12ihipStream_tbEUlmE_yEESB_NS0_8identityIvEEEESJ_SM_SN_mSO_SQ_bEUlT_E_NS1_11comp_targetILNS1_3genE10ELNS1_11target_archE1201ELNS1_3gpuE5ELNS1_3repE0EEENS1_30default_config_static_selectorELNS0_4arch9wavefront6targetE0EEEvT1_, .Lfunc_end812-_ZN7rocprim17ROCPRIM_400000_NS6detail17trampoline_kernelINS0_14default_configENS1_25transform_config_selectorIyLb0EEEZNS1_14transform_implILb0ES3_S5_NS0_18transform_iteratorINS0_17counting_iteratorImlEEZNS1_24adjacent_difference_implIS3_Lb1ELb0EPyN6thrust23THRUST_200600_302600_NS16discard_iteratorINSD_11use_defaultEEENSD_5minusIyEEEE10hipError_tPvRmT2_T3_mT4_P12ihipStream_tbEUlmE_yEESB_NS0_8identityIvEEEESJ_SM_SN_mSO_SQ_bEUlT_E_NS1_11comp_targetILNS1_3genE10ELNS1_11target_archE1201ELNS1_3gpuE5ELNS1_3repE0EEENS1_30default_config_static_selectorELNS0_4arch9wavefront6targetE0EEEvT1_
                                        ; -- End function
	.section	.AMDGPU.csdata,"",@progbits
; Kernel info:
; codeLenInByte = 0
; NumSgprs: 0
; NumVgprs: 0
; ScratchSize: 0
; MemoryBound: 0
; FloatMode: 240
; IeeeMode: 1
; LDSByteSize: 0 bytes/workgroup (compile time only)
; SGPRBlocks: 0
; VGPRBlocks: 0
; NumSGPRsForWavesPerEU: 1
; NumVGPRsForWavesPerEU: 1
; Occupancy: 16
; WaveLimiterHint : 0
; COMPUTE_PGM_RSRC2:SCRATCH_EN: 0
; COMPUTE_PGM_RSRC2:USER_SGPR: 15
; COMPUTE_PGM_RSRC2:TRAP_HANDLER: 0
; COMPUTE_PGM_RSRC2:TGID_X_EN: 1
; COMPUTE_PGM_RSRC2:TGID_Y_EN: 0
; COMPUTE_PGM_RSRC2:TGID_Z_EN: 0
; COMPUTE_PGM_RSRC2:TIDIG_COMP_CNT: 0
	.section	.text._ZN7rocprim17ROCPRIM_400000_NS6detail17trampoline_kernelINS0_14default_configENS1_25transform_config_selectorIyLb0EEEZNS1_14transform_implILb0ES3_S5_NS0_18transform_iteratorINS0_17counting_iteratorImlEEZNS1_24adjacent_difference_implIS3_Lb1ELb0EPyN6thrust23THRUST_200600_302600_NS16discard_iteratorINSD_11use_defaultEEENSD_5minusIyEEEE10hipError_tPvRmT2_T3_mT4_P12ihipStream_tbEUlmE_yEESB_NS0_8identityIvEEEESJ_SM_SN_mSO_SQ_bEUlT_E_NS1_11comp_targetILNS1_3genE10ELNS1_11target_archE1200ELNS1_3gpuE4ELNS1_3repE0EEENS1_30default_config_static_selectorELNS0_4arch9wavefront6targetE0EEEvT1_,"axG",@progbits,_ZN7rocprim17ROCPRIM_400000_NS6detail17trampoline_kernelINS0_14default_configENS1_25transform_config_selectorIyLb0EEEZNS1_14transform_implILb0ES3_S5_NS0_18transform_iteratorINS0_17counting_iteratorImlEEZNS1_24adjacent_difference_implIS3_Lb1ELb0EPyN6thrust23THRUST_200600_302600_NS16discard_iteratorINSD_11use_defaultEEENSD_5minusIyEEEE10hipError_tPvRmT2_T3_mT4_P12ihipStream_tbEUlmE_yEESB_NS0_8identityIvEEEESJ_SM_SN_mSO_SQ_bEUlT_E_NS1_11comp_targetILNS1_3genE10ELNS1_11target_archE1200ELNS1_3gpuE4ELNS1_3repE0EEENS1_30default_config_static_selectorELNS0_4arch9wavefront6targetE0EEEvT1_,comdat
	.protected	_ZN7rocprim17ROCPRIM_400000_NS6detail17trampoline_kernelINS0_14default_configENS1_25transform_config_selectorIyLb0EEEZNS1_14transform_implILb0ES3_S5_NS0_18transform_iteratorINS0_17counting_iteratorImlEEZNS1_24adjacent_difference_implIS3_Lb1ELb0EPyN6thrust23THRUST_200600_302600_NS16discard_iteratorINSD_11use_defaultEEENSD_5minusIyEEEE10hipError_tPvRmT2_T3_mT4_P12ihipStream_tbEUlmE_yEESB_NS0_8identityIvEEEESJ_SM_SN_mSO_SQ_bEUlT_E_NS1_11comp_targetILNS1_3genE10ELNS1_11target_archE1200ELNS1_3gpuE4ELNS1_3repE0EEENS1_30default_config_static_selectorELNS0_4arch9wavefront6targetE0EEEvT1_ ; -- Begin function _ZN7rocprim17ROCPRIM_400000_NS6detail17trampoline_kernelINS0_14default_configENS1_25transform_config_selectorIyLb0EEEZNS1_14transform_implILb0ES3_S5_NS0_18transform_iteratorINS0_17counting_iteratorImlEEZNS1_24adjacent_difference_implIS3_Lb1ELb0EPyN6thrust23THRUST_200600_302600_NS16discard_iteratorINSD_11use_defaultEEENSD_5minusIyEEEE10hipError_tPvRmT2_T3_mT4_P12ihipStream_tbEUlmE_yEESB_NS0_8identityIvEEEESJ_SM_SN_mSO_SQ_bEUlT_E_NS1_11comp_targetILNS1_3genE10ELNS1_11target_archE1200ELNS1_3gpuE4ELNS1_3repE0EEENS1_30default_config_static_selectorELNS0_4arch9wavefront6targetE0EEEvT1_
	.globl	_ZN7rocprim17ROCPRIM_400000_NS6detail17trampoline_kernelINS0_14default_configENS1_25transform_config_selectorIyLb0EEEZNS1_14transform_implILb0ES3_S5_NS0_18transform_iteratorINS0_17counting_iteratorImlEEZNS1_24adjacent_difference_implIS3_Lb1ELb0EPyN6thrust23THRUST_200600_302600_NS16discard_iteratorINSD_11use_defaultEEENSD_5minusIyEEEE10hipError_tPvRmT2_T3_mT4_P12ihipStream_tbEUlmE_yEESB_NS0_8identityIvEEEESJ_SM_SN_mSO_SQ_bEUlT_E_NS1_11comp_targetILNS1_3genE10ELNS1_11target_archE1200ELNS1_3gpuE4ELNS1_3repE0EEENS1_30default_config_static_selectorELNS0_4arch9wavefront6targetE0EEEvT1_
	.p2align	8
	.type	_ZN7rocprim17ROCPRIM_400000_NS6detail17trampoline_kernelINS0_14default_configENS1_25transform_config_selectorIyLb0EEEZNS1_14transform_implILb0ES3_S5_NS0_18transform_iteratorINS0_17counting_iteratorImlEEZNS1_24adjacent_difference_implIS3_Lb1ELb0EPyN6thrust23THRUST_200600_302600_NS16discard_iteratorINSD_11use_defaultEEENSD_5minusIyEEEE10hipError_tPvRmT2_T3_mT4_P12ihipStream_tbEUlmE_yEESB_NS0_8identityIvEEEESJ_SM_SN_mSO_SQ_bEUlT_E_NS1_11comp_targetILNS1_3genE10ELNS1_11target_archE1200ELNS1_3gpuE4ELNS1_3repE0EEENS1_30default_config_static_selectorELNS0_4arch9wavefront6targetE0EEEvT1_,@function
_ZN7rocprim17ROCPRIM_400000_NS6detail17trampoline_kernelINS0_14default_configENS1_25transform_config_selectorIyLb0EEEZNS1_14transform_implILb0ES3_S5_NS0_18transform_iteratorINS0_17counting_iteratorImlEEZNS1_24adjacent_difference_implIS3_Lb1ELb0EPyN6thrust23THRUST_200600_302600_NS16discard_iteratorINSD_11use_defaultEEENSD_5minusIyEEEE10hipError_tPvRmT2_T3_mT4_P12ihipStream_tbEUlmE_yEESB_NS0_8identityIvEEEESJ_SM_SN_mSO_SQ_bEUlT_E_NS1_11comp_targetILNS1_3genE10ELNS1_11target_archE1200ELNS1_3gpuE4ELNS1_3repE0EEENS1_30default_config_static_selectorELNS0_4arch9wavefront6targetE0EEEvT1_: ; @_ZN7rocprim17ROCPRIM_400000_NS6detail17trampoline_kernelINS0_14default_configENS1_25transform_config_selectorIyLb0EEEZNS1_14transform_implILb0ES3_S5_NS0_18transform_iteratorINS0_17counting_iteratorImlEEZNS1_24adjacent_difference_implIS3_Lb1ELb0EPyN6thrust23THRUST_200600_302600_NS16discard_iteratorINSD_11use_defaultEEENSD_5minusIyEEEE10hipError_tPvRmT2_T3_mT4_P12ihipStream_tbEUlmE_yEESB_NS0_8identityIvEEEESJ_SM_SN_mSO_SQ_bEUlT_E_NS1_11comp_targetILNS1_3genE10ELNS1_11target_archE1200ELNS1_3gpuE4ELNS1_3repE0EEENS1_30default_config_static_selectorELNS0_4arch9wavefront6targetE0EEEvT1_
; %bb.0:
	.section	.rodata,"a",@progbits
	.p2align	6, 0x0
	.amdhsa_kernel _ZN7rocprim17ROCPRIM_400000_NS6detail17trampoline_kernelINS0_14default_configENS1_25transform_config_selectorIyLb0EEEZNS1_14transform_implILb0ES3_S5_NS0_18transform_iteratorINS0_17counting_iteratorImlEEZNS1_24adjacent_difference_implIS3_Lb1ELb0EPyN6thrust23THRUST_200600_302600_NS16discard_iteratorINSD_11use_defaultEEENSD_5minusIyEEEE10hipError_tPvRmT2_T3_mT4_P12ihipStream_tbEUlmE_yEESB_NS0_8identityIvEEEESJ_SM_SN_mSO_SQ_bEUlT_E_NS1_11comp_targetILNS1_3genE10ELNS1_11target_archE1200ELNS1_3gpuE4ELNS1_3repE0EEENS1_30default_config_static_selectorELNS0_4arch9wavefront6targetE0EEEvT1_
		.amdhsa_group_segment_fixed_size 0
		.amdhsa_private_segment_fixed_size 0
		.amdhsa_kernarg_size 56
		.amdhsa_user_sgpr_count 15
		.amdhsa_user_sgpr_dispatch_ptr 0
		.amdhsa_user_sgpr_queue_ptr 0
		.amdhsa_user_sgpr_kernarg_segment_ptr 1
		.amdhsa_user_sgpr_dispatch_id 0
		.amdhsa_user_sgpr_private_segment_size 0
		.amdhsa_wavefront_size32 1
		.amdhsa_uses_dynamic_stack 0
		.amdhsa_enable_private_segment 0
		.amdhsa_system_sgpr_workgroup_id_x 1
		.amdhsa_system_sgpr_workgroup_id_y 0
		.amdhsa_system_sgpr_workgroup_id_z 0
		.amdhsa_system_sgpr_workgroup_info 0
		.amdhsa_system_vgpr_workitem_id 0
		.amdhsa_next_free_vgpr 1
		.amdhsa_next_free_sgpr 1
		.amdhsa_reserve_vcc 0
		.amdhsa_float_round_mode_32 0
		.amdhsa_float_round_mode_16_64 0
		.amdhsa_float_denorm_mode_32 3
		.amdhsa_float_denorm_mode_16_64 3
		.amdhsa_dx10_clamp 1
		.amdhsa_ieee_mode 1
		.amdhsa_fp16_overflow 0
		.amdhsa_workgroup_processor_mode 1
		.amdhsa_memory_ordered 1
		.amdhsa_forward_progress 0
		.amdhsa_shared_vgpr_count 0
		.amdhsa_exception_fp_ieee_invalid_op 0
		.amdhsa_exception_fp_denorm_src 0
		.amdhsa_exception_fp_ieee_div_zero 0
		.amdhsa_exception_fp_ieee_overflow 0
		.amdhsa_exception_fp_ieee_underflow 0
		.amdhsa_exception_fp_ieee_inexact 0
		.amdhsa_exception_int_div_zero 0
	.end_amdhsa_kernel
	.section	.text._ZN7rocprim17ROCPRIM_400000_NS6detail17trampoline_kernelINS0_14default_configENS1_25transform_config_selectorIyLb0EEEZNS1_14transform_implILb0ES3_S5_NS0_18transform_iteratorINS0_17counting_iteratorImlEEZNS1_24adjacent_difference_implIS3_Lb1ELb0EPyN6thrust23THRUST_200600_302600_NS16discard_iteratorINSD_11use_defaultEEENSD_5minusIyEEEE10hipError_tPvRmT2_T3_mT4_P12ihipStream_tbEUlmE_yEESB_NS0_8identityIvEEEESJ_SM_SN_mSO_SQ_bEUlT_E_NS1_11comp_targetILNS1_3genE10ELNS1_11target_archE1200ELNS1_3gpuE4ELNS1_3repE0EEENS1_30default_config_static_selectorELNS0_4arch9wavefront6targetE0EEEvT1_,"axG",@progbits,_ZN7rocprim17ROCPRIM_400000_NS6detail17trampoline_kernelINS0_14default_configENS1_25transform_config_selectorIyLb0EEEZNS1_14transform_implILb0ES3_S5_NS0_18transform_iteratorINS0_17counting_iteratorImlEEZNS1_24adjacent_difference_implIS3_Lb1ELb0EPyN6thrust23THRUST_200600_302600_NS16discard_iteratorINSD_11use_defaultEEENSD_5minusIyEEEE10hipError_tPvRmT2_T3_mT4_P12ihipStream_tbEUlmE_yEESB_NS0_8identityIvEEEESJ_SM_SN_mSO_SQ_bEUlT_E_NS1_11comp_targetILNS1_3genE10ELNS1_11target_archE1200ELNS1_3gpuE4ELNS1_3repE0EEENS1_30default_config_static_selectorELNS0_4arch9wavefront6targetE0EEEvT1_,comdat
.Lfunc_end813:
	.size	_ZN7rocprim17ROCPRIM_400000_NS6detail17trampoline_kernelINS0_14default_configENS1_25transform_config_selectorIyLb0EEEZNS1_14transform_implILb0ES3_S5_NS0_18transform_iteratorINS0_17counting_iteratorImlEEZNS1_24adjacent_difference_implIS3_Lb1ELb0EPyN6thrust23THRUST_200600_302600_NS16discard_iteratorINSD_11use_defaultEEENSD_5minusIyEEEE10hipError_tPvRmT2_T3_mT4_P12ihipStream_tbEUlmE_yEESB_NS0_8identityIvEEEESJ_SM_SN_mSO_SQ_bEUlT_E_NS1_11comp_targetILNS1_3genE10ELNS1_11target_archE1200ELNS1_3gpuE4ELNS1_3repE0EEENS1_30default_config_static_selectorELNS0_4arch9wavefront6targetE0EEEvT1_, .Lfunc_end813-_ZN7rocprim17ROCPRIM_400000_NS6detail17trampoline_kernelINS0_14default_configENS1_25transform_config_selectorIyLb0EEEZNS1_14transform_implILb0ES3_S5_NS0_18transform_iteratorINS0_17counting_iteratorImlEEZNS1_24adjacent_difference_implIS3_Lb1ELb0EPyN6thrust23THRUST_200600_302600_NS16discard_iteratorINSD_11use_defaultEEENSD_5minusIyEEEE10hipError_tPvRmT2_T3_mT4_P12ihipStream_tbEUlmE_yEESB_NS0_8identityIvEEEESJ_SM_SN_mSO_SQ_bEUlT_E_NS1_11comp_targetILNS1_3genE10ELNS1_11target_archE1200ELNS1_3gpuE4ELNS1_3repE0EEENS1_30default_config_static_selectorELNS0_4arch9wavefront6targetE0EEEvT1_
                                        ; -- End function
	.section	.AMDGPU.csdata,"",@progbits
; Kernel info:
; codeLenInByte = 0
; NumSgprs: 0
; NumVgprs: 0
; ScratchSize: 0
; MemoryBound: 0
; FloatMode: 240
; IeeeMode: 1
; LDSByteSize: 0 bytes/workgroup (compile time only)
; SGPRBlocks: 0
; VGPRBlocks: 0
; NumSGPRsForWavesPerEU: 1
; NumVGPRsForWavesPerEU: 1
; Occupancy: 16
; WaveLimiterHint : 0
; COMPUTE_PGM_RSRC2:SCRATCH_EN: 0
; COMPUTE_PGM_RSRC2:USER_SGPR: 15
; COMPUTE_PGM_RSRC2:TRAP_HANDLER: 0
; COMPUTE_PGM_RSRC2:TGID_X_EN: 1
; COMPUTE_PGM_RSRC2:TGID_Y_EN: 0
; COMPUTE_PGM_RSRC2:TGID_Z_EN: 0
; COMPUTE_PGM_RSRC2:TIDIG_COMP_CNT: 0
	.section	.text._ZN7rocprim17ROCPRIM_400000_NS6detail17trampoline_kernelINS0_14default_configENS1_25transform_config_selectorIyLb0EEEZNS1_14transform_implILb0ES3_S5_NS0_18transform_iteratorINS0_17counting_iteratorImlEEZNS1_24adjacent_difference_implIS3_Lb1ELb0EPyN6thrust23THRUST_200600_302600_NS16discard_iteratorINSD_11use_defaultEEENSD_5minusIyEEEE10hipError_tPvRmT2_T3_mT4_P12ihipStream_tbEUlmE_yEESB_NS0_8identityIvEEEESJ_SM_SN_mSO_SQ_bEUlT_E_NS1_11comp_targetILNS1_3genE9ELNS1_11target_archE1100ELNS1_3gpuE3ELNS1_3repE0EEENS1_30default_config_static_selectorELNS0_4arch9wavefront6targetE0EEEvT1_,"axG",@progbits,_ZN7rocprim17ROCPRIM_400000_NS6detail17trampoline_kernelINS0_14default_configENS1_25transform_config_selectorIyLb0EEEZNS1_14transform_implILb0ES3_S5_NS0_18transform_iteratorINS0_17counting_iteratorImlEEZNS1_24adjacent_difference_implIS3_Lb1ELb0EPyN6thrust23THRUST_200600_302600_NS16discard_iteratorINSD_11use_defaultEEENSD_5minusIyEEEE10hipError_tPvRmT2_T3_mT4_P12ihipStream_tbEUlmE_yEESB_NS0_8identityIvEEEESJ_SM_SN_mSO_SQ_bEUlT_E_NS1_11comp_targetILNS1_3genE9ELNS1_11target_archE1100ELNS1_3gpuE3ELNS1_3repE0EEENS1_30default_config_static_selectorELNS0_4arch9wavefront6targetE0EEEvT1_,comdat
	.protected	_ZN7rocprim17ROCPRIM_400000_NS6detail17trampoline_kernelINS0_14default_configENS1_25transform_config_selectorIyLb0EEEZNS1_14transform_implILb0ES3_S5_NS0_18transform_iteratorINS0_17counting_iteratorImlEEZNS1_24adjacent_difference_implIS3_Lb1ELb0EPyN6thrust23THRUST_200600_302600_NS16discard_iteratorINSD_11use_defaultEEENSD_5minusIyEEEE10hipError_tPvRmT2_T3_mT4_P12ihipStream_tbEUlmE_yEESB_NS0_8identityIvEEEESJ_SM_SN_mSO_SQ_bEUlT_E_NS1_11comp_targetILNS1_3genE9ELNS1_11target_archE1100ELNS1_3gpuE3ELNS1_3repE0EEENS1_30default_config_static_selectorELNS0_4arch9wavefront6targetE0EEEvT1_ ; -- Begin function _ZN7rocprim17ROCPRIM_400000_NS6detail17trampoline_kernelINS0_14default_configENS1_25transform_config_selectorIyLb0EEEZNS1_14transform_implILb0ES3_S5_NS0_18transform_iteratorINS0_17counting_iteratorImlEEZNS1_24adjacent_difference_implIS3_Lb1ELb0EPyN6thrust23THRUST_200600_302600_NS16discard_iteratorINSD_11use_defaultEEENSD_5minusIyEEEE10hipError_tPvRmT2_T3_mT4_P12ihipStream_tbEUlmE_yEESB_NS0_8identityIvEEEESJ_SM_SN_mSO_SQ_bEUlT_E_NS1_11comp_targetILNS1_3genE9ELNS1_11target_archE1100ELNS1_3gpuE3ELNS1_3repE0EEENS1_30default_config_static_selectorELNS0_4arch9wavefront6targetE0EEEvT1_
	.globl	_ZN7rocprim17ROCPRIM_400000_NS6detail17trampoline_kernelINS0_14default_configENS1_25transform_config_selectorIyLb0EEEZNS1_14transform_implILb0ES3_S5_NS0_18transform_iteratorINS0_17counting_iteratorImlEEZNS1_24adjacent_difference_implIS3_Lb1ELb0EPyN6thrust23THRUST_200600_302600_NS16discard_iteratorINSD_11use_defaultEEENSD_5minusIyEEEE10hipError_tPvRmT2_T3_mT4_P12ihipStream_tbEUlmE_yEESB_NS0_8identityIvEEEESJ_SM_SN_mSO_SQ_bEUlT_E_NS1_11comp_targetILNS1_3genE9ELNS1_11target_archE1100ELNS1_3gpuE3ELNS1_3repE0EEENS1_30default_config_static_selectorELNS0_4arch9wavefront6targetE0EEEvT1_
	.p2align	8
	.type	_ZN7rocprim17ROCPRIM_400000_NS6detail17trampoline_kernelINS0_14default_configENS1_25transform_config_selectorIyLb0EEEZNS1_14transform_implILb0ES3_S5_NS0_18transform_iteratorINS0_17counting_iteratorImlEEZNS1_24adjacent_difference_implIS3_Lb1ELb0EPyN6thrust23THRUST_200600_302600_NS16discard_iteratorINSD_11use_defaultEEENSD_5minusIyEEEE10hipError_tPvRmT2_T3_mT4_P12ihipStream_tbEUlmE_yEESB_NS0_8identityIvEEEESJ_SM_SN_mSO_SQ_bEUlT_E_NS1_11comp_targetILNS1_3genE9ELNS1_11target_archE1100ELNS1_3gpuE3ELNS1_3repE0EEENS1_30default_config_static_selectorELNS0_4arch9wavefront6targetE0EEEvT1_,@function
_ZN7rocprim17ROCPRIM_400000_NS6detail17trampoline_kernelINS0_14default_configENS1_25transform_config_selectorIyLb0EEEZNS1_14transform_implILb0ES3_S5_NS0_18transform_iteratorINS0_17counting_iteratorImlEEZNS1_24adjacent_difference_implIS3_Lb1ELb0EPyN6thrust23THRUST_200600_302600_NS16discard_iteratorINSD_11use_defaultEEENSD_5minusIyEEEE10hipError_tPvRmT2_T3_mT4_P12ihipStream_tbEUlmE_yEESB_NS0_8identityIvEEEESJ_SM_SN_mSO_SQ_bEUlT_E_NS1_11comp_targetILNS1_3genE9ELNS1_11target_archE1100ELNS1_3gpuE3ELNS1_3repE0EEENS1_30default_config_static_selectorELNS0_4arch9wavefront6targetE0EEEvT1_: ; @_ZN7rocprim17ROCPRIM_400000_NS6detail17trampoline_kernelINS0_14default_configENS1_25transform_config_selectorIyLb0EEEZNS1_14transform_implILb0ES3_S5_NS0_18transform_iteratorINS0_17counting_iteratorImlEEZNS1_24adjacent_difference_implIS3_Lb1ELb0EPyN6thrust23THRUST_200600_302600_NS16discard_iteratorINSD_11use_defaultEEENSD_5minusIyEEEE10hipError_tPvRmT2_T3_mT4_P12ihipStream_tbEUlmE_yEESB_NS0_8identityIvEEEESJ_SM_SN_mSO_SQ_bEUlT_E_NS1_11comp_targetILNS1_3genE9ELNS1_11target_archE1100ELNS1_3gpuE3ELNS1_3repE0EEENS1_30default_config_static_selectorELNS0_4arch9wavefront6targetE0EEEvT1_
; %bb.0:
	s_clause 0x4
	s_load_b128 s[4:7], s[0:1], 0x0
	s_load_b64 s[2:3], s[0:1], 0x18
	s_load_b64 s[12:13], s[0:1], 0x28
	s_load_b32 s11, s[0:1], 0x38
	s_load_b32 s8, s[0:1], 0x10
	s_waitcnt lgkmcnt(0)
	s_add_u32 s9, s2, s4
	s_addc_u32 s10, s3, s5
	s_lshl_b64 s[2:3], s[2:3], 3
	s_delay_alu instid0(SALU_CYCLE_1)
	s_add_u32 s4, s12, s2
	s_addc_u32 s5, s13, s3
	s_add_i32 s11, s11, -1
	s_lshl_b32 s2, s15, 9
	s_mov_b32 s3, 0
	s_cmp_lg_u32 s15, s11
	s_mov_b32 s11, -1
	s_cbranch_scc0 .LBB814_2
; %bb.1:
	s_add_u32 s11, s9, s2
	s_addc_u32 s12, s10, 0
	v_add_co_u32 v3, s11, s11, v0
	s_delay_alu instid0(VALU_DEP_1) | instskip(SKIP_1) | instid1(VALU_DEP_2)
	v_add_co_ci_u32_e64 v5, null, s12, 0, s11
	s_lshl_b64 s[12:13], s[2:3], 3
	v_mad_u64_u32 v[1:2], null, v3, s8, 0
	s_add_u32 s12, s4, s12
	s_addc_u32 s13, s5, s13
	s_mov_b32 s11, s3
	s_delay_alu instid0(VALU_DEP_1) | instskip(NEXT) | instid1(VALU_DEP_1)
	v_mad_u64_u32 v[3:4], null, v5, s8, v[2:3]
	v_dual_mov_b32 v2, v3 :: v_dual_lshlrev_b32 v3, 3, v0
	s_delay_alu instid0(VALU_DEP_1) | instskip(NEXT) | instid1(VALU_DEP_1)
	v_lshlrev_b64 v[1:2], 3, v[1:2]
	v_add_co_u32 v1, vcc_lo, s6, v1
	s_delay_alu instid0(VALU_DEP_2)
	v_add_co_ci_u32_e32 v2, vcc_lo, s7, v2, vcc_lo
	global_load_b64 v[1:2], v[1:2], off
	s_waitcnt vmcnt(0)
	global_store_b64 v3, v[1:2], s[12:13]
.LBB814_2:
	s_and_not1_b32 vcc_lo, exec_lo, s11
	s_cbranch_vccnz .LBB814_7
; %bb.3:
	s_load_b32 s0, s[0:1], 0x20
                                        ; implicit-def: $vgpr1_vgpr2
	s_waitcnt lgkmcnt(0)
	s_sub_i32 s0, s0, s2
	s_delay_alu instid0(SALU_CYCLE_1)
	v_cmp_gt_u32_e32 vcc_lo, s0, v0
	s_and_saveexec_b32 s1, vcc_lo
	s_cbranch_execz .LBB814_5
; %bb.4:
	s_add_u32 s0, s9, s2
	s_addc_u32 s9, s10, 0
	v_add_co_u32 v3, s0, s0, v0
	s_delay_alu instid0(VALU_DEP_1) | instskip(NEXT) | instid1(VALU_DEP_2)
	v_add_co_ci_u32_e64 v5, null, s9, 0, s0
	v_mad_u64_u32 v[1:2], null, v3, s8, 0
	s_delay_alu instid0(VALU_DEP_1) | instskip(NEXT) | instid1(VALU_DEP_1)
	v_mad_u64_u32 v[3:4], null, v5, s8, v[2:3]
	v_mov_b32_e32 v2, v3
	s_delay_alu instid0(VALU_DEP_1) | instskip(NEXT) | instid1(VALU_DEP_1)
	v_lshlrev_b64 v[1:2], 3, v[1:2]
	v_add_co_u32 v1, s0, s6, v1
	s_delay_alu instid0(VALU_DEP_1)
	v_add_co_ci_u32_e64 v2, s0, s7, v2, s0
	global_load_b64 v[1:2], v[1:2], off
.LBB814_5:
	s_or_b32 exec_lo, exec_lo, s1
	s_and_saveexec_b32 s0, vcc_lo
	s_cbranch_execz .LBB814_7
; %bb.6:
	s_lshl_b64 s[0:1], s[2:3], 3
	v_lshlrev_b32_e32 v0, 3, v0
	s_add_u32 s0, s4, s0
	s_addc_u32 s1, s5, s1
	s_waitcnt vmcnt(0)
	global_store_b64 v0, v[1:2], s[0:1]
.LBB814_7:
	s_nop 0
	s_sendmsg sendmsg(MSG_DEALLOC_VGPRS)
	s_endpgm
	.section	.rodata,"a",@progbits
	.p2align	6, 0x0
	.amdhsa_kernel _ZN7rocprim17ROCPRIM_400000_NS6detail17trampoline_kernelINS0_14default_configENS1_25transform_config_selectorIyLb0EEEZNS1_14transform_implILb0ES3_S5_NS0_18transform_iteratorINS0_17counting_iteratorImlEEZNS1_24adjacent_difference_implIS3_Lb1ELb0EPyN6thrust23THRUST_200600_302600_NS16discard_iteratorINSD_11use_defaultEEENSD_5minusIyEEEE10hipError_tPvRmT2_T3_mT4_P12ihipStream_tbEUlmE_yEESB_NS0_8identityIvEEEESJ_SM_SN_mSO_SQ_bEUlT_E_NS1_11comp_targetILNS1_3genE9ELNS1_11target_archE1100ELNS1_3gpuE3ELNS1_3repE0EEENS1_30default_config_static_selectorELNS0_4arch9wavefront6targetE0EEEvT1_
		.amdhsa_group_segment_fixed_size 0
		.amdhsa_private_segment_fixed_size 0
		.amdhsa_kernarg_size 312
		.amdhsa_user_sgpr_count 15
		.amdhsa_user_sgpr_dispatch_ptr 0
		.amdhsa_user_sgpr_queue_ptr 0
		.amdhsa_user_sgpr_kernarg_segment_ptr 1
		.amdhsa_user_sgpr_dispatch_id 0
		.amdhsa_user_sgpr_private_segment_size 0
		.amdhsa_wavefront_size32 1
		.amdhsa_uses_dynamic_stack 0
		.amdhsa_enable_private_segment 0
		.amdhsa_system_sgpr_workgroup_id_x 1
		.amdhsa_system_sgpr_workgroup_id_y 0
		.amdhsa_system_sgpr_workgroup_id_z 0
		.amdhsa_system_sgpr_workgroup_info 0
		.amdhsa_system_vgpr_workitem_id 0
		.amdhsa_next_free_vgpr 6
		.amdhsa_next_free_sgpr 16
		.amdhsa_reserve_vcc 1
		.amdhsa_float_round_mode_32 0
		.amdhsa_float_round_mode_16_64 0
		.amdhsa_float_denorm_mode_32 3
		.amdhsa_float_denorm_mode_16_64 3
		.amdhsa_dx10_clamp 1
		.amdhsa_ieee_mode 1
		.amdhsa_fp16_overflow 0
		.amdhsa_workgroup_processor_mode 1
		.amdhsa_memory_ordered 1
		.amdhsa_forward_progress 0
		.amdhsa_shared_vgpr_count 0
		.amdhsa_exception_fp_ieee_invalid_op 0
		.amdhsa_exception_fp_denorm_src 0
		.amdhsa_exception_fp_ieee_div_zero 0
		.amdhsa_exception_fp_ieee_overflow 0
		.amdhsa_exception_fp_ieee_underflow 0
		.amdhsa_exception_fp_ieee_inexact 0
		.amdhsa_exception_int_div_zero 0
	.end_amdhsa_kernel
	.section	.text._ZN7rocprim17ROCPRIM_400000_NS6detail17trampoline_kernelINS0_14default_configENS1_25transform_config_selectorIyLb0EEEZNS1_14transform_implILb0ES3_S5_NS0_18transform_iteratorINS0_17counting_iteratorImlEEZNS1_24adjacent_difference_implIS3_Lb1ELb0EPyN6thrust23THRUST_200600_302600_NS16discard_iteratorINSD_11use_defaultEEENSD_5minusIyEEEE10hipError_tPvRmT2_T3_mT4_P12ihipStream_tbEUlmE_yEESB_NS0_8identityIvEEEESJ_SM_SN_mSO_SQ_bEUlT_E_NS1_11comp_targetILNS1_3genE9ELNS1_11target_archE1100ELNS1_3gpuE3ELNS1_3repE0EEENS1_30default_config_static_selectorELNS0_4arch9wavefront6targetE0EEEvT1_,"axG",@progbits,_ZN7rocprim17ROCPRIM_400000_NS6detail17trampoline_kernelINS0_14default_configENS1_25transform_config_selectorIyLb0EEEZNS1_14transform_implILb0ES3_S5_NS0_18transform_iteratorINS0_17counting_iteratorImlEEZNS1_24adjacent_difference_implIS3_Lb1ELb0EPyN6thrust23THRUST_200600_302600_NS16discard_iteratorINSD_11use_defaultEEENSD_5minusIyEEEE10hipError_tPvRmT2_T3_mT4_P12ihipStream_tbEUlmE_yEESB_NS0_8identityIvEEEESJ_SM_SN_mSO_SQ_bEUlT_E_NS1_11comp_targetILNS1_3genE9ELNS1_11target_archE1100ELNS1_3gpuE3ELNS1_3repE0EEENS1_30default_config_static_selectorELNS0_4arch9wavefront6targetE0EEEvT1_,comdat
.Lfunc_end814:
	.size	_ZN7rocprim17ROCPRIM_400000_NS6detail17trampoline_kernelINS0_14default_configENS1_25transform_config_selectorIyLb0EEEZNS1_14transform_implILb0ES3_S5_NS0_18transform_iteratorINS0_17counting_iteratorImlEEZNS1_24adjacent_difference_implIS3_Lb1ELb0EPyN6thrust23THRUST_200600_302600_NS16discard_iteratorINSD_11use_defaultEEENSD_5minusIyEEEE10hipError_tPvRmT2_T3_mT4_P12ihipStream_tbEUlmE_yEESB_NS0_8identityIvEEEESJ_SM_SN_mSO_SQ_bEUlT_E_NS1_11comp_targetILNS1_3genE9ELNS1_11target_archE1100ELNS1_3gpuE3ELNS1_3repE0EEENS1_30default_config_static_selectorELNS0_4arch9wavefront6targetE0EEEvT1_, .Lfunc_end814-_ZN7rocprim17ROCPRIM_400000_NS6detail17trampoline_kernelINS0_14default_configENS1_25transform_config_selectorIyLb0EEEZNS1_14transform_implILb0ES3_S5_NS0_18transform_iteratorINS0_17counting_iteratorImlEEZNS1_24adjacent_difference_implIS3_Lb1ELb0EPyN6thrust23THRUST_200600_302600_NS16discard_iteratorINSD_11use_defaultEEENSD_5minusIyEEEE10hipError_tPvRmT2_T3_mT4_P12ihipStream_tbEUlmE_yEESB_NS0_8identityIvEEEESJ_SM_SN_mSO_SQ_bEUlT_E_NS1_11comp_targetILNS1_3genE9ELNS1_11target_archE1100ELNS1_3gpuE3ELNS1_3repE0EEENS1_30default_config_static_selectorELNS0_4arch9wavefront6targetE0EEEvT1_
                                        ; -- End function
	.section	.AMDGPU.csdata,"",@progbits
; Kernel info:
; codeLenInByte = 400
; NumSgprs: 18
; NumVgprs: 6
; ScratchSize: 0
; MemoryBound: 0
; FloatMode: 240
; IeeeMode: 1
; LDSByteSize: 0 bytes/workgroup (compile time only)
; SGPRBlocks: 2
; VGPRBlocks: 0
; NumSGPRsForWavesPerEU: 18
; NumVGPRsForWavesPerEU: 6
; Occupancy: 16
; WaveLimiterHint : 0
; COMPUTE_PGM_RSRC2:SCRATCH_EN: 0
; COMPUTE_PGM_RSRC2:USER_SGPR: 15
; COMPUTE_PGM_RSRC2:TRAP_HANDLER: 0
; COMPUTE_PGM_RSRC2:TGID_X_EN: 1
; COMPUTE_PGM_RSRC2:TGID_Y_EN: 0
; COMPUTE_PGM_RSRC2:TGID_Z_EN: 0
; COMPUTE_PGM_RSRC2:TIDIG_COMP_CNT: 0
	.section	.text._ZN7rocprim17ROCPRIM_400000_NS6detail17trampoline_kernelINS0_14default_configENS1_25transform_config_selectorIyLb0EEEZNS1_14transform_implILb0ES3_S5_NS0_18transform_iteratorINS0_17counting_iteratorImlEEZNS1_24adjacent_difference_implIS3_Lb1ELb0EPyN6thrust23THRUST_200600_302600_NS16discard_iteratorINSD_11use_defaultEEENSD_5minusIyEEEE10hipError_tPvRmT2_T3_mT4_P12ihipStream_tbEUlmE_yEESB_NS0_8identityIvEEEESJ_SM_SN_mSO_SQ_bEUlT_E_NS1_11comp_targetILNS1_3genE8ELNS1_11target_archE1030ELNS1_3gpuE2ELNS1_3repE0EEENS1_30default_config_static_selectorELNS0_4arch9wavefront6targetE0EEEvT1_,"axG",@progbits,_ZN7rocprim17ROCPRIM_400000_NS6detail17trampoline_kernelINS0_14default_configENS1_25transform_config_selectorIyLb0EEEZNS1_14transform_implILb0ES3_S5_NS0_18transform_iteratorINS0_17counting_iteratorImlEEZNS1_24adjacent_difference_implIS3_Lb1ELb0EPyN6thrust23THRUST_200600_302600_NS16discard_iteratorINSD_11use_defaultEEENSD_5minusIyEEEE10hipError_tPvRmT2_T3_mT4_P12ihipStream_tbEUlmE_yEESB_NS0_8identityIvEEEESJ_SM_SN_mSO_SQ_bEUlT_E_NS1_11comp_targetILNS1_3genE8ELNS1_11target_archE1030ELNS1_3gpuE2ELNS1_3repE0EEENS1_30default_config_static_selectorELNS0_4arch9wavefront6targetE0EEEvT1_,comdat
	.protected	_ZN7rocprim17ROCPRIM_400000_NS6detail17trampoline_kernelINS0_14default_configENS1_25transform_config_selectorIyLb0EEEZNS1_14transform_implILb0ES3_S5_NS0_18transform_iteratorINS0_17counting_iteratorImlEEZNS1_24adjacent_difference_implIS3_Lb1ELb0EPyN6thrust23THRUST_200600_302600_NS16discard_iteratorINSD_11use_defaultEEENSD_5minusIyEEEE10hipError_tPvRmT2_T3_mT4_P12ihipStream_tbEUlmE_yEESB_NS0_8identityIvEEEESJ_SM_SN_mSO_SQ_bEUlT_E_NS1_11comp_targetILNS1_3genE8ELNS1_11target_archE1030ELNS1_3gpuE2ELNS1_3repE0EEENS1_30default_config_static_selectorELNS0_4arch9wavefront6targetE0EEEvT1_ ; -- Begin function _ZN7rocprim17ROCPRIM_400000_NS6detail17trampoline_kernelINS0_14default_configENS1_25transform_config_selectorIyLb0EEEZNS1_14transform_implILb0ES3_S5_NS0_18transform_iteratorINS0_17counting_iteratorImlEEZNS1_24adjacent_difference_implIS3_Lb1ELb0EPyN6thrust23THRUST_200600_302600_NS16discard_iteratorINSD_11use_defaultEEENSD_5minusIyEEEE10hipError_tPvRmT2_T3_mT4_P12ihipStream_tbEUlmE_yEESB_NS0_8identityIvEEEESJ_SM_SN_mSO_SQ_bEUlT_E_NS1_11comp_targetILNS1_3genE8ELNS1_11target_archE1030ELNS1_3gpuE2ELNS1_3repE0EEENS1_30default_config_static_selectorELNS0_4arch9wavefront6targetE0EEEvT1_
	.globl	_ZN7rocprim17ROCPRIM_400000_NS6detail17trampoline_kernelINS0_14default_configENS1_25transform_config_selectorIyLb0EEEZNS1_14transform_implILb0ES3_S5_NS0_18transform_iteratorINS0_17counting_iteratorImlEEZNS1_24adjacent_difference_implIS3_Lb1ELb0EPyN6thrust23THRUST_200600_302600_NS16discard_iteratorINSD_11use_defaultEEENSD_5minusIyEEEE10hipError_tPvRmT2_T3_mT4_P12ihipStream_tbEUlmE_yEESB_NS0_8identityIvEEEESJ_SM_SN_mSO_SQ_bEUlT_E_NS1_11comp_targetILNS1_3genE8ELNS1_11target_archE1030ELNS1_3gpuE2ELNS1_3repE0EEENS1_30default_config_static_selectorELNS0_4arch9wavefront6targetE0EEEvT1_
	.p2align	8
	.type	_ZN7rocprim17ROCPRIM_400000_NS6detail17trampoline_kernelINS0_14default_configENS1_25transform_config_selectorIyLb0EEEZNS1_14transform_implILb0ES3_S5_NS0_18transform_iteratorINS0_17counting_iteratorImlEEZNS1_24adjacent_difference_implIS3_Lb1ELb0EPyN6thrust23THRUST_200600_302600_NS16discard_iteratorINSD_11use_defaultEEENSD_5minusIyEEEE10hipError_tPvRmT2_T3_mT4_P12ihipStream_tbEUlmE_yEESB_NS0_8identityIvEEEESJ_SM_SN_mSO_SQ_bEUlT_E_NS1_11comp_targetILNS1_3genE8ELNS1_11target_archE1030ELNS1_3gpuE2ELNS1_3repE0EEENS1_30default_config_static_selectorELNS0_4arch9wavefront6targetE0EEEvT1_,@function
_ZN7rocprim17ROCPRIM_400000_NS6detail17trampoline_kernelINS0_14default_configENS1_25transform_config_selectorIyLb0EEEZNS1_14transform_implILb0ES3_S5_NS0_18transform_iteratorINS0_17counting_iteratorImlEEZNS1_24adjacent_difference_implIS3_Lb1ELb0EPyN6thrust23THRUST_200600_302600_NS16discard_iteratorINSD_11use_defaultEEENSD_5minusIyEEEE10hipError_tPvRmT2_T3_mT4_P12ihipStream_tbEUlmE_yEESB_NS0_8identityIvEEEESJ_SM_SN_mSO_SQ_bEUlT_E_NS1_11comp_targetILNS1_3genE8ELNS1_11target_archE1030ELNS1_3gpuE2ELNS1_3repE0EEENS1_30default_config_static_selectorELNS0_4arch9wavefront6targetE0EEEvT1_: ; @_ZN7rocprim17ROCPRIM_400000_NS6detail17trampoline_kernelINS0_14default_configENS1_25transform_config_selectorIyLb0EEEZNS1_14transform_implILb0ES3_S5_NS0_18transform_iteratorINS0_17counting_iteratorImlEEZNS1_24adjacent_difference_implIS3_Lb1ELb0EPyN6thrust23THRUST_200600_302600_NS16discard_iteratorINSD_11use_defaultEEENSD_5minusIyEEEE10hipError_tPvRmT2_T3_mT4_P12ihipStream_tbEUlmE_yEESB_NS0_8identityIvEEEESJ_SM_SN_mSO_SQ_bEUlT_E_NS1_11comp_targetILNS1_3genE8ELNS1_11target_archE1030ELNS1_3gpuE2ELNS1_3repE0EEENS1_30default_config_static_selectorELNS0_4arch9wavefront6targetE0EEEvT1_
; %bb.0:
	.section	.rodata,"a",@progbits
	.p2align	6, 0x0
	.amdhsa_kernel _ZN7rocprim17ROCPRIM_400000_NS6detail17trampoline_kernelINS0_14default_configENS1_25transform_config_selectorIyLb0EEEZNS1_14transform_implILb0ES3_S5_NS0_18transform_iteratorINS0_17counting_iteratorImlEEZNS1_24adjacent_difference_implIS3_Lb1ELb0EPyN6thrust23THRUST_200600_302600_NS16discard_iteratorINSD_11use_defaultEEENSD_5minusIyEEEE10hipError_tPvRmT2_T3_mT4_P12ihipStream_tbEUlmE_yEESB_NS0_8identityIvEEEESJ_SM_SN_mSO_SQ_bEUlT_E_NS1_11comp_targetILNS1_3genE8ELNS1_11target_archE1030ELNS1_3gpuE2ELNS1_3repE0EEENS1_30default_config_static_selectorELNS0_4arch9wavefront6targetE0EEEvT1_
		.amdhsa_group_segment_fixed_size 0
		.amdhsa_private_segment_fixed_size 0
		.amdhsa_kernarg_size 56
		.amdhsa_user_sgpr_count 15
		.amdhsa_user_sgpr_dispatch_ptr 0
		.amdhsa_user_sgpr_queue_ptr 0
		.amdhsa_user_sgpr_kernarg_segment_ptr 1
		.amdhsa_user_sgpr_dispatch_id 0
		.amdhsa_user_sgpr_private_segment_size 0
		.amdhsa_wavefront_size32 1
		.amdhsa_uses_dynamic_stack 0
		.amdhsa_enable_private_segment 0
		.amdhsa_system_sgpr_workgroup_id_x 1
		.amdhsa_system_sgpr_workgroup_id_y 0
		.amdhsa_system_sgpr_workgroup_id_z 0
		.amdhsa_system_sgpr_workgroup_info 0
		.amdhsa_system_vgpr_workitem_id 0
		.amdhsa_next_free_vgpr 1
		.amdhsa_next_free_sgpr 1
		.amdhsa_reserve_vcc 0
		.amdhsa_float_round_mode_32 0
		.amdhsa_float_round_mode_16_64 0
		.amdhsa_float_denorm_mode_32 3
		.amdhsa_float_denorm_mode_16_64 3
		.amdhsa_dx10_clamp 1
		.amdhsa_ieee_mode 1
		.amdhsa_fp16_overflow 0
		.amdhsa_workgroup_processor_mode 1
		.amdhsa_memory_ordered 1
		.amdhsa_forward_progress 0
		.amdhsa_shared_vgpr_count 0
		.amdhsa_exception_fp_ieee_invalid_op 0
		.amdhsa_exception_fp_denorm_src 0
		.amdhsa_exception_fp_ieee_div_zero 0
		.amdhsa_exception_fp_ieee_overflow 0
		.amdhsa_exception_fp_ieee_underflow 0
		.amdhsa_exception_fp_ieee_inexact 0
		.amdhsa_exception_int_div_zero 0
	.end_amdhsa_kernel
	.section	.text._ZN7rocprim17ROCPRIM_400000_NS6detail17trampoline_kernelINS0_14default_configENS1_25transform_config_selectorIyLb0EEEZNS1_14transform_implILb0ES3_S5_NS0_18transform_iteratorINS0_17counting_iteratorImlEEZNS1_24adjacent_difference_implIS3_Lb1ELb0EPyN6thrust23THRUST_200600_302600_NS16discard_iteratorINSD_11use_defaultEEENSD_5minusIyEEEE10hipError_tPvRmT2_T3_mT4_P12ihipStream_tbEUlmE_yEESB_NS0_8identityIvEEEESJ_SM_SN_mSO_SQ_bEUlT_E_NS1_11comp_targetILNS1_3genE8ELNS1_11target_archE1030ELNS1_3gpuE2ELNS1_3repE0EEENS1_30default_config_static_selectorELNS0_4arch9wavefront6targetE0EEEvT1_,"axG",@progbits,_ZN7rocprim17ROCPRIM_400000_NS6detail17trampoline_kernelINS0_14default_configENS1_25transform_config_selectorIyLb0EEEZNS1_14transform_implILb0ES3_S5_NS0_18transform_iteratorINS0_17counting_iteratorImlEEZNS1_24adjacent_difference_implIS3_Lb1ELb0EPyN6thrust23THRUST_200600_302600_NS16discard_iteratorINSD_11use_defaultEEENSD_5minusIyEEEE10hipError_tPvRmT2_T3_mT4_P12ihipStream_tbEUlmE_yEESB_NS0_8identityIvEEEESJ_SM_SN_mSO_SQ_bEUlT_E_NS1_11comp_targetILNS1_3genE8ELNS1_11target_archE1030ELNS1_3gpuE2ELNS1_3repE0EEENS1_30default_config_static_selectorELNS0_4arch9wavefront6targetE0EEEvT1_,comdat
.Lfunc_end815:
	.size	_ZN7rocprim17ROCPRIM_400000_NS6detail17trampoline_kernelINS0_14default_configENS1_25transform_config_selectorIyLb0EEEZNS1_14transform_implILb0ES3_S5_NS0_18transform_iteratorINS0_17counting_iteratorImlEEZNS1_24adjacent_difference_implIS3_Lb1ELb0EPyN6thrust23THRUST_200600_302600_NS16discard_iteratorINSD_11use_defaultEEENSD_5minusIyEEEE10hipError_tPvRmT2_T3_mT4_P12ihipStream_tbEUlmE_yEESB_NS0_8identityIvEEEESJ_SM_SN_mSO_SQ_bEUlT_E_NS1_11comp_targetILNS1_3genE8ELNS1_11target_archE1030ELNS1_3gpuE2ELNS1_3repE0EEENS1_30default_config_static_selectorELNS0_4arch9wavefront6targetE0EEEvT1_, .Lfunc_end815-_ZN7rocprim17ROCPRIM_400000_NS6detail17trampoline_kernelINS0_14default_configENS1_25transform_config_selectorIyLb0EEEZNS1_14transform_implILb0ES3_S5_NS0_18transform_iteratorINS0_17counting_iteratorImlEEZNS1_24adjacent_difference_implIS3_Lb1ELb0EPyN6thrust23THRUST_200600_302600_NS16discard_iteratorINSD_11use_defaultEEENSD_5minusIyEEEE10hipError_tPvRmT2_T3_mT4_P12ihipStream_tbEUlmE_yEESB_NS0_8identityIvEEEESJ_SM_SN_mSO_SQ_bEUlT_E_NS1_11comp_targetILNS1_3genE8ELNS1_11target_archE1030ELNS1_3gpuE2ELNS1_3repE0EEENS1_30default_config_static_selectorELNS0_4arch9wavefront6targetE0EEEvT1_
                                        ; -- End function
	.section	.AMDGPU.csdata,"",@progbits
; Kernel info:
; codeLenInByte = 0
; NumSgprs: 0
; NumVgprs: 0
; ScratchSize: 0
; MemoryBound: 0
; FloatMode: 240
; IeeeMode: 1
; LDSByteSize: 0 bytes/workgroup (compile time only)
; SGPRBlocks: 0
; VGPRBlocks: 0
; NumSGPRsForWavesPerEU: 1
; NumVGPRsForWavesPerEU: 1
; Occupancy: 16
; WaveLimiterHint : 0
; COMPUTE_PGM_RSRC2:SCRATCH_EN: 0
; COMPUTE_PGM_RSRC2:USER_SGPR: 15
; COMPUTE_PGM_RSRC2:TRAP_HANDLER: 0
; COMPUTE_PGM_RSRC2:TGID_X_EN: 1
; COMPUTE_PGM_RSRC2:TGID_Y_EN: 0
; COMPUTE_PGM_RSRC2:TGID_Z_EN: 0
; COMPUTE_PGM_RSRC2:TIDIG_COMP_CNT: 0
	.section	.text._ZN7rocprim17ROCPRIM_400000_NS6detail17trampoline_kernelINS0_14default_configENS1_35adjacent_difference_config_selectorILb1EyEEZNS1_24adjacent_difference_implIS3_Lb1ELb0EPyN6thrust23THRUST_200600_302600_NS16discard_iteratorINS9_11use_defaultEEENS9_5minusIyEEEE10hipError_tPvRmT2_T3_mT4_P12ihipStream_tbEUlT_E_NS1_11comp_targetILNS1_3genE0ELNS1_11target_archE4294967295ELNS1_3gpuE0ELNS1_3repE0EEENS1_30default_config_static_selectorELNS0_4arch9wavefront6targetE0EEEvT1_,"axG",@progbits,_ZN7rocprim17ROCPRIM_400000_NS6detail17trampoline_kernelINS0_14default_configENS1_35adjacent_difference_config_selectorILb1EyEEZNS1_24adjacent_difference_implIS3_Lb1ELb0EPyN6thrust23THRUST_200600_302600_NS16discard_iteratorINS9_11use_defaultEEENS9_5minusIyEEEE10hipError_tPvRmT2_T3_mT4_P12ihipStream_tbEUlT_E_NS1_11comp_targetILNS1_3genE0ELNS1_11target_archE4294967295ELNS1_3gpuE0ELNS1_3repE0EEENS1_30default_config_static_selectorELNS0_4arch9wavefront6targetE0EEEvT1_,comdat
	.protected	_ZN7rocprim17ROCPRIM_400000_NS6detail17trampoline_kernelINS0_14default_configENS1_35adjacent_difference_config_selectorILb1EyEEZNS1_24adjacent_difference_implIS3_Lb1ELb0EPyN6thrust23THRUST_200600_302600_NS16discard_iteratorINS9_11use_defaultEEENS9_5minusIyEEEE10hipError_tPvRmT2_T3_mT4_P12ihipStream_tbEUlT_E_NS1_11comp_targetILNS1_3genE0ELNS1_11target_archE4294967295ELNS1_3gpuE0ELNS1_3repE0EEENS1_30default_config_static_selectorELNS0_4arch9wavefront6targetE0EEEvT1_ ; -- Begin function _ZN7rocprim17ROCPRIM_400000_NS6detail17trampoline_kernelINS0_14default_configENS1_35adjacent_difference_config_selectorILb1EyEEZNS1_24adjacent_difference_implIS3_Lb1ELb0EPyN6thrust23THRUST_200600_302600_NS16discard_iteratorINS9_11use_defaultEEENS9_5minusIyEEEE10hipError_tPvRmT2_T3_mT4_P12ihipStream_tbEUlT_E_NS1_11comp_targetILNS1_3genE0ELNS1_11target_archE4294967295ELNS1_3gpuE0ELNS1_3repE0EEENS1_30default_config_static_selectorELNS0_4arch9wavefront6targetE0EEEvT1_
	.globl	_ZN7rocprim17ROCPRIM_400000_NS6detail17trampoline_kernelINS0_14default_configENS1_35adjacent_difference_config_selectorILb1EyEEZNS1_24adjacent_difference_implIS3_Lb1ELb0EPyN6thrust23THRUST_200600_302600_NS16discard_iteratorINS9_11use_defaultEEENS9_5minusIyEEEE10hipError_tPvRmT2_T3_mT4_P12ihipStream_tbEUlT_E_NS1_11comp_targetILNS1_3genE0ELNS1_11target_archE4294967295ELNS1_3gpuE0ELNS1_3repE0EEENS1_30default_config_static_selectorELNS0_4arch9wavefront6targetE0EEEvT1_
	.p2align	8
	.type	_ZN7rocprim17ROCPRIM_400000_NS6detail17trampoline_kernelINS0_14default_configENS1_35adjacent_difference_config_selectorILb1EyEEZNS1_24adjacent_difference_implIS3_Lb1ELb0EPyN6thrust23THRUST_200600_302600_NS16discard_iteratorINS9_11use_defaultEEENS9_5minusIyEEEE10hipError_tPvRmT2_T3_mT4_P12ihipStream_tbEUlT_E_NS1_11comp_targetILNS1_3genE0ELNS1_11target_archE4294967295ELNS1_3gpuE0ELNS1_3repE0EEENS1_30default_config_static_selectorELNS0_4arch9wavefront6targetE0EEEvT1_,@function
_ZN7rocprim17ROCPRIM_400000_NS6detail17trampoline_kernelINS0_14default_configENS1_35adjacent_difference_config_selectorILb1EyEEZNS1_24adjacent_difference_implIS3_Lb1ELb0EPyN6thrust23THRUST_200600_302600_NS16discard_iteratorINS9_11use_defaultEEENS9_5minusIyEEEE10hipError_tPvRmT2_T3_mT4_P12ihipStream_tbEUlT_E_NS1_11comp_targetILNS1_3genE0ELNS1_11target_archE4294967295ELNS1_3gpuE0ELNS1_3repE0EEENS1_30default_config_static_selectorELNS0_4arch9wavefront6targetE0EEEvT1_: ; @_ZN7rocprim17ROCPRIM_400000_NS6detail17trampoline_kernelINS0_14default_configENS1_35adjacent_difference_config_selectorILb1EyEEZNS1_24adjacent_difference_implIS3_Lb1ELb0EPyN6thrust23THRUST_200600_302600_NS16discard_iteratorINS9_11use_defaultEEENS9_5minusIyEEEE10hipError_tPvRmT2_T3_mT4_P12ihipStream_tbEUlT_E_NS1_11comp_targetILNS1_3genE0ELNS1_11target_archE4294967295ELNS1_3gpuE0ELNS1_3repE0EEENS1_30default_config_static_selectorELNS0_4arch9wavefront6targetE0EEEvT1_
; %bb.0:
	.section	.rodata,"a",@progbits
	.p2align	6, 0x0
	.amdhsa_kernel _ZN7rocprim17ROCPRIM_400000_NS6detail17trampoline_kernelINS0_14default_configENS1_35adjacent_difference_config_selectorILb1EyEEZNS1_24adjacent_difference_implIS3_Lb1ELb0EPyN6thrust23THRUST_200600_302600_NS16discard_iteratorINS9_11use_defaultEEENS9_5minusIyEEEE10hipError_tPvRmT2_T3_mT4_P12ihipStream_tbEUlT_E_NS1_11comp_targetILNS1_3genE0ELNS1_11target_archE4294967295ELNS1_3gpuE0ELNS1_3repE0EEENS1_30default_config_static_selectorELNS0_4arch9wavefront6targetE0EEEvT1_
		.amdhsa_group_segment_fixed_size 0
		.amdhsa_private_segment_fixed_size 0
		.amdhsa_kernarg_size 64
		.amdhsa_user_sgpr_count 15
		.amdhsa_user_sgpr_dispatch_ptr 0
		.amdhsa_user_sgpr_queue_ptr 0
		.amdhsa_user_sgpr_kernarg_segment_ptr 1
		.amdhsa_user_sgpr_dispatch_id 0
		.amdhsa_user_sgpr_private_segment_size 0
		.amdhsa_wavefront_size32 1
		.amdhsa_uses_dynamic_stack 0
		.amdhsa_enable_private_segment 0
		.amdhsa_system_sgpr_workgroup_id_x 1
		.amdhsa_system_sgpr_workgroup_id_y 0
		.amdhsa_system_sgpr_workgroup_id_z 0
		.amdhsa_system_sgpr_workgroup_info 0
		.amdhsa_system_vgpr_workitem_id 0
		.amdhsa_next_free_vgpr 1
		.amdhsa_next_free_sgpr 1
		.amdhsa_reserve_vcc 0
		.amdhsa_float_round_mode_32 0
		.amdhsa_float_round_mode_16_64 0
		.amdhsa_float_denorm_mode_32 3
		.amdhsa_float_denorm_mode_16_64 3
		.amdhsa_dx10_clamp 1
		.amdhsa_ieee_mode 1
		.amdhsa_fp16_overflow 0
		.amdhsa_workgroup_processor_mode 1
		.amdhsa_memory_ordered 1
		.amdhsa_forward_progress 0
		.amdhsa_shared_vgpr_count 0
		.amdhsa_exception_fp_ieee_invalid_op 0
		.amdhsa_exception_fp_denorm_src 0
		.amdhsa_exception_fp_ieee_div_zero 0
		.amdhsa_exception_fp_ieee_overflow 0
		.amdhsa_exception_fp_ieee_underflow 0
		.amdhsa_exception_fp_ieee_inexact 0
		.amdhsa_exception_int_div_zero 0
	.end_amdhsa_kernel
	.section	.text._ZN7rocprim17ROCPRIM_400000_NS6detail17trampoline_kernelINS0_14default_configENS1_35adjacent_difference_config_selectorILb1EyEEZNS1_24adjacent_difference_implIS3_Lb1ELb0EPyN6thrust23THRUST_200600_302600_NS16discard_iteratorINS9_11use_defaultEEENS9_5minusIyEEEE10hipError_tPvRmT2_T3_mT4_P12ihipStream_tbEUlT_E_NS1_11comp_targetILNS1_3genE0ELNS1_11target_archE4294967295ELNS1_3gpuE0ELNS1_3repE0EEENS1_30default_config_static_selectorELNS0_4arch9wavefront6targetE0EEEvT1_,"axG",@progbits,_ZN7rocprim17ROCPRIM_400000_NS6detail17trampoline_kernelINS0_14default_configENS1_35adjacent_difference_config_selectorILb1EyEEZNS1_24adjacent_difference_implIS3_Lb1ELb0EPyN6thrust23THRUST_200600_302600_NS16discard_iteratorINS9_11use_defaultEEENS9_5minusIyEEEE10hipError_tPvRmT2_T3_mT4_P12ihipStream_tbEUlT_E_NS1_11comp_targetILNS1_3genE0ELNS1_11target_archE4294967295ELNS1_3gpuE0ELNS1_3repE0EEENS1_30default_config_static_selectorELNS0_4arch9wavefront6targetE0EEEvT1_,comdat
.Lfunc_end816:
	.size	_ZN7rocprim17ROCPRIM_400000_NS6detail17trampoline_kernelINS0_14default_configENS1_35adjacent_difference_config_selectorILb1EyEEZNS1_24adjacent_difference_implIS3_Lb1ELb0EPyN6thrust23THRUST_200600_302600_NS16discard_iteratorINS9_11use_defaultEEENS9_5minusIyEEEE10hipError_tPvRmT2_T3_mT4_P12ihipStream_tbEUlT_E_NS1_11comp_targetILNS1_3genE0ELNS1_11target_archE4294967295ELNS1_3gpuE0ELNS1_3repE0EEENS1_30default_config_static_selectorELNS0_4arch9wavefront6targetE0EEEvT1_, .Lfunc_end816-_ZN7rocprim17ROCPRIM_400000_NS6detail17trampoline_kernelINS0_14default_configENS1_35adjacent_difference_config_selectorILb1EyEEZNS1_24adjacent_difference_implIS3_Lb1ELb0EPyN6thrust23THRUST_200600_302600_NS16discard_iteratorINS9_11use_defaultEEENS9_5minusIyEEEE10hipError_tPvRmT2_T3_mT4_P12ihipStream_tbEUlT_E_NS1_11comp_targetILNS1_3genE0ELNS1_11target_archE4294967295ELNS1_3gpuE0ELNS1_3repE0EEENS1_30default_config_static_selectorELNS0_4arch9wavefront6targetE0EEEvT1_
                                        ; -- End function
	.section	.AMDGPU.csdata,"",@progbits
; Kernel info:
; codeLenInByte = 0
; NumSgprs: 0
; NumVgprs: 0
; ScratchSize: 0
; MemoryBound: 0
; FloatMode: 240
; IeeeMode: 1
; LDSByteSize: 0 bytes/workgroup (compile time only)
; SGPRBlocks: 0
; VGPRBlocks: 0
; NumSGPRsForWavesPerEU: 1
; NumVGPRsForWavesPerEU: 1
; Occupancy: 16
; WaveLimiterHint : 0
; COMPUTE_PGM_RSRC2:SCRATCH_EN: 0
; COMPUTE_PGM_RSRC2:USER_SGPR: 15
; COMPUTE_PGM_RSRC2:TRAP_HANDLER: 0
; COMPUTE_PGM_RSRC2:TGID_X_EN: 1
; COMPUTE_PGM_RSRC2:TGID_Y_EN: 0
; COMPUTE_PGM_RSRC2:TGID_Z_EN: 0
; COMPUTE_PGM_RSRC2:TIDIG_COMP_CNT: 0
	.section	.text._ZN7rocprim17ROCPRIM_400000_NS6detail17trampoline_kernelINS0_14default_configENS1_35adjacent_difference_config_selectorILb1EyEEZNS1_24adjacent_difference_implIS3_Lb1ELb0EPyN6thrust23THRUST_200600_302600_NS16discard_iteratorINS9_11use_defaultEEENS9_5minusIyEEEE10hipError_tPvRmT2_T3_mT4_P12ihipStream_tbEUlT_E_NS1_11comp_targetILNS1_3genE10ELNS1_11target_archE1201ELNS1_3gpuE5ELNS1_3repE0EEENS1_30default_config_static_selectorELNS0_4arch9wavefront6targetE0EEEvT1_,"axG",@progbits,_ZN7rocprim17ROCPRIM_400000_NS6detail17trampoline_kernelINS0_14default_configENS1_35adjacent_difference_config_selectorILb1EyEEZNS1_24adjacent_difference_implIS3_Lb1ELb0EPyN6thrust23THRUST_200600_302600_NS16discard_iteratorINS9_11use_defaultEEENS9_5minusIyEEEE10hipError_tPvRmT2_T3_mT4_P12ihipStream_tbEUlT_E_NS1_11comp_targetILNS1_3genE10ELNS1_11target_archE1201ELNS1_3gpuE5ELNS1_3repE0EEENS1_30default_config_static_selectorELNS0_4arch9wavefront6targetE0EEEvT1_,comdat
	.protected	_ZN7rocprim17ROCPRIM_400000_NS6detail17trampoline_kernelINS0_14default_configENS1_35adjacent_difference_config_selectorILb1EyEEZNS1_24adjacent_difference_implIS3_Lb1ELb0EPyN6thrust23THRUST_200600_302600_NS16discard_iteratorINS9_11use_defaultEEENS9_5minusIyEEEE10hipError_tPvRmT2_T3_mT4_P12ihipStream_tbEUlT_E_NS1_11comp_targetILNS1_3genE10ELNS1_11target_archE1201ELNS1_3gpuE5ELNS1_3repE0EEENS1_30default_config_static_selectorELNS0_4arch9wavefront6targetE0EEEvT1_ ; -- Begin function _ZN7rocprim17ROCPRIM_400000_NS6detail17trampoline_kernelINS0_14default_configENS1_35adjacent_difference_config_selectorILb1EyEEZNS1_24adjacent_difference_implIS3_Lb1ELb0EPyN6thrust23THRUST_200600_302600_NS16discard_iteratorINS9_11use_defaultEEENS9_5minusIyEEEE10hipError_tPvRmT2_T3_mT4_P12ihipStream_tbEUlT_E_NS1_11comp_targetILNS1_3genE10ELNS1_11target_archE1201ELNS1_3gpuE5ELNS1_3repE0EEENS1_30default_config_static_selectorELNS0_4arch9wavefront6targetE0EEEvT1_
	.globl	_ZN7rocprim17ROCPRIM_400000_NS6detail17trampoline_kernelINS0_14default_configENS1_35adjacent_difference_config_selectorILb1EyEEZNS1_24adjacent_difference_implIS3_Lb1ELb0EPyN6thrust23THRUST_200600_302600_NS16discard_iteratorINS9_11use_defaultEEENS9_5minusIyEEEE10hipError_tPvRmT2_T3_mT4_P12ihipStream_tbEUlT_E_NS1_11comp_targetILNS1_3genE10ELNS1_11target_archE1201ELNS1_3gpuE5ELNS1_3repE0EEENS1_30default_config_static_selectorELNS0_4arch9wavefront6targetE0EEEvT1_
	.p2align	8
	.type	_ZN7rocprim17ROCPRIM_400000_NS6detail17trampoline_kernelINS0_14default_configENS1_35adjacent_difference_config_selectorILb1EyEEZNS1_24adjacent_difference_implIS3_Lb1ELb0EPyN6thrust23THRUST_200600_302600_NS16discard_iteratorINS9_11use_defaultEEENS9_5minusIyEEEE10hipError_tPvRmT2_T3_mT4_P12ihipStream_tbEUlT_E_NS1_11comp_targetILNS1_3genE10ELNS1_11target_archE1201ELNS1_3gpuE5ELNS1_3repE0EEENS1_30default_config_static_selectorELNS0_4arch9wavefront6targetE0EEEvT1_,@function
_ZN7rocprim17ROCPRIM_400000_NS6detail17trampoline_kernelINS0_14default_configENS1_35adjacent_difference_config_selectorILb1EyEEZNS1_24adjacent_difference_implIS3_Lb1ELb0EPyN6thrust23THRUST_200600_302600_NS16discard_iteratorINS9_11use_defaultEEENS9_5minusIyEEEE10hipError_tPvRmT2_T3_mT4_P12ihipStream_tbEUlT_E_NS1_11comp_targetILNS1_3genE10ELNS1_11target_archE1201ELNS1_3gpuE5ELNS1_3repE0EEENS1_30default_config_static_selectorELNS0_4arch9wavefront6targetE0EEEvT1_: ; @_ZN7rocprim17ROCPRIM_400000_NS6detail17trampoline_kernelINS0_14default_configENS1_35adjacent_difference_config_selectorILb1EyEEZNS1_24adjacent_difference_implIS3_Lb1ELb0EPyN6thrust23THRUST_200600_302600_NS16discard_iteratorINS9_11use_defaultEEENS9_5minusIyEEEE10hipError_tPvRmT2_T3_mT4_P12ihipStream_tbEUlT_E_NS1_11comp_targetILNS1_3genE10ELNS1_11target_archE1201ELNS1_3gpuE5ELNS1_3repE0EEENS1_30default_config_static_selectorELNS0_4arch9wavefront6targetE0EEEvT1_
; %bb.0:
	.section	.rodata,"a",@progbits
	.p2align	6, 0x0
	.amdhsa_kernel _ZN7rocprim17ROCPRIM_400000_NS6detail17trampoline_kernelINS0_14default_configENS1_35adjacent_difference_config_selectorILb1EyEEZNS1_24adjacent_difference_implIS3_Lb1ELb0EPyN6thrust23THRUST_200600_302600_NS16discard_iteratorINS9_11use_defaultEEENS9_5minusIyEEEE10hipError_tPvRmT2_T3_mT4_P12ihipStream_tbEUlT_E_NS1_11comp_targetILNS1_3genE10ELNS1_11target_archE1201ELNS1_3gpuE5ELNS1_3repE0EEENS1_30default_config_static_selectorELNS0_4arch9wavefront6targetE0EEEvT1_
		.amdhsa_group_segment_fixed_size 0
		.amdhsa_private_segment_fixed_size 0
		.amdhsa_kernarg_size 64
		.amdhsa_user_sgpr_count 15
		.amdhsa_user_sgpr_dispatch_ptr 0
		.amdhsa_user_sgpr_queue_ptr 0
		.amdhsa_user_sgpr_kernarg_segment_ptr 1
		.amdhsa_user_sgpr_dispatch_id 0
		.amdhsa_user_sgpr_private_segment_size 0
		.amdhsa_wavefront_size32 1
		.amdhsa_uses_dynamic_stack 0
		.amdhsa_enable_private_segment 0
		.amdhsa_system_sgpr_workgroup_id_x 1
		.amdhsa_system_sgpr_workgroup_id_y 0
		.amdhsa_system_sgpr_workgroup_id_z 0
		.amdhsa_system_sgpr_workgroup_info 0
		.amdhsa_system_vgpr_workitem_id 0
		.amdhsa_next_free_vgpr 1
		.amdhsa_next_free_sgpr 1
		.amdhsa_reserve_vcc 0
		.amdhsa_float_round_mode_32 0
		.amdhsa_float_round_mode_16_64 0
		.amdhsa_float_denorm_mode_32 3
		.amdhsa_float_denorm_mode_16_64 3
		.amdhsa_dx10_clamp 1
		.amdhsa_ieee_mode 1
		.amdhsa_fp16_overflow 0
		.amdhsa_workgroup_processor_mode 1
		.amdhsa_memory_ordered 1
		.amdhsa_forward_progress 0
		.amdhsa_shared_vgpr_count 0
		.amdhsa_exception_fp_ieee_invalid_op 0
		.amdhsa_exception_fp_denorm_src 0
		.amdhsa_exception_fp_ieee_div_zero 0
		.amdhsa_exception_fp_ieee_overflow 0
		.amdhsa_exception_fp_ieee_underflow 0
		.amdhsa_exception_fp_ieee_inexact 0
		.amdhsa_exception_int_div_zero 0
	.end_amdhsa_kernel
	.section	.text._ZN7rocprim17ROCPRIM_400000_NS6detail17trampoline_kernelINS0_14default_configENS1_35adjacent_difference_config_selectorILb1EyEEZNS1_24adjacent_difference_implIS3_Lb1ELb0EPyN6thrust23THRUST_200600_302600_NS16discard_iteratorINS9_11use_defaultEEENS9_5minusIyEEEE10hipError_tPvRmT2_T3_mT4_P12ihipStream_tbEUlT_E_NS1_11comp_targetILNS1_3genE10ELNS1_11target_archE1201ELNS1_3gpuE5ELNS1_3repE0EEENS1_30default_config_static_selectorELNS0_4arch9wavefront6targetE0EEEvT1_,"axG",@progbits,_ZN7rocprim17ROCPRIM_400000_NS6detail17trampoline_kernelINS0_14default_configENS1_35adjacent_difference_config_selectorILb1EyEEZNS1_24adjacent_difference_implIS3_Lb1ELb0EPyN6thrust23THRUST_200600_302600_NS16discard_iteratorINS9_11use_defaultEEENS9_5minusIyEEEE10hipError_tPvRmT2_T3_mT4_P12ihipStream_tbEUlT_E_NS1_11comp_targetILNS1_3genE10ELNS1_11target_archE1201ELNS1_3gpuE5ELNS1_3repE0EEENS1_30default_config_static_selectorELNS0_4arch9wavefront6targetE0EEEvT1_,comdat
.Lfunc_end817:
	.size	_ZN7rocprim17ROCPRIM_400000_NS6detail17trampoline_kernelINS0_14default_configENS1_35adjacent_difference_config_selectorILb1EyEEZNS1_24adjacent_difference_implIS3_Lb1ELb0EPyN6thrust23THRUST_200600_302600_NS16discard_iteratorINS9_11use_defaultEEENS9_5minusIyEEEE10hipError_tPvRmT2_T3_mT4_P12ihipStream_tbEUlT_E_NS1_11comp_targetILNS1_3genE10ELNS1_11target_archE1201ELNS1_3gpuE5ELNS1_3repE0EEENS1_30default_config_static_selectorELNS0_4arch9wavefront6targetE0EEEvT1_, .Lfunc_end817-_ZN7rocprim17ROCPRIM_400000_NS6detail17trampoline_kernelINS0_14default_configENS1_35adjacent_difference_config_selectorILb1EyEEZNS1_24adjacent_difference_implIS3_Lb1ELb0EPyN6thrust23THRUST_200600_302600_NS16discard_iteratorINS9_11use_defaultEEENS9_5minusIyEEEE10hipError_tPvRmT2_T3_mT4_P12ihipStream_tbEUlT_E_NS1_11comp_targetILNS1_3genE10ELNS1_11target_archE1201ELNS1_3gpuE5ELNS1_3repE0EEENS1_30default_config_static_selectorELNS0_4arch9wavefront6targetE0EEEvT1_
                                        ; -- End function
	.section	.AMDGPU.csdata,"",@progbits
; Kernel info:
; codeLenInByte = 0
; NumSgprs: 0
; NumVgprs: 0
; ScratchSize: 0
; MemoryBound: 0
; FloatMode: 240
; IeeeMode: 1
; LDSByteSize: 0 bytes/workgroup (compile time only)
; SGPRBlocks: 0
; VGPRBlocks: 0
; NumSGPRsForWavesPerEU: 1
; NumVGPRsForWavesPerEU: 1
; Occupancy: 16
; WaveLimiterHint : 0
; COMPUTE_PGM_RSRC2:SCRATCH_EN: 0
; COMPUTE_PGM_RSRC2:USER_SGPR: 15
; COMPUTE_PGM_RSRC2:TRAP_HANDLER: 0
; COMPUTE_PGM_RSRC2:TGID_X_EN: 1
; COMPUTE_PGM_RSRC2:TGID_Y_EN: 0
; COMPUTE_PGM_RSRC2:TGID_Z_EN: 0
; COMPUTE_PGM_RSRC2:TIDIG_COMP_CNT: 0
	.section	.text._ZN7rocprim17ROCPRIM_400000_NS6detail17trampoline_kernelINS0_14default_configENS1_35adjacent_difference_config_selectorILb1EyEEZNS1_24adjacent_difference_implIS3_Lb1ELb0EPyN6thrust23THRUST_200600_302600_NS16discard_iteratorINS9_11use_defaultEEENS9_5minusIyEEEE10hipError_tPvRmT2_T3_mT4_P12ihipStream_tbEUlT_E_NS1_11comp_targetILNS1_3genE5ELNS1_11target_archE942ELNS1_3gpuE9ELNS1_3repE0EEENS1_30default_config_static_selectorELNS0_4arch9wavefront6targetE0EEEvT1_,"axG",@progbits,_ZN7rocprim17ROCPRIM_400000_NS6detail17trampoline_kernelINS0_14default_configENS1_35adjacent_difference_config_selectorILb1EyEEZNS1_24adjacent_difference_implIS3_Lb1ELb0EPyN6thrust23THRUST_200600_302600_NS16discard_iteratorINS9_11use_defaultEEENS9_5minusIyEEEE10hipError_tPvRmT2_T3_mT4_P12ihipStream_tbEUlT_E_NS1_11comp_targetILNS1_3genE5ELNS1_11target_archE942ELNS1_3gpuE9ELNS1_3repE0EEENS1_30default_config_static_selectorELNS0_4arch9wavefront6targetE0EEEvT1_,comdat
	.protected	_ZN7rocprim17ROCPRIM_400000_NS6detail17trampoline_kernelINS0_14default_configENS1_35adjacent_difference_config_selectorILb1EyEEZNS1_24adjacent_difference_implIS3_Lb1ELb0EPyN6thrust23THRUST_200600_302600_NS16discard_iteratorINS9_11use_defaultEEENS9_5minusIyEEEE10hipError_tPvRmT2_T3_mT4_P12ihipStream_tbEUlT_E_NS1_11comp_targetILNS1_3genE5ELNS1_11target_archE942ELNS1_3gpuE9ELNS1_3repE0EEENS1_30default_config_static_selectorELNS0_4arch9wavefront6targetE0EEEvT1_ ; -- Begin function _ZN7rocprim17ROCPRIM_400000_NS6detail17trampoline_kernelINS0_14default_configENS1_35adjacent_difference_config_selectorILb1EyEEZNS1_24adjacent_difference_implIS3_Lb1ELb0EPyN6thrust23THRUST_200600_302600_NS16discard_iteratorINS9_11use_defaultEEENS9_5minusIyEEEE10hipError_tPvRmT2_T3_mT4_P12ihipStream_tbEUlT_E_NS1_11comp_targetILNS1_3genE5ELNS1_11target_archE942ELNS1_3gpuE9ELNS1_3repE0EEENS1_30default_config_static_selectorELNS0_4arch9wavefront6targetE0EEEvT1_
	.globl	_ZN7rocprim17ROCPRIM_400000_NS6detail17trampoline_kernelINS0_14default_configENS1_35adjacent_difference_config_selectorILb1EyEEZNS1_24adjacent_difference_implIS3_Lb1ELb0EPyN6thrust23THRUST_200600_302600_NS16discard_iteratorINS9_11use_defaultEEENS9_5minusIyEEEE10hipError_tPvRmT2_T3_mT4_P12ihipStream_tbEUlT_E_NS1_11comp_targetILNS1_3genE5ELNS1_11target_archE942ELNS1_3gpuE9ELNS1_3repE0EEENS1_30default_config_static_selectorELNS0_4arch9wavefront6targetE0EEEvT1_
	.p2align	8
	.type	_ZN7rocprim17ROCPRIM_400000_NS6detail17trampoline_kernelINS0_14default_configENS1_35adjacent_difference_config_selectorILb1EyEEZNS1_24adjacent_difference_implIS3_Lb1ELb0EPyN6thrust23THRUST_200600_302600_NS16discard_iteratorINS9_11use_defaultEEENS9_5minusIyEEEE10hipError_tPvRmT2_T3_mT4_P12ihipStream_tbEUlT_E_NS1_11comp_targetILNS1_3genE5ELNS1_11target_archE942ELNS1_3gpuE9ELNS1_3repE0EEENS1_30default_config_static_selectorELNS0_4arch9wavefront6targetE0EEEvT1_,@function
_ZN7rocprim17ROCPRIM_400000_NS6detail17trampoline_kernelINS0_14default_configENS1_35adjacent_difference_config_selectorILb1EyEEZNS1_24adjacent_difference_implIS3_Lb1ELb0EPyN6thrust23THRUST_200600_302600_NS16discard_iteratorINS9_11use_defaultEEENS9_5minusIyEEEE10hipError_tPvRmT2_T3_mT4_P12ihipStream_tbEUlT_E_NS1_11comp_targetILNS1_3genE5ELNS1_11target_archE942ELNS1_3gpuE9ELNS1_3repE0EEENS1_30default_config_static_selectorELNS0_4arch9wavefront6targetE0EEEvT1_: ; @_ZN7rocprim17ROCPRIM_400000_NS6detail17trampoline_kernelINS0_14default_configENS1_35adjacent_difference_config_selectorILb1EyEEZNS1_24adjacent_difference_implIS3_Lb1ELb0EPyN6thrust23THRUST_200600_302600_NS16discard_iteratorINS9_11use_defaultEEENS9_5minusIyEEEE10hipError_tPvRmT2_T3_mT4_P12ihipStream_tbEUlT_E_NS1_11comp_targetILNS1_3genE5ELNS1_11target_archE942ELNS1_3gpuE9ELNS1_3repE0EEENS1_30default_config_static_selectorELNS0_4arch9wavefront6targetE0EEEvT1_
; %bb.0:
	.section	.rodata,"a",@progbits
	.p2align	6, 0x0
	.amdhsa_kernel _ZN7rocprim17ROCPRIM_400000_NS6detail17trampoline_kernelINS0_14default_configENS1_35adjacent_difference_config_selectorILb1EyEEZNS1_24adjacent_difference_implIS3_Lb1ELb0EPyN6thrust23THRUST_200600_302600_NS16discard_iteratorINS9_11use_defaultEEENS9_5minusIyEEEE10hipError_tPvRmT2_T3_mT4_P12ihipStream_tbEUlT_E_NS1_11comp_targetILNS1_3genE5ELNS1_11target_archE942ELNS1_3gpuE9ELNS1_3repE0EEENS1_30default_config_static_selectorELNS0_4arch9wavefront6targetE0EEEvT1_
		.amdhsa_group_segment_fixed_size 0
		.amdhsa_private_segment_fixed_size 0
		.amdhsa_kernarg_size 64
		.amdhsa_user_sgpr_count 15
		.amdhsa_user_sgpr_dispatch_ptr 0
		.amdhsa_user_sgpr_queue_ptr 0
		.amdhsa_user_sgpr_kernarg_segment_ptr 1
		.amdhsa_user_sgpr_dispatch_id 0
		.amdhsa_user_sgpr_private_segment_size 0
		.amdhsa_wavefront_size32 1
		.amdhsa_uses_dynamic_stack 0
		.amdhsa_enable_private_segment 0
		.amdhsa_system_sgpr_workgroup_id_x 1
		.amdhsa_system_sgpr_workgroup_id_y 0
		.amdhsa_system_sgpr_workgroup_id_z 0
		.amdhsa_system_sgpr_workgroup_info 0
		.amdhsa_system_vgpr_workitem_id 0
		.amdhsa_next_free_vgpr 1
		.amdhsa_next_free_sgpr 1
		.amdhsa_reserve_vcc 0
		.amdhsa_float_round_mode_32 0
		.amdhsa_float_round_mode_16_64 0
		.amdhsa_float_denorm_mode_32 3
		.amdhsa_float_denorm_mode_16_64 3
		.amdhsa_dx10_clamp 1
		.amdhsa_ieee_mode 1
		.amdhsa_fp16_overflow 0
		.amdhsa_workgroup_processor_mode 1
		.amdhsa_memory_ordered 1
		.amdhsa_forward_progress 0
		.amdhsa_shared_vgpr_count 0
		.amdhsa_exception_fp_ieee_invalid_op 0
		.amdhsa_exception_fp_denorm_src 0
		.amdhsa_exception_fp_ieee_div_zero 0
		.amdhsa_exception_fp_ieee_overflow 0
		.amdhsa_exception_fp_ieee_underflow 0
		.amdhsa_exception_fp_ieee_inexact 0
		.amdhsa_exception_int_div_zero 0
	.end_amdhsa_kernel
	.section	.text._ZN7rocprim17ROCPRIM_400000_NS6detail17trampoline_kernelINS0_14default_configENS1_35adjacent_difference_config_selectorILb1EyEEZNS1_24adjacent_difference_implIS3_Lb1ELb0EPyN6thrust23THRUST_200600_302600_NS16discard_iteratorINS9_11use_defaultEEENS9_5minusIyEEEE10hipError_tPvRmT2_T3_mT4_P12ihipStream_tbEUlT_E_NS1_11comp_targetILNS1_3genE5ELNS1_11target_archE942ELNS1_3gpuE9ELNS1_3repE0EEENS1_30default_config_static_selectorELNS0_4arch9wavefront6targetE0EEEvT1_,"axG",@progbits,_ZN7rocprim17ROCPRIM_400000_NS6detail17trampoline_kernelINS0_14default_configENS1_35adjacent_difference_config_selectorILb1EyEEZNS1_24adjacent_difference_implIS3_Lb1ELb0EPyN6thrust23THRUST_200600_302600_NS16discard_iteratorINS9_11use_defaultEEENS9_5minusIyEEEE10hipError_tPvRmT2_T3_mT4_P12ihipStream_tbEUlT_E_NS1_11comp_targetILNS1_3genE5ELNS1_11target_archE942ELNS1_3gpuE9ELNS1_3repE0EEENS1_30default_config_static_selectorELNS0_4arch9wavefront6targetE0EEEvT1_,comdat
.Lfunc_end818:
	.size	_ZN7rocprim17ROCPRIM_400000_NS6detail17trampoline_kernelINS0_14default_configENS1_35adjacent_difference_config_selectorILb1EyEEZNS1_24adjacent_difference_implIS3_Lb1ELb0EPyN6thrust23THRUST_200600_302600_NS16discard_iteratorINS9_11use_defaultEEENS9_5minusIyEEEE10hipError_tPvRmT2_T3_mT4_P12ihipStream_tbEUlT_E_NS1_11comp_targetILNS1_3genE5ELNS1_11target_archE942ELNS1_3gpuE9ELNS1_3repE0EEENS1_30default_config_static_selectorELNS0_4arch9wavefront6targetE0EEEvT1_, .Lfunc_end818-_ZN7rocprim17ROCPRIM_400000_NS6detail17trampoline_kernelINS0_14default_configENS1_35adjacent_difference_config_selectorILb1EyEEZNS1_24adjacent_difference_implIS3_Lb1ELb0EPyN6thrust23THRUST_200600_302600_NS16discard_iteratorINS9_11use_defaultEEENS9_5minusIyEEEE10hipError_tPvRmT2_T3_mT4_P12ihipStream_tbEUlT_E_NS1_11comp_targetILNS1_3genE5ELNS1_11target_archE942ELNS1_3gpuE9ELNS1_3repE0EEENS1_30default_config_static_selectorELNS0_4arch9wavefront6targetE0EEEvT1_
                                        ; -- End function
	.section	.AMDGPU.csdata,"",@progbits
; Kernel info:
; codeLenInByte = 0
; NumSgprs: 0
; NumVgprs: 0
; ScratchSize: 0
; MemoryBound: 0
; FloatMode: 240
; IeeeMode: 1
; LDSByteSize: 0 bytes/workgroup (compile time only)
; SGPRBlocks: 0
; VGPRBlocks: 0
; NumSGPRsForWavesPerEU: 1
; NumVGPRsForWavesPerEU: 1
; Occupancy: 16
; WaveLimiterHint : 0
; COMPUTE_PGM_RSRC2:SCRATCH_EN: 0
; COMPUTE_PGM_RSRC2:USER_SGPR: 15
; COMPUTE_PGM_RSRC2:TRAP_HANDLER: 0
; COMPUTE_PGM_RSRC2:TGID_X_EN: 1
; COMPUTE_PGM_RSRC2:TGID_Y_EN: 0
; COMPUTE_PGM_RSRC2:TGID_Z_EN: 0
; COMPUTE_PGM_RSRC2:TIDIG_COMP_CNT: 0
	.section	.text._ZN7rocprim17ROCPRIM_400000_NS6detail17trampoline_kernelINS0_14default_configENS1_35adjacent_difference_config_selectorILb1EyEEZNS1_24adjacent_difference_implIS3_Lb1ELb0EPyN6thrust23THRUST_200600_302600_NS16discard_iteratorINS9_11use_defaultEEENS9_5minusIyEEEE10hipError_tPvRmT2_T3_mT4_P12ihipStream_tbEUlT_E_NS1_11comp_targetILNS1_3genE4ELNS1_11target_archE910ELNS1_3gpuE8ELNS1_3repE0EEENS1_30default_config_static_selectorELNS0_4arch9wavefront6targetE0EEEvT1_,"axG",@progbits,_ZN7rocprim17ROCPRIM_400000_NS6detail17trampoline_kernelINS0_14default_configENS1_35adjacent_difference_config_selectorILb1EyEEZNS1_24adjacent_difference_implIS3_Lb1ELb0EPyN6thrust23THRUST_200600_302600_NS16discard_iteratorINS9_11use_defaultEEENS9_5minusIyEEEE10hipError_tPvRmT2_T3_mT4_P12ihipStream_tbEUlT_E_NS1_11comp_targetILNS1_3genE4ELNS1_11target_archE910ELNS1_3gpuE8ELNS1_3repE0EEENS1_30default_config_static_selectorELNS0_4arch9wavefront6targetE0EEEvT1_,comdat
	.protected	_ZN7rocprim17ROCPRIM_400000_NS6detail17trampoline_kernelINS0_14default_configENS1_35adjacent_difference_config_selectorILb1EyEEZNS1_24adjacent_difference_implIS3_Lb1ELb0EPyN6thrust23THRUST_200600_302600_NS16discard_iteratorINS9_11use_defaultEEENS9_5minusIyEEEE10hipError_tPvRmT2_T3_mT4_P12ihipStream_tbEUlT_E_NS1_11comp_targetILNS1_3genE4ELNS1_11target_archE910ELNS1_3gpuE8ELNS1_3repE0EEENS1_30default_config_static_selectorELNS0_4arch9wavefront6targetE0EEEvT1_ ; -- Begin function _ZN7rocprim17ROCPRIM_400000_NS6detail17trampoline_kernelINS0_14default_configENS1_35adjacent_difference_config_selectorILb1EyEEZNS1_24adjacent_difference_implIS3_Lb1ELb0EPyN6thrust23THRUST_200600_302600_NS16discard_iteratorINS9_11use_defaultEEENS9_5minusIyEEEE10hipError_tPvRmT2_T3_mT4_P12ihipStream_tbEUlT_E_NS1_11comp_targetILNS1_3genE4ELNS1_11target_archE910ELNS1_3gpuE8ELNS1_3repE0EEENS1_30default_config_static_selectorELNS0_4arch9wavefront6targetE0EEEvT1_
	.globl	_ZN7rocprim17ROCPRIM_400000_NS6detail17trampoline_kernelINS0_14default_configENS1_35adjacent_difference_config_selectorILb1EyEEZNS1_24adjacent_difference_implIS3_Lb1ELb0EPyN6thrust23THRUST_200600_302600_NS16discard_iteratorINS9_11use_defaultEEENS9_5minusIyEEEE10hipError_tPvRmT2_T3_mT4_P12ihipStream_tbEUlT_E_NS1_11comp_targetILNS1_3genE4ELNS1_11target_archE910ELNS1_3gpuE8ELNS1_3repE0EEENS1_30default_config_static_selectorELNS0_4arch9wavefront6targetE0EEEvT1_
	.p2align	8
	.type	_ZN7rocprim17ROCPRIM_400000_NS6detail17trampoline_kernelINS0_14default_configENS1_35adjacent_difference_config_selectorILb1EyEEZNS1_24adjacent_difference_implIS3_Lb1ELb0EPyN6thrust23THRUST_200600_302600_NS16discard_iteratorINS9_11use_defaultEEENS9_5minusIyEEEE10hipError_tPvRmT2_T3_mT4_P12ihipStream_tbEUlT_E_NS1_11comp_targetILNS1_3genE4ELNS1_11target_archE910ELNS1_3gpuE8ELNS1_3repE0EEENS1_30default_config_static_selectorELNS0_4arch9wavefront6targetE0EEEvT1_,@function
_ZN7rocprim17ROCPRIM_400000_NS6detail17trampoline_kernelINS0_14default_configENS1_35adjacent_difference_config_selectorILb1EyEEZNS1_24adjacent_difference_implIS3_Lb1ELb0EPyN6thrust23THRUST_200600_302600_NS16discard_iteratorINS9_11use_defaultEEENS9_5minusIyEEEE10hipError_tPvRmT2_T3_mT4_P12ihipStream_tbEUlT_E_NS1_11comp_targetILNS1_3genE4ELNS1_11target_archE910ELNS1_3gpuE8ELNS1_3repE0EEENS1_30default_config_static_selectorELNS0_4arch9wavefront6targetE0EEEvT1_: ; @_ZN7rocprim17ROCPRIM_400000_NS6detail17trampoline_kernelINS0_14default_configENS1_35adjacent_difference_config_selectorILb1EyEEZNS1_24adjacent_difference_implIS3_Lb1ELb0EPyN6thrust23THRUST_200600_302600_NS16discard_iteratorINS9_11use_defaultEEENS9_5minusIyEEEE10hipError_tPvRmT2_T3_mT4_P12ihipStream_tbEUlT_E_NS1_11comp_targetILNS1_3genE4ELNS1_11target_archE910ELNS1_3gpuE8ELNS1_3repE0EEENS1_30default_config_static_selectorELNS0_4arch9wavefront6targetE0EEEvT1_
; %bb.0:
	.section	.rodata,"a",@progbits
	.p2align	6, 0x0
	.amdhsa_kernel _ZN7rocprim17ROCPRIM_400000_NS6detail17trampoline_kernelINS0_14default_configENS1_35adjacent_difference_config_selectorILb1EyEEZNS1_24adjacent_difference_implIS3_Lb1ELb0EPyN6thrust23THRUST_200600_302600_NS16discard_iteratorINS9_11use_defaultEEENS9_5minusIyEEEE10hipError_tPvRmT2_T3_mT4_P12ihipStream_tbEUlT_E_NS1_11comp_targetILNS1_3genE4ELNS1_11target_archE910ELNS1_3gpuE8ELNS1_3repE0EEENS1_30default_config_static_selectorELNS0_4arch9wavefront6targetE0EEEvT1_
		.amdhsa_group_segment_fixed_size 0
		.amdhsa_private_segment_fixed_size 0
		.amdhsa_kernarg_size 64
		.amdhsa_user_sgpr_count 15
		.amdhsa_user_sgpr_dispatch_ptr 0
		.amdhsa_user_sgpr_queue_ptr 0
		.amdhsa_user_sgpr_kernarg_segment_ptr 1
		.amdhsa_user_sgpr_dispatch_id 0
		.amdhsa_user_sgpr_private_segment_size 0
		.amdhsa_wavefront_size32 1
		.amdhsa_uses_dynamic_stack 0
		.amdhsa_enable_private_segment 0
		.amdhsa_system_sgpr_workgroup_id_x 1
		.amdhsa_system_sgpr_workgroup_id_y 0
		.amdhsa_system_sgpr_workgroup_id_z 0
		.amdhsa_system_sgpr_workgroup_info 0
		.amdhsa_system_vgpr_workitem_id 0
		.amdhsa_next_free_vgpr 1
		.amdhsa_next_free_sgpr 1
		.amdhsa_reserve_vcc 0
		.amdhsa_float_round_mode_32 0
		.amdhsa_float_round_mode_16_64 0
		.amdhsa_float_denorm_mode_32 3
		.amdhsa_float_denorm_mode_16_64 3
		.amdhsa_dx10_clamp 1
		.amdhsa_ieee_mode 1
		.amdhsa_fp16_overflow 0
		.amdhsa_workgroup_processor_mode 1
		.amdhsa_memory_ordered 1
		.amdhsa_forward_progress 0
		.amdhsa_shared_vgpr_count 0
		.amdhsa_exception_fp_ieee_invalid_op 0
		.amdhsa_exception_fp_denorm_src 0
		.amdhsa_exception_fp_ieee_div_zero 0
		.amdhsa_exception_fp_ieee_overflow 0
		.amdhsa_exception_fp_ieee_underflow 0
		.amdhsa_exception_fp_ieee_inexact 0
		.amdhsa_exception_int_div_zero 0
	.end_amdhsa_kernel
	.section	.text._ZN7rocprim17ROCPRIM_400000_NS6detail17trampoline_kernelINS0_14default_configENS1_35adjacent_difference_config_selectorILb1EyEEZNS1_24adjacent_difference_implIS3_Lb1ELb0EPyN6thrust23THRUST_200600_302600_NS16discard_iteratorINS9_11use_defaultEEENS9_5minusIyEEEE10hipError_tPvRmT2_T3_mT4_P12ihipStream_tbEUlT_E_NS1_11comp_targetILNS1_3genE4ELNS1_11target_archE910ELNS1_3gpuE8ELNS1_3repE0EEENS1_30default_config_static_selectorELNS0_4arch9wavefront6targetE0EEEvT1_,"axG",@progbits,_ZN7rocprim17ROCPRIM_400000_NS6detail17trampoline_kernelINS0_14default_configENS1_35adjacent_difference_config_selectorILb1EyEEZNS1_24adjacent_difference_implIS3_Lb1ELb0EPyN6thrust23THRUST_200600_302600_NS16discard_iteratorINS9_11use_defaultEEENS9_5minusIyEEEE10hipError_tPvRmT2_T3_mT4_P12ihipStream_tbEUlT_E_NS1_11comp_targetILNS1_3genE4ELNS1_11target_archE910ELNS1_3gpuE8ELNS1_3repE0EEENS1_30default_config_static_selectorELNS0_4arch9wavefront6targetE0EEEvT1_,comdat
.Lfunc_end819:
	.size	_ZN7rocprim17ROCPRIM_400000_NS6detail17trampoline_kernelINS0_14default_configENS1_35adjacent_difference_config_selectorILb1EyEEZNS1_24adjacent_difference_implIS3_Lb1ELb0EPyN6thrust23THRUST_200600_302600_NS16discard_iteratorINS9_11use_defaultEEENS9_5minusIyEEEE10hipError_tPvRmT2_T3_mT4_P12ihipStream_tbEUlT_E_NS1_11comp_targetILNS1_3genE4ELNS1_11target_archE910ELNS1_3gpuE8ELNS1_3repE0EEENS1_30default_config_static_selectorELNS0_4arch9wavefront6targetE0EEEvT1_, .Lfunc_end819-_ZN7rocprim17ROCPRIM_400000_NS6detail17trampoline_kernelINS0_14default_configENS1_35adjacent_difference_config_selectorILb1EyEEZNS1_24adjacent_difference_implIS3_Lb1ELb0EPyN6thrust23THRUST_200600_302600_NS16discard_iteratorINS9_11use_defaultEEENS9_5minusIyEEEE10hipError_tPvRmT2_T3_mT4_P12ihipStream_tbEUlT_E_NS1_11comp_targetILNS1_3genE4ELNS1_11target_archE910ELNS1_3gpuE8ELNS1_3repE0EEENS1_30default_config_static_selectorELNS0_4arch9wavefront6targetE0EEEvT1_
                                        ; -- End function
	.section	.AMDGPU.csdata,"",@progbits
; Kernel info:
; codeLenInByte = 0
; NumSgprs: 0
; NumVgprs: 0
; ScratchSize: 0
; MemoryBound: 0
; FloatMode: 240
; IeeeMode: 1
; LDSByteSize: 0 bytes/workgroup (compile time only)
; SGPRBlocks: 0
; VGPRBlocks: 0
; NumSGPRsForWavesPerEU: 1
; NumVGPRsForWavesPerEU: 1
; Occupancy: 16
; WaveLimiterHint : 0
; COMPUTE_PGM_RSRC2:SCRATCH_EN: 0
; COMPUTE_PGM_RSRC2:USER_SGPR: 15
; COMPUTE_PGM_RSRC2:TRAP_HANDLER: 0
; COMPUTE_PGM_RSRC2:TGID_X_EN: 1
; COMPUTE_PGM_RSRC2:TGID_Y_EN: 0
; COMPUTE_PGM_RSRC2:TGID_Z_EN: 0
; COMPUTE_PGM_RSRC2:TIDIG_COMP_CNT: 0
	.section	.text._ZN7rocprim17ROCPRIM_400000_NS6detail17trampoline_kernelINS0_14default_configENS1_35adjacent_difference_config_selectorILb1EyEEZNS1_24adjacent_difference_implIS3_Lb1ELb0EPyN6thrust23THRUST_200600_302600_NS16discard_iteratorINS9_11use_defaultEEENS9_5minusIyEEEE10hipError_tPvRmT2_T3_mT4_P12ihipStream_tbEUlT_E_NS1_11comp_targetILNS1_3genE3ELNS1_11target_archE908ELNS1_3gpuE7ELNS1_3repE0EEENS1_30default_config_static_selectorELNS0_4arch9wavefront6targetE0EEEvT1_,"axG",@progbits,_ZN7rocprim17ROCPRIM_400000_NS6detail17trampoline_kernelINS0_14default_configENS1_35adjacent_difference_config_selectorILb1EyEEZNS1_24adjacent_difference_implIS3_Lb1ELb0EPyN6thrust23THRUST_200600_302600_NS16discard_iteratorINS9_11use_defaultEEENS9_5minusIyEEEE10hipError_tPvRmT2_T3_mT4_P12ihipStream_tbEUlT_E_NS1_11comp_targetILNS1_3genE3ELNS1_11target_archE908ELNS1_3gpuE7ELNS1_3repE0EEENS1_30default_config_static_selectorELNS0_4arch9wavefront6targetE0EEEvT1_,comdat
	.protected	_ZN7rocprim17ROCPRIM_400000_NS6detail17trampoline_kernelINS0_14default_configENS1_35adjacent_difference_config_selectorILb1EyEEZNS1_24adjacent_difference_implIS3_Lb1ELb0EPyN6thrust23THRUST_200600_302600_NS16discard_iteratorINS9_11use_defaultEEENS9_5minusIyEEEE10hipError_tPvRmT2_T3_mT4_P12ihipStream_tbEUlT_E_NS1_11comp_targetILNS1_3genE3ELNS1_11target_archE908ELNS1_3gpuE7ELNS1_3repE0EEENS1_30default_config_static_selectorELNS0_4arch9wavefront6targetE0EEEvT1_ ; -- Begin function _ZN7rocprim17ROCPRIM_400000_NS6detail17trampoline_kernelINS0_14default_configENS1_35adjacent_difference_config_selectorILb1EyEEZNS1_24adjacent_difference_implIS3_Lb1ELb0EPyN6thrust23THRUST_200600_302600_NS16discard_iteratorINS9_11use_defaultEEENS9_5minusIyEEEE10hipError_tPvRmT2_T3_mT4_P12ihipStream_tbEUlT_E_NS1_11comp_targetILNS1_3genE3ELNS1_11target_archE908ELNS1_3gpuE7ELNS1_3repE0EEENS1_30default_config_static_selectorELNS0_4arch9wavefront6targetE0EEEvT1_
	.globl	_ZN7rocprim17ROCPRIM_400000_NS6detail17trampoline_kernelINS0_14default_configENS1_35adjacent_difference_config_selectorILb1EyEEZNS1_24adjacent_difference_implIS3_Lb1ELb0EPyN6thrust23THRUST_200600_302600_NS16discard_iteratorINS9_11use_defaultEEENS9_5minusIyEEEE10hipError_tPvRmT2_T3_mT4_P12ihipStream_tbEUlT_E_NS1_11comp_targetILNS1_3genE3ELNS1_11target_archE908ELNS1_3gpuE7ELNS1_3repE0EEENS1_30default_config_static_selectorELNS0_4arch9wavefront6targetE0EEEvT1_
	.p2align	8
	.type	_ZN7rocprim17ROCPRIM_400000_NS6detail17trampoline_kernelINS0_14default_configENS1_35adjacent_difference_config_selectorILb1EyEEZNS1_24adjacent_difference_implIS3_Lb1ELb0EPyN6thrust23THRUST_200600_302600_NS16discard_iteratorINS9_11use_defaultEEENS9_5minusIyEEEE10hipError_tPvRmT2_T3_mT4_P12ihipStream_tbEUlT_E_NS1_11comp_targetILNS1_3genE3ELNS1_11target_archE908ELNS1_3gpuE7ELNS1_3repE0EEENS1_30default_config_static_selectorELNS0_4arch9wavefront6targetE0EEEvT1_,@function
_ZN7rocprim17ROCPRIM_400000_NS6detail17trampoline_kernelINS0_14default_configENS1_35adjacent_difference_config_selectorILb1EyEEZNS1_24adjacent_difference_implIS3_Lb1ELb0EPyN6thrust23THRUST_200600_302600_NS16discard_iteratorINS9_11use_defaultEEENS9_5minusIyEEEE10hipError_tPvRmT2_T3_mT4_P12ihipStream_tbEUlT_E_NS1_11comp_targetILNS1_3genE3ELNS1_11target_archE908ELNS1_3gpuE7ELNS1_3repE0EEENS1_30default_config_static_selectorELNS0_4arch9wavefront6targetE0EEEvT1_: ; @_ZN7rocprim17ROCPRIM_400000_NS6detail17trampoline_kernelINS0_14default_configENS1_35adjacent_difference_config_selectorILb1EyEEZNS1_24adjacent_difference_implIS3_Lb1ELb0EPyN6thrust23THRUST_200600_302600_NS16discard_iteratorINS9_11use_defaultEEENS9_5minusIyEEEE10hipError_tPvRmT2_T3_mT4_P12ihipStream_tbEUlT_E_NS1_11comp_targetILNS1_3genE3ELNS1_11target_archE908ELNS1_3gpuE7ELNS1_3repE0EEENS1_30default_config_static_selectorELNS0_4arch9wavefront6targetE0EEEvT1_
; %bb.0:
	.section	.rodata,"a",@progbits
	.p2align	6, 0x0
	.amdhsa_kernel _ZN7rocprim17ROCPRIM_400000_NS6detail17trampoline_kernelINS0_14default_configENS1_35adjacent_difference_config_selectorILb1EyEEZNS1_24adjacent_difference_implIS3_Lb1ELb0EPyN6thrust23THRUST_200600_302600_NS16discard_iteratorINS9_11use_defaultEEENS9_5minusIyEEEE10hipError_tPvRmT2_T3_mT4_P12ihipStream_tbEUlT_E_NS1_11comp_targetILNS1_3genE3ELNS1_11target_archE908ELNS1_3gpuE7ELNS1_3repE0EEENS1_30default_config_static_selectorELNS0_4arch9wavefront6targetE0EEEvT1_
		.amdhsa_group_segment_fixed_size 0
		.amdhsa_private_segment_fixed_size 0
		.amdhsa_kernarg_size 64
		.amdhsa_user_sgpr_count 15
		.amdhsa_user_sgpr_dispatch_ptr 0
		.amdhsa_user_sgpr_queue_ptr 0
		.amdhsa_user_sgpr_kernarg_segment_ptr 1
		.amdhsa_user_sgpr_dispatch_id 0
		.amdhsa_user_sgpr_private_segment_size 0
		.amdhsa_wavefront_size32 1
		.amdhsa_uses_dynamic_stack 0
		.amdhsa_enable_private_segment 0
		.amdhsa_system_sgpr_workgroup_id_x 1
		.amdhsa_system_sgpr_workgroup_id_y 0
		.amdhsa_system_sgpr_workgroup_id_z 0
		.amdhsa_system_sgpr_workgroup_info 0
		.amdhsa_system_vgpr_workitem_id 0
		.amdhsa_next_free_vgpr 1
		.amdhsa_next_free_sgpr 1
		.amdhsa_reserve_vcc 0
		.amdhsa_float_round_mode_32 0
		.amdhsa_float_round_mode_16_64 0
		.amdhsa_float_denorm_mode_32 3
		.amdhsa_float_denorm_mode_16_64 3
		.amdhsa_dx10_clamp 1
		.amdhsa_ieee_mode 1
		.amdhsa_fp16_overflow 0
		.amdhsa_workgroup_processor_mode 1
		.amdhsa_memory_ordered 1
		.amdhsa_forward_progress 0
		.amdhsa_shared_vgpr_count 0
		.amdhsa_exception_fp_ieee_invalid_op 0
		.amdhsa_exception_fp_denorm_src 0
		.amdhsa_exception_fp_ieee_div_zero 0
		.amdhsa_exception_fp_ieee_overflow 0
		.amdhsa_exception_fp_ieee_underflow 0
		.amdhsa_exception_fp_ieee_inexact 0
		.amdhsa_exception_int_div_zero 0
	.end_amdhsa_kernel
	.section	.text._ZN7rocprim17ROCPRIM_400000_NS6detail17trampoline_kernelINS0_14default_configENS1_35adjacent_difference_config_selectorILb1EyEEZNS1_24adjacent_difference_implIS3_Lb1ELb0EPyN6thrust23THRUST_200600_302600_NS16discard_iteratorINS9_11use_defaultEEENS9_5minusIyEEEE10hipError_tPvRmT2_T3_mT4_P12ihipStream_tbEUlT_E_NS1_11comp_targetILNS1_3genE3ELNS1_11target_archE908ELNS1_3gpuE7ELNS1_3repE0EEENS1_30default_config_static_selectorELNS0_4arch9wavefront6targetE0EEEvT1_,"axG",@progbits,_ZN7rocprim17ROCPRIM_400000_NS6detail17trampoline_kernelINS0_14default_configENS1_35adjacent_difference_config_selectorILb1EyEEZNS1_24adjacent_difference_implIS3_Lb1ELb0EPyN6thrust23THRUST_200600_302600_NS16discard_iteratorINS9_11use_defaultEEENS9_5minusIyEEEE10hipError_tPvRmT2_T3_mT4_P12ihipStream_tbEUlT_E_NS1_11comp_targetILNS1_3genE3ELNS1_11target_archE908ELNS1_3gpuE7ELNS1_3repE0EEENS1_30default_config_static_selectorELNS0_4arch9wavefront6targetE0EEEvT1_,comdat
.Lfunc_end820:
	.size	_ZN7rocprim17ROCPRIM_400000_NS6detail17trampoline_kernelINS0_14default_configENS1_35adjacent_difference_config_selectorILb1EyEEZNS1_24adjacent_difference_implIS3_Lb1ELb0EPyN6thrust23THRUST_200600_302600_NS16discard_iteratorINS9_11use_defaultEEENS9_5minusIyEEEE10hipError_tPvRmT2_T3_mT4_P12ihipStream_tbEUlT_E_NS1_11comp_targetILNS1_3genE3ELNS1_11target_archE908ELNS1_3gpuE7ELNS1_3repE0EEENS1_30default_config_static_selectorELNS0_4arch9wavefront6targetE0EEEvT1_, .Lfunc_end820-_ZN7rocprim17ROCPRIM_400000_NS6detail17trampoline_kernelINS0_14default_configENS1_35adjacent_difference_config_selectorILb1EyEEZNS1_24adjacent_difference_implIS3_Lb1ELb0EPyN6thrust23THRUST_200600_302600_NS16discard_iteratorINS9_11use_defaultEEENS9_5minusIyEEEE10hipError_tPvRmT2_T3_mT4_P12ihipStream_tbEUlT_E_NS1_11comp_targetILNS1_3genE3ELNS1_11target_archE908ELNS1_3gpuE7ELNS1_3repE0EEENS1_30default_config_static_selectorELNS0_4arch9wavefront6targetE0EEEvT1_
                                        ; -- End function
	.section	.AMDGPU.csdata,"",@progbits
; Kernel info:
; codeLenInByte = 0
; NumSgprs: 0
; NumVgprs: 0
; ScratchSize: 0
; MemoryBound: 0
; FloatMode: 240
; IeeeMode: 1
; LDSByteSize: 0 bytes/workgroup (compile time only)
; SGPRBlocks: 0
; VGPRBlocks: 0
; NumSGPRsForWavesPerEU: 1
; NumVGPRsForWavesPerEU: 1
; Occupancy: 16
; WaveLimiterHint : 0
; COMPUTE_PGM_RSRC2:SCRATCH_EN: 0
; COMPUTE_PGM_RSRC2:USER_SGPR: 15
; COMPUTE_PGM_RSRC2:TRAP_HANDLER: 0
; COMPUTE_PGM_RSRC2:TGID_X_EN: 1
; COMPUTE_PGM_RSRC2:TGID_Y_EN: 0
; COMPUTE_PGM_RSRC2:TGID_Z_EN: 0
; COMPUTE_PGM_RSRC2:TIDIG_COMP_CNT: 0
	.section	.text._ZN7rocprim17ROCPRIM_400000_NS6detail17trampoline_kernelINS0_14default_configENS1_35adjacent_difference_config_selectorILb1EyEEZNS1_24adjacent_difference_implIS3_Lb1ELb0EPyN6thrust23THRUST_200600_302600_NS16discard_iteratorINS9_11use_defaultEEENS9_5minusIyEEEE10hipError_tPvRmT2_T3_mT4_P12ihipStream_tbEUlT_E_NS1_11comp_targetILNS1_3genE2ELNS1_11target_archE906ELNS1_3gpuE6ELNS1_3repE0EEENS1_30default_config_static_selectorELNS0_4arch9wavefront6targetE0EEEvT1_,"axG",@progbits,_ZN7rocprim17ROCPRIM_400000_NS6detail17trampoline_kernelINS0_14default_configENS1_35adjacent_difference_config_selectorILb1EyEEZNS1_24adjacent_difference_implIS3_Lb1ELb0EPyN6thrust23THRUST_200600_302600_NS16discard_iteratorINS9_11use_defaultEEENS9_5minusIyEEEE10hipError_tPvRmT2_T3_mT4_P12ihipStream_tbEUlT_E_NS1_11comp_targetILNS1_3genE2ELNS1_11target_archE906ELNS1_3gpuE6ELNS1_3repE0EEENS1_30default_config_static_selectorELNS0_4arch9wavefront6targetE0EEEvT1_,comdat
	.protected	_ZN7rocprim17ROCPRIM_400000_NS6detail17trampoline_kernelINS0_14default_configENS1_35adjacent_difference_config_selectorILb1EyEEZNS1_24adjacent_difference_implIS3_Lb1ELb0EPyN6thrust23THRUST_200600_302600_NS16discard_iteratorINS9_11use_defaultEEENS9_5minusIyEEEE10hipError_tPvRmT2_T3_mT4_P12ihipStream_tbEUlT_E_NS1_11comp_targetILNS1_3genE2ELNS1_11target_archE906ELNS1_3gpuE6ELNS1_3repE0EEENS1_30default_config_static_selectorELNS0_4arch9wavefront6targetE0EEEvT1_ ; -- Begin function _ZN7rocprim17ROCPRIM_400000_NS6detail17trampoline_kernelINS0_14default_configENS1_35adjacent_difference_config_selectorILb1EyEEZNS1_24adjacent_difference_implIS3_Lb1ELb0EPyN6thrust23THRUST_200600_302600_NS16discard_iteratorINS9_11use_defaultEEENS9_5minusIyEEEE10hipError_tPvRmT2_T3_mT4_P12ihipStream_tbEUlT_E_NS1_11comp_targetILNS1_3genE2ELNS1_11target_archE906ELNS1_3gpuE6ELNS1_3repE0EEENS1_30default_config_static_selectorELNS0_4arch9wavefront6targetE0EEEvT1_
	.globl	_ZN7rocprim17ROCPRIM_400000_NS6detail17trampoline_kernelINS0_14default_configENS1_35adjacent_difference_config_selectorILb1EyEEZNS1_24adjacent_difference_implIS3_Lb1ELb0EPyN6thrust23THRUST_200600_302600_NS16discard_iteratorINS9_11use_defaultEEENS9_5minusIyEEEE10hipError_tPvRmT2_T3_mT4_P12ihipStream_tbEUlT_E_NS1_11comp_targetILNS1_3genE2ELNS1_11target_archE906ELNS1_3gpuE6ELNS1_3repE0EEENS1_30default_config_static_selectorELNS0_4arch9wavefront6targetE0EEEvT1_
	.p2align	8
	.type	_ZN7rocprim17ROCPRIM_400000_NS6detail17trampoline_kernelINS0_14default_configENS1_35adjacent_difference_config_selectorILb1EyEEZNS1_24adjacent_difference_implIS3_Lb1ELb0EPyN6thrust23THRUST_200600_302600_NS16discard_iteratorINS9_11use_defaultEEENS9_5minusIyEEEE10hipError_tPvRmT2_T3_mT4_P12ihipStream_tbEUlT_E_NS1_11comp_targetILNS1_3genE2ELNS1_11target_archE906ELNS1_3gpuE6ELNS1_3repE0EEENS1_30default_config_static_selectorELNS0_4arch9wavefront6targetE0EEEvT1_,@function
_ZN7rocprim17ROCPRIM_400000_NS6detail17trampoline_kernelINS0_14default_configENS1_35adjacent_difference_config_selectorILb1EyEEZNS1_24adjacent_difference_implIS3_Lb1ELb0EPyN6thrust23THRUST_200600_302600_NS16discard_iteratorINS9_11use_defaultEEENS9_5minusIyEEEE10hipError_tPvRmT2_T3_mT4_P12ihipStream_tbEUlT_E_NS1_11comp_targetILNS1_3genE2ELNS1_11target_archE906ELNS1_3gpuE6ELNS1_3repE0EEENS1_30default_config_static_selectorELNS0_4arch9wavefront6targetE0EEEvT1_: ; @_ZN7rocprim17ROCPRIM_400000_NS6detail17trampoline_kernelINS0_14default_configENS1_35adjacent_difference_config_selectorILb1EyEEZNS1_24adjacent_difference_implIS3_Lb1ELb0EPyN6thrust23THRUST_200600_302600_NS16discard_iteratorINS9_11use_defaultEEENS9_5minusIyEEEE10hipError_tPvRmT2_T3_mT4_P12ihipStream_tbEUlT_E_NS1_11comp_targetILNS1_3genE2ELNS1_11target_archE906ELNS1_3gpuE6ELNS1_3repE0EEENS1_30default_config_static_selectorELNS0_4arch9wavefront6targetE0EEEvT1_
; %bb.0:
	.section	.rodata,"a",@progbits
	.p2align	6, 0x0
	.amdhsa_kernel _ZN7rocprim17ROCPRIM_400000_NS6detail17trampoline_kernelINS0_14default_configENS1_35adjacent_difference_config_selectorILb1EyEEZNS1_24adjacent_difference_implIS3_Lb1ELb0EPyN6thrust23THRUST_200600_302600_NS16discard_iteratorINS9_11use_defaultEEENS9_5minusIyEEEE10hipError_tPvRmT2_T3_mT4_P12ihipStream_tbEUlT_E_NS1_11comp_targetILNS1_3genE2ELNS1_11target_archE906ELNS1_3gpuE6ELNS1_3repE0EEENS1_30default_config_static_selectorELNS0_4arch9wavefront6targetE0EEEvT1_
		.amdhsa_group_segment_fixed_size 0
		.amdhsa_private_segment_fixed_size 0
		.amdhsa_kernarg_size 64
		.amdhsa_user_sgpr_count 15
		.amdhsa_user_sgpr_dispatch_ptr 0
		.amdhsa_user_sgpr_queue_ptr 0
		.amdhsa_user_sgpr_kernarg_segment_ptr 1
		.amdhsa_user_sgpr_dispatch_id 0
		.amdhsa_user_sgpr_private_segment_size 0
		.amdhsa_wavefront_size32 1
		.amdhsa_uses_dynamic_stack 0
		.amdhsa_enable_private_segment 0
		.amdhsa_system_sgpr_workgroup_id_x 1
		.amdhsa_system_sgpr_workgroup_id_y 0
		.amdhsa_system_sgpr_workgroup_id_z 0
		.amdhsa_system_sgpr_workgroup_info 0
		.amdhsa_system_vgpr_workitem_id 0
		.amdhsa_next_free_vgpr 1
		.amdhsa_next_free_sgpr 1
		.amdhsa_reserve_vcc 0
		.amdhsa_float_round_mode_32 0
		.amdhsa_float_round_mode_16_64 0
		.amdhsa_float_denorm_mode_32 3
		.amdhsa_float_denorm_mode_16_64 3
		.amdhsa_dx10_clamp 1
		.amdhsa_ieee_mode 1
		.amdhsa_fp16_overflow 0
		.amdhsa_workgroup_processor_mode 1
		.amdhsa_memory_ordered 1
		.amdhsa_forward_progress 0
		.amdhsa_shared_vgpr_count 0
		.amdhsa_exception_fp_ieee_invalid_op 0
		.amdhsa_exception_fp_denorm_src 0
		.amdhsa_exception_fp_ieee_div_zero 0
		.amdhsa_exception_fp_ieee_overflow 0
		.amdhsa_exception_fp_ieee_underflow 0
		.amdhsa_exception_fp_ieee_inexact 0
		.amdhsa_exception_int_div_zero 0
	.end_amdhsa_kernel
	.section	.text._ZN7rocprim17ROCPRIM_400000_NS6detail17trampoline_kernelINS0_14default_configENS1_35adjacent_difference_config_selectorILb1EyEEZNS1_24adjacent_difference_implIS3_Lb1ELb0EPyN6thrust23THRUST_200600_302600_NS16discard_iteratorINS9_11use_defaultEEENS9_5minusIyEEEE10hipError_tPvRmT2_T3_mT4_P12ihipStream_tbEUlT_E_NS1_11comp_targetILNS1_3genE2ELNS1_11target_archE906ELNS1_3gpuE6ELNS1_3repE0EEENS1_30default_config_static_selectorELNS0_4arch9wavefront6targetE0EEEvT1_,"axG",@progbits,_ZN7rocprim17ROCPRIM_400000_NS6detail17trampoline_kernelINS0_14default_configENS1_35adjacent_difference_config_selectorILb1EyEEZNS1_24adjacent_difference_implIS3_Lb1ELb0EPyN6thrust23THRUST_200600_302600_NS16discard_iteratorINS9_11use_defaultEEENS9_5minusIyEEEE10hipError_tPvRmT2_T3_mT4_P12ihipStream_tbEUlT_E_NS1_11comp_targetILNS1_3genE2ELNS1_11target_archE906ELNS1_3gpuE6ELNS1_3repE0EEENS1_30default_config_static_selectorELNS0_4arch9wavefront6targetE0EEEvT1_,comdat
.Lfunc_end821:
	.size	_ZN7rocprim17ROCPRIM_400000_NS6detail17trampoline_kernelINS0_14default_configENS1_35adjacent_difference_config_selectorILb1EyEEZNS1_24adjacent_difference_implIS3_Lb1ELb0EPyN6thrust23THRUST_200600_302600_NS16discard_iteratorINS9_11use_defaultEEENS9_5minusIyEEEE10hipError_tPvRmT2_T3_mT4_P12ihipStream_tbEUlT_E_NS1_11comp_targetILNS1_3genE2ELNS1_11target_archE906ELNS1_3gpuE6ELNS1_3repE0EEENS1_30default_config_static_selectorELNS0_4arch9wavefront6targetE0EEEvT1_, .Lfunc_end821-_ZN7rocprim17ROCPRIM_400000_NS6detail17trampoline_kernelINS0_14default_configENS1_35adjacent_difference_config_selectorILb1EyEEZNS1_24adjacent_difference_implIS3_Lb1ELb0EPyN6thrust23THRUST_200600_302600_NS16discard_iteratorINS9_11use_defaultEEENS9_5minusIyEEEE10hipError_tPvRmT2_T3_mT4_P12ihipStream_tbEUlT_E_NS1_11comp_targetILNS1_3genE2ELNS1_11target_archE906ELNS1_3gpuE6ELNS1_3repE0EEENS1_30default_config_static_selectorELNS0_4arch9wavefront6targetE0EEEvT1_
                                        ; -- End function
	.section	.AMDGPU.csdata,"",@progbits
; Kernel info:
; codeLenInByte = 0
; NumSgprs: 0
; NumVgprs: 0
; ScratchSize: 0
; MemoryBound: 0
; FloatMode: 240
; IeeeMode: 1
; LDSByteSize: 0 bytes/workgroup (compile time only)
; SGPRBlocks: 0
; VGPRBlocks: 0
; NumSGPRsForWavesPerEU: 1
; NumVGPRsForWavesPerEU: 1
; Occupancy: 16
; WaveLimiterHint : 0
; COMPUTE_PGM_RSRC2:SCRATCH_EN: 0
; COMPUTE_PGM_RSRC2:USER_SGPR: 15
; COMPUTE_PGM_RSRC2:TRAP_HANDLER: 0
; COMPUTE_PGM_RSRC2:TGID_X_EN: 1
; COMPUTE_PGM_RSRC2:TGID_Y_EN: 0
; COMPUTE_PGM_RSRC2:TGID_Z_EN: 0
; COMPUTE_PGM_RSRC2:TIDIG_COMP_CNT: 0
	.section	.text._ZN7rocprim17ROCPRIM_400000_NS6detail17trampoline_kernelINS0_14default_configENS1_35adjacent_difference_config_selectorILb1EyEEZNS1_24adjacent_difference_implIS3_Lb1ELb0EPyN6thrust23THRUST_200600_302600_NS16discard_iteratorINS9_11use_defaultEEENS9_5minusIyEEEE10hipError_tPvRmT2_T3_mT4_P12ihipStream_tbEUlT_E_NS1_11comp_targetILNS1_3genE9ELNS1_11target_archE1100ELNS1_3gpuE3ELNS1_3repE0EEENS1_30default_config_static_selectorELNS0_4arch9wavefront6targetE0EEEvT1_,"axG",@progbits,_ZN7rocprim17ROCPRIM_400000_NS6detail17trampoline_kernelINS0_14default_configENS1_35adjacent_difference_config_selectorILb1EyEEZNS1_24adjacent_difference_implIS3_Lb1ELb0EPyN6thrust23THRUST_200600_302600_NS16discard_iteratorINS9_11use_defaultEEENS9_5minusIyEEEE10hipError_tPvRmT2_T3_mT4_P12ihipStream_tbEUlT_E_NS1_11comp_targetILNS1_3genE9ELNS1_11target_archE1100ELNS1_3gpuE3ELNS1_3repE0EEENS1_30default_config_static_selectorELNS0_4arch9wavefront6targetE0EEEvT1_,comdat
	.protected	_ZN7rocprim17ROCPRIM_400000_NS6detail17trampoline_kernelINS0_14default_configENS1_35adjacent_difference_config_selectorILb1EyEEZNS1_24adjacent_difference_implIS3_Lb1ELb0EPyN6thrust23THRUST_200600_302600_NS16discard_iteratorINS9_11use_defaultEEENS9_5minusIyEEEE10hipError_tPvRmT2_T3_mT4_P12ihipStream_tbEUlT_E_NS1_11comp_targetILNS1_3genE9ELNS1_11target_archE1100ELNS1_3gpuE3ELNS1_3repE0EEENS1_30default_config_static_selectorELNS0_4arch9wavefront6targetE0EEEvT1_ ; -- Begin function _ZN7rocprim17ROCPRIM_400000_NS6detail17trampoline_kernelINS0_14default_configENS1_35adjacent_difference_config_selectorILb1EyEEZNS1_24adjacent_difference_implIS3_Lb1ELb0EPyN6thrust23THRUST_200600_302600_NS16discard_iteratorINS9_11use_defaultEEENS9_5minusIyEEEE10hipError_tPvRmT2_T3_mT4_P12ihipStream_tbEUlT_E_NS1_11comp_targetILNS1_3genE9ELNS1_11target_archE1100ELNS1_3gpuE3ELNS1_3repE0EEENS1_30default_config_static_selectorELNS0_4arch9wavefront6targetE0EEEvT1_
	.globl	_ZN7rocprim17ROCPRIM_400000_NS6detail17trampoline_kernelINS0_14default_configENS1_35adjacent_difference_config_selectorILb1EyEEZNS1_24adjacent_difference_implIS3_Lb1ELb0EPyN6thrust23THRUST_200600_302600_NS16discard_iteratorINS9_11use_defaultEEENS9_5minusIyEEEE10hipError_tPvRmT2_T3_mT4_P12ihipStream_tbEUlT_E_NS1_11comp_targetILNS1_3genE9ELNS1_11target_archE1100ELNS1_3gpuE3ELNS1_3repE0EEENS1_30default_config_static_selectorELNS0_4arch9wavefront6targetE0EEEvT1_
	.p2align	8
	.type	_ZN7rocprim17ROCPRIM_400000_NS6detail17trampoline_kernelINS0_14default_configENS1_35adjacent_difference_config_selectorILb1EyEEZNS1_24adjacent_difference_implIS3_Lb1ELb0EPyN6thrust23THRUST_200600_302600_NS16discard_iteratorINS9_11use_defaultEEENS9_5minusIyEEEE10hipError_tPvRmT2_T3_mT4_P12ihipStream_tbEUlT_E_NS1_11comp_targetILNS1_3genE9ELNS1_11target_archE1100ELNS1_3gpuE3ELNS1_3repE0EEENS1_30default_config_static_selectorELNS0_4arch9wavefront6targetE0EEEvT1_,@function
_ZN7rocprim17ROCPRIM_400000_NS6detail17trampoline_kernelINS0_14default_configENS1_35adjacent_difference_config_selectorILb1EyEEZNS1_24adjacent_difference_implIS3_Lb1ELb0EPyN6thrust23THRUST_200600_302600_NS16discard_iteratorINS9_11use_defaultEEENS9_5minusIyEEEE10hipError_tPvRmT2_T3_mT4_P12ihipStream_tbEUlT_E_NS1_11comp_targetILNS1_3genE9ELNS1_11target_archE1100ELNS1_3gpuE3ELNS1_3repE0EEENS1_30default_config_static_selectorELNS0_4arch9wavefront6targetE0EEEvT1_: ; @_ZN7rocprim17ROCPRIM_400000_NS6detail17trampoline_kernelINS0_14default_configENS1_35adjacent_difference_config_selectorILb1EyEEZNS1_24adjacent_difference_implIS3_Lb1ELb0EPyN6thrust23THRUST_200600_302600_NS16discard_iteratorINS9_11use_defaultEEENS9_5minusIyEEEE10hipError_tPvRmT2_T3_mT4_P12ihipStream_tbEUlT_E_NS1_11comp_targetILNS1_3genE9ELNS1_11target_archE1100ELNS1_3gpuE3ELNS1_3repE0EEENS1_30default_config_static_selectorELNS0_4arch9wavefront6targetE0EEEvT1_
; %bb.0:
	s_clause 0x1
	s_load_b128 s[4:7], s[0:1], 0x0
	s_load_b64 s[8:9], s[0:1], 0x20
	s_mov_b32 s10, s15
	s_waitcnt lgkmcnt(0)
	s_lshl_b64 s[2:3], s[6:7], 3
	s_mov_b32 s6, 0x411a7a30
	s_add_u32 s16, s4, s2
	s_addc_u32 s17, s5, s3
	s_add_u32 s2, 0x76, s6
	s_addc_u32 s3, 0, 0
	v_add_co_u32 v1, s2, 0x20000000, s2
	s_delay_alu instid0(VALU_DEP_1) | instskip(SKIP_1) | instid1(VALU_DEP_1)
	s_cmp_lg_u32 s2, 0
	s_addc_u32 s3, s3, 0x11a7b9
	v_readfirstlane_b32 s2, v1
	s_mul_i32 s4, s3, 0xfffff180
	s_delay_alu instid0(VALU_DEP_1)
	s_mul_hi_u32 s5, s2, 0xfffff180
	s_mul_i32 s6, s2, 0xfffff180
	s_sub_i32 s5, s5, s2
	s_mul_hi_u32 s7, s2, s6
	s_add_i32 s5, s5, s4
	s_mul_hi_u32 s11, s3, s6
	s_mul_i32 s4, s3, s6
	s_mul_hi_u32 s6, s2, s5
	s_mul_i32 s2, s2, s5
	s_mul_hi_u32 s12, s3, s5
	s_add_u32 s2, s7, s2
	s_addc_u32 s6, 0, s6
	s_add_u32 s2, s2, s4
	s_mul_i32 s5, s3, s5
	s_addc_u32 s2, s6, s11
	s_addc_u32 s4, s12, 0
	s_add_u32 s2, s2, s5
	s_addc_u32 s4, 0, s4
	v_add_co_u32 v1, s2, v1, s2
	s_delay_alu instid0(VALU_DEP_1) | instskip(SKIP_1) | instid1(VALU_DEP_1)
	s_cmp_lg_u32 s2, 0
	s_addc_u32 s2, s3, s4
	v_readfirstlane_b32 s3, v1
	s_mul_i32 s5, s8, s2
	s_mul_hi_u32 s4, s8, s2
	s_mul_hi_u32 s6, s9, s2
	s_mul_i32 s2, s9, s2
	s_mul_hi_u32 s7, s8, s3
	s_mul_hi_u32 s11, s9, s3
	s_mul_i32 s3, s9, s3
	s_add_u32 s5, s7, s5
	s_addc_u32 s4, 0, s4
	s_add_u32 s3, s5, s3
	s_addc_u32 s3, s4, s11
	s_addc_u32 s4, s6, 0
	s_add_u32 s2, s3, s2
	s_addc_u32 s3, 0, s4
	s_mul_i32 s5, s2, 0xe80
	s_add_u32 s4, s2, 1
	v_sub_co_u32 v1, s5, s8, s5
	s_mul_hi_u32 s6, s2, 0xe80
	s_addc_u32 s7, s3, 0
	s_mul_i32 s11, s3, 0xe80
	s_delay_alu instid0(VALU_DEP_1)
	v_subrev_co_u32 v2, s12, 0xe80, v1
	s_add_u32 s13, s2, 2
	s_addc_u32 s14, s3, 0
	s_add_i32 s6, s6, s11
	s_cmp_lg_u32 s5, 0
	v_readfirstlane_b32 s5, v2
	s_subb_u32 s6, s9, s6
	s_cmp_lg_u32 s12, 0
	s_subb_u32 s11, s6, 0
	s_delay_alu instid0(VALU_DEP_1) | instskip(SKIP_4) | instid1(SALU_CYCLE_1)
	s_cmpk_gt_u32 s5, 0xe7f
	s_cselect_b32 s5, -1, 0
	s_cmp_eq_u32 s11, 0
	v_readfirstlane_b32 s11, v1
	s_cselect_b32 s5, s5, -1
	s_cmp_lg_u32 s5, 0
	s_cselect_b32 s12, s13, s4
	s_cselect_b32 s13, s14, s7
	s_cmpk_gt_u32 s11, 0xe7f
	s_cselect_b32 s4, -1, 0
	s_cmp_eq_u32 s6, 0
	s_cselect_b32 s4, s4, -1
	s_delay_alu instid0(SALU_CYCLE_1)
	s_cmp_lg_u32 s4, 0
	s_load_b128 s[4:7], s[0:1], 0x30
	s_cselect_b32 s3, s13, s3
	s_cselect_b32 s2, s12, s2
	s_mul_i32 s0, s3, 0xe80
	s_mul_hi_u32 s1, s2, 0xe80
	s_mul_i32 s11, s2, 0xe80
	s_add_i32 s1, s1, s0
	s_sub_u32 s0, s8, s11
	s_subb_u32 s1, s9, s1
	s_mul_i32 s12, s15, 0xe80
	s_cmp_lg_u64 s[0:1], 0
	s_mov_b32 s11, 0
	s_cselect_b32 s0, -1, 0
	s_mov_b32 s1, -1
	v_cndmask_b32_e64 v1, 0, 1, s0
	s_delay_alu instid0(VALU_DEP_1) | instskip(NEXT) | instid1(VALU_DEP_1)
	v_add_co_u32 v59, s0, s2, v1
	v_add_co_ci_u32_e64 v60, null, s3, 0, s0
	s_waitcnt lgkmcnt(0)
	s_add_u32 s2, s6, s15
	s_delay_alu instid0(VALU_DEP_2) | instskip(NEXT) | instid1(VALU_DEP_2)
	v_add_co_u32 v61, vcc_lo, v59, -1
	v_add_co_ci_u32_e32 v62, vcc_lo, -1, v60, vcc_lo
	s_addc_u32 s3, s7, 0
	s_delay_alu instid0(VALU_DEP_1) | instid1(SALU_CYCLE_1)
	v_cmp_ge_u64_e64 s0, s[2:3], v[61:62]
	s_delay_alu instid0(VALU_DEP_1)
	s_and_b32 vcc_lo, exec_lo, s0
	s_cbranch_vccz .LBB822_60
; %bb.1:
	v_mul_lo_u32 v1, 0xfffff180, v61
	s_mov_b32 s13, s11
	s_mov_b32 s1, exec_lo
	s_lshl_b64 s[14:15], s[12:13], 3
	s_delay_alu instid0(SALU_CYCLE_1) | instskip(SKIP_1) | instid1(VALU_DEP_1)
	s_add_u32 s14, s16, s14
	s_addc_u32 s15, s17, s15
	v_add_nc_u32_e32 v57, s8, v1
                                        ; implicit-def: $vgpr1_vgpr2
	s_delay_alu instid0(VALU_DEP_1)
	v_cmpx_lt_u32_e64 v0, v57
	s_cbranch_execz .LBB822_3
; %bb.2:
	v_lshlrev_b32_e32 v1, 3, v0
	global_load_b64 v[1:2], v1, s[14:15]
.LBB822_3:
	s_or_b32 exec_lo, exec_lo, s1
	v_or_b32_e32 v3, 0x80, v0
	s_delay_alu instid0(VALU_DEP_1)
	v_cmp_lt_u32_e32 vcc_lo, v3, v57
                                        ; implicit-def: $vgpr3_vgpr4
	s_and_saveexec_b32 s1, vcc_lo
	s_cbranch_execz .LBB822_5
; %bb.4:
	v_lshlrev_b32_e32 v3, 3, v0
	global_load_b64 v[3:4], v3, s[14:15] offset:1024
.LBB822_5:
	s_or_b32 exec_lo, exec_lo, s1
	v_or_b32_e32 v5, 0x100, v0
	s_delay_alu instid0(VALU_DEP_1)
	v_cmp_lt_u32_e32 vcc_lo, v5, v57
                                        ; implicit-def: $vgpr5_vgpr6
	s_and_saveexec_b32 s1, vcc_lo
	s_cbranch_execz .LBB822_7
; %bb.6:
	v_lshlrev_b32_e32 v5, 3, v0
	global_load_b64 v[5:6], v5, s[14:15] offset:2048
.LBB822_7:
	s_or_b32 exec_lo, exec_lo, s1
	v_or_b32_e32 v7, 0x180, v0
	s_delay_alu instid0(VALU_DEP_1)
	v_cmp_lt_u32_e32 vcc_lo, v7, v57
                                        ; implicit-def: $vgpr7_vgpr8
	s_and_saveexec_b32 s1, vcc_lo
	s_cbranch_execz .LBB822_9
; %bb.8:
	v_lshlrev_b32_e32 v7, 3, v0
	global_load_b64 v[7:8], v7, s[14:15] offset:3072
.LBB822_9:
	s_or_b32 exec_lo, exec_lo, s1
	v_or_b32_e32 v11, 0x200, v0
	s_mov_b32 s1, exec_lo
                                        ; implicit-def: $vgpr9_vgpr10
	s_delay_alu instid0(VALU_DEP_1)
	v_cmpx_lt_u32_e64 v11, v57
	s_cbranch_execz .LBB822_11
; %bb.10:
	v_lshlrev_b32_e32 v9, 3, v11
	global_load_b64 v[9:10], v9, s[14:15]
.LBB822_11:
	s_or_b32 exec_lo, exec_lo, s1
	v_or_b32_e32 v13, 0x280, v0
	s_mov_b32 s1, exec_lo
                                        ; implicit-def: $vgpr11_vgpr12
	s_delay_alu instid0(VALU_DEP_1)
	v_cmpx_lt_u32_e64 v13, v57
	s_cbranch_execz .LBB822_13
; %bb.12:
	v_lshlrev_b32_e32 v11, 3, v13
	global_load_b64 v[11:12], v11, s[14:15]
.LBB822_13:
	s_or_b32 exec_lo, exec_lo, s1
	v_or_b32_e32 v15, 0x300, v0
	s_mov_b32 s1, exec_lo
                                        ; implicit-def: $vgpr13_vgpr14
	s_delay_alu instid0(VALU_DEP_1)
	v_cmpx_lt_u32_e64 v15, v57
	s_cbranch_execz .LBB822_15
; %bb.14:
	v_lshlrev_b32_e32 v13, 3, v15
	global_load_b64 v[13:14], v13, s[14:15]
.LBB822_15:
	s_or_b32 exec_lo, exec_lo, s1
	v_or_b32_e32 v17, 0x380, v0
	s_mov_b32 s1, exec_lo
                                        ; implicit-def: $vgpr15_vgpr16
	s_delay_alu instid0(VALU_DEP_1)
	v_cmpx_lt_u32_e64 v17, v57
	s_cbranch_execz .LBB822_17
; %bb.16:
	v_lshlrev_b32_e32 v15, 3, v17
	global_load_b64 v[15:16], v15, s[14:15]
.LBB822_17:
	s_or_b32 exec_lo, exec_lo, s1
	v_or_b32_e32 v19, 0x400, v0
	s_mov_b32 s1, exec_lo
                                        ; implicit-def: $vgpr17_vgpr18
	s_delay_alu instid0(VALU_DEP_1)
	v_cmpx_lt_u32_e64 v19, v57
	s_cbranch_execz .LBB822_19
; %bb.18:
	v_lshlrev_b32_e32 v17, 3, v19
	global_load_b64 v[17:18], v17, s[14:15]
.LBB822_19:
	s_or_b32 exec_lo, exec_lo, s1
	v_or_b32_e32 v21, 0x480, v0
	s_mov_b32 s1, exec_lo
                                        ; implicit-def: $vgpr19_vgpr20
	s_delay_alu instid0(VALU_DEP_1)
	v_cmpx_lt_u32_e64 v21, v57
	s_cbranch_execz .LBB822_21
; %bb.20:
	v_lshlrev_b32_e32 v19, 3, v21
	global_load_b64 v[19:20], v19, s[14:15]
.LBB822_21:
	s_or_b32 exec_lo, exec_lo, s1
	v_or_b32_e32 v23, 0x500, v0
	s_mov_b32 s1, exec_lo
                                        ; implicit-def: $vgpr21_vgpr22
	s_delay_alu instid0(VALU_DEP_1)
	v_cmpx_lt_u32_e64 v23, v57
	s_cbranch_execz .LBB822_23
; %bb.22:
	v_lshlrev_b32_e32 v21, 3, v23
	global_load_b64 v[21:22], v21, s[14:15]
.LBB822_23:
	s_or_b32 exec_lo, exec_lo, s1
	v_or_b32_e32 v25, 0x580, v0
	s_mov_b32 s1, exec_lo
                                        ; implicit-def: $vgpr23_vgpr24
	s_delay_alu instid0(VALU_DEP_1)
	v_cmpx_lt_u32_e64 v25, v57
	s_cbranch_execz .LBB822_25
; %bb.24:
	v_lshlrev_b32_e32 v23, 3, v25
	global_load_b64 v[23:24], v23, s[14:15]
.LBB822_25:
	s_or_b32 exec_lo, exec_lo, s1
	v_or_b32_e32 v27, 0x600, v0
	s_mov_b32 s1, exec_lo
                                        ; implicit-def: $vgpr25_vgpr26
	s_delay_alu instid0(VALU_DEP_1)
	v_cmpx_lt_u32_e64 v27, v57
	s_cbranch_execz .LBB822_27
; %bb.26:
	v_lshlrev_b32_e32 v25, 3, v27
	global_load_b64 v[25:26], v25, s[14:15]
.LBB822_27:
	s_or_b32 exec_lo, exec_lo, s1
	v_or_b32_e32 v29, 0x680, v0
	s_mov_b32 s1, exec_lo
                                        ; implicit-def: $vgpr27_vgpr28
	s_delay_alu instid0(VALU_DEP_1)
	v_cmpx_lt_u32_e64 v29, v57
	s_cbranch_execz .LBB822_29
; %bb.28:
	v_lshlrev_b32_e32 v27, 3, v29
	global_load_b64 v[27:28], v27, s[14:15]
.LBB822_29:
	s_or_b32 exec_lo, exec_lo, s1
	v_or_b32_e32 v31, 0x700, v0
	s_mov_b32 s1, exec_lo
                                        ; implicit-def: $vgpr29_vgpr30
	s_delay_alu instid0(VALU_DEP_1)
	v_cmpx_lt_u32_e64 v31, v57
	s_cbranch_execz .LBB822_31
; %bb.30:
	v_lshlrev_b32_e32 v29, 3, v31
	global_load_b64 v[29:30], v29, s[14:15]
.LBB822_31:
	s_or_b32 exec_lo, exec_lo, s1
	v_or_b32_e32 v33, 0x780, v0
	s_mov_b32 s1, exec_lo
                                        ; implicit-def: $vgpr31_vgpr32
	s_delay_alu instid0(VALU_DEP_1)
	v_cmpx_lt_u32_e64 v33, v57
	s_cbranch_execz .LBB822_33
; %bb.32:
	v_lshlrev_b32_e32 v31, 3, v33
	global_load_b64 v[31:32], v31, s[14:15]
.LBB822_33:
	s_or_b32 exec_lo, exec_lo, s1
	v_or_b32_e32 v35, 0x800, v0
	s_mov_b32 s1, exec_lo
                                        ; implicit-def: $vgpr33_vgpr34
	s_delay_alu instid0(VALU_DEP_1)
	v_cmpx_lt_u32_e64 v35, v57
	s_cbranch_execz .LBB822_35
; %bb.34:
	v_lshlrev_b32_e32 v33, 3, v35
	global_load_b64 v[33:34], v33, s[14:15]
.LBB822_35:
	s_or_b32 exec_lo, exec_lo, s1
	v_or_b32_e32 v37, 0x880, v0
	s_mov_b32 s1, exec_lo
                                        ; implicit-def: $vgpr35_vgpr36
	s_delay_alu instid0(VALU_DEP_1)
	v_cmpx_lt_u32_e64 v37, v57
	s_cbranch_execz .LBB822_37
; %bb.36:
	v_lshlrev_b32_e32 v35, 3, v37
	global_load_b64 v[35:36], v35, s[14:15]
.LBB822_37:
	s_or_b32 exec_lo, exec_lo, s1
	v_or_b32_e32 v39, 0x900, v0
	s_mov_b32 s1, exec_lo
                                        ; implicit-def: $vgpr37_vgpr38
	s_delay_alu instid0(VALU_DEP_1)
	v_cmpx_lt_u32_e64 v39, v57
	s_cbranch_execz .LBB822_39
; %bb.38:
	v_lshlrev_b32_e32 v37, 3, v39
	global_load_b64 v[37:38], v37, s[14:15]
.LBB822_39:
	s_or_b32 exec_lo, exec_lo, s1
	v_or_b32_e32 v41, 0x980, v0
	s_mov_b32 s1, exec_lo
                                        ; implicit-def: $vgpr39_vgpr40
	s_delay_alu instid0(VALU_DEP_1)
	v_cmpx_lt_u32_e64 v41, v57
	s_cbranch_execz .LBB822_41
; %bb.40:
	v_lshlrev_b32_e32 v39, 3, v41
	global_load_b64 v[39:40], v39, s[14:15]
.LBB822_41:
	s_or_b32 exec_lo, exec_lo, s1
	v_or_b32_e32 v43, 0xa00, v0
	s_mov_b32 s1, exec_lo
                                        ; implicit-def: $vgpr41_vgpr42
	s_delay_alu instid0(VALU_DEP_1)
	v_cmpx_lt_u32_e64 v43, v57
	s_cbranch_execz .LBB822_43
; %bb.42:
	v_lshlrev_b32_e32 v41, 3, v43
	global_load_b64 v[41:42], v41, s[14:15]
.LBB822_43:
	s_or_b32 exec_lo, exec_lo, s1
	v_or_b32_e32 v45, 0xa80, v0
	s_mov_b32 s1, exec_lo
                                        ; implicit-def: $vgpr43_vgpr44
	s_delay_alu instid0(VALU_DEP_1)
	v_cmpx_lt_u32_e64 v45, v57
	s_cbranch_execz .LBB822_45
; %bb.44:
	v_lshlrev_b32_e32 v43, 3, v45
	global_load_b64 v[43:44], v43, s[14:15]
.LBB822_45:
	s_or_b32 exec_lo, exec_lo, s1
	v_or_b32_e32 v47, 0xb00, v0
	s_mov_b32 s1, exec_lo
                                        ; implicit-def: $vgpr45_vgpr46
	s_delay_alu instid0(VALU_DEP_1)
	v_cmpx_lt_u32_e64 v47, v57
	s_cbranch_execz .LBB822_47
; %bb.46:
	v_lshlrev_b32_e32 v45, 3, v47
	global_load_b64 v[45:46], v45, s[14:15]
.LBB822_47:
	s_or_b32 exec_lo, exec_lo, s1
	v_or_b32_e32 v49, 0xb80, v0
	s_mov_b32 s1, exec_lo
                                        ; implicit-def: $vgpr47_vgpr48
	s_delay_alu instid0(VALU_DEP_1)
	v_cmpx_lt_u32_e64 v49, v57
	s_cbranch_execz .LBB822_49
; %bb.48:
	v_lshlrev_b32_e32 v47, 3, v49
	global_load_b64 v[47:48], v47, s[14:15]
.LBB822_49:
	s_or_b32 exec_lo, exec_lo, s1
	v_or_b32_e32 v51, 0xc00, v0
	s_mov_b32 s1, exec_lo
                                        ; implicit-def: $vgpr49_vgpr50
	s_delay_alu instid0(VALU_DEP_1)
	v_cmpx_lt_u32_e64 v51, v57
	s_cbranch_execz .LBB822_51
; %bb.50:
	v_lshlrev_b32_e32 v49, 3, v51
	global_load_b64 v[49:50], v49, s[14:15]
.LBB822_51:
	s_or_b32 exec_lo, exec_lo, s1
	v_or_b32_e32 v53, 0xc80, v0
	s_mov_b32 s1, exec_lo
                                        ; implicit-def: $vgpr51_vgpr52
	s_delay_alu instid0(VALU_DEP_1)
	v_cmpx_lt_u32_e64 v53, v57
	s_cbranch_execz .LBB822_53
; %bb.52:
	v_lshlrev_b32_e32 v51, 3, v53
	global_load_b64 v[51:52], v51, s[14:15]
.LBB822_53:
	s_or_b32 exec_lo, exec_lo, s1
	v_or_b32_e32 v55, 0xd00, v0
	s_mov_b32 s1, exec_lo
                                        ; implicit-def: $vgpr53_vgpr54
	s_delay_alu instid0(VALU_DEP_1)
	v_cmpx_lt_u32_e64 v55, v57
	s_cbranch_execz .LBB822_55
; %bb.54:
	v_lshlrev_b32_e32 v53, 3, v55
	global_load_b64 v[53:54], v53, s[14:15]
.LBB822_55:
	s_or_b32 exec_lo, exec_lo, s1
	v_or_b32_e32 v58, 0xd80, v0
	s_mov_b32 s1, exec_lo
                                        ; implicit-def: $vgpr55_vgpr56
	s_delay_alu instid0(VALU_DEP_1)
	v_cmpx_lt_u32_e64 v58, v57
	s_cbranch_execz .LBB822_57
; %bb.56:
	v_lshlrev_b32_e32 v55, 3, v58
	global_load_b64 v[55:56], v55, s[14:15]
.LBB822_57:
	s_or_b32 exec_lo, exec_lo, s1
	v_or_b32_e32 v63, 0xe00, v0
	s_delay_alu instid0(VALU_DEP_1)
	v_cmp_lt_u32_e32 vcc_lo, v63, v57
                                        ; implicit-def: $vgpr57_vgpr58
	s_and_saveexec_b32 s1, vcc_lo
	s_cbranch_execz .LBB822_59
; %bb.58:
	v_lshlrev_b32_e32 v57, 3, v63
	global_load_b64 v[57:58], v57, s[14:15]
.LBB822_59:
	s_or_b32 exec_lo, exec_lo, s1
	v_lshlrev_b32_e32 v63, 3, v0
	s_mov_b32 s1, 0
	s_waitcnt vmcnt(0)
	ds_store_2addr_stride64_b64 v63, v[1:2], v[3:4] offset1:2
	ds_store_2addr_stride64_b64 v63, v[5:6], v[7:8] offset0:4 offset1:6
	ds_store_2addr_stride64_b64 v63, v[9:10], v[11:12] offset0:8 offset1:10
	;; [unrolled: 1-line block ×13, first 2 shown]
	ds_store_b64 v63, v[57:58] offset:28672
	s_waitcnt lgkmcnt(0)
	s_barrier
.LBB822_60:
	v_lshlrev_b32_e32 v119, 3, v0
	s_and_b32 vcc_lo, exec_lo, s1
	s_cbranch_vccz .LBB822_62
; %bb.61:
	s_mov_b32 s13, 0
	s_delay_alu instid0(SALU_CYCLE_1) | instskip(NEXT) | instid1(SALU_CYCLE_1)
	s_lshl_b64 s[12:13], s[12:13], 3
	s_add_u32 s12, s16, s12
	s_addc_u32 s13, s17, s13
	v_add_co_u32 v49, s1, s12, v119
	s_delay_alu instid0(VALU_DEP_1)
	v_add_co_ci_u32_e64 v50, null, s13, 0, s1
	s_clause 0x3
	global_load_b64 v[1:2], v119, s[12:13]
	global_load_b64 v[3:4], v119, s[12:13] offset:1024
	global_load_b64 v[5:6], v119, s[12:13] offset:2048
	global_load_b64 v[7:8], v119, s[12:13] offset:3072
	v_add_co_u32 v9, vcc_lo, 0x1000, v49
	v_add_co_ci_u32_e32 v10, vcc_lo, 0, v50, vcc_lo
	v_add_co_u32 v11, vcc_lo, v49, 0x2000
	v_add_co_ci_u32_e32 v12, vcc_lo, 0, v50, vcc_lo
	;; [unrolled: 2-line block ×10, first 2 shown]
	s_clause 0x18
	global_load_b64 v[15:16], v[11:12], off offset:-4096
	global_load_b64 v[17:18], v[9:10], off offset:1024
	global_load_b64 v[19:20], v[9:10], off offset:2048
	;; [unrolled: 1-line block ×12, first 2 shown]
	global_load_b64 v[11:12], v[11:12], off
	global_load_b64 v[43:44], v[25:26], off offset:-4096
	global_load_b64 v[25:26], v[25:26], off
	global_load_b64 v[45:46], v[39:40], off offset:-4096
	global_load_b64 v[39:40], v[39:40], off
	global_load_b64 v[51:52], v[41:42], off offset:1024
	global_load_b64 v[53:54], v[41:42], off offset:2048
	;; [unrolled: 1-line block ×6, first 2 shown]
	global_load_b64 v[49:50], v[49:50], off
	s_waitcnt vmcnt(27)
	ds_store_2addr_stride64_b64 v119, v[1:2], v[3:4] offset1:2
	s_waitcnt vmcnt(25)
	ds_store_2addr_stride64_b64 v119, v[5:6], v[7:8] offset0:4 offset1:6
	s_waitcnt vmcnt(23)
	ds_store_2addr_stride64_b64 v119, v[15:16], v[17:18] offset0:8 offset1:10
	;; [unrolled: 2-line block ×4, first 2 shown]
	ds_store_2addr_stride64_b64 v119, v[29:30], v[13:14] offset0:20 offset1:22
	s_waitcnt vmcnt(10)
	ds_store_2addr_stride64_b64 v119, v[43:44], v[31:32] offset0:24 offset1:26
	ds_store_2addr_stride64_b64 v119, v[33:34], v[23:24] offset0:28 offset1:30
	s_waitcnt vmcnt(9)
	ds_store_2addr_stride64_b64 v119, v[25:26], v[35:36] offset0:32 offset1:34
	;; [unrolled: 3-line block ×3, first 2 shown]
	s_waitcnt vmcnt(4)
	ds_store_2addr_stride64_b64 v119, v[53:54], v[41:42] offset0:44 offset1:46
	s_waitcnt vmcnt(3)
	ds_store_2addr_stride64_b64 v119, v[39:40], v[55:56] offset0:48 offset1:50
	;; [unrolled: 2-line block ×3, first 2 shown]
	s_waitcnt vmcnt(0)
	ds_store_b64 v119, v[49:50] offset:28672
	s_waitcnt lgkmcnt(0)
	s_barrier
.LBB822_62:
	v_mul_u32_u24_e32 v1, 29, v0
	buffer_gl0_inv
	s_cmp_eq_u64 s[2:3], 0
	v_lshlrev_b32_e32 v53, 3, v1
	ds_load_b64 v[57:58], v53 offset:224
	ds_load_2addr_b64 v[1:4], v53 offset0:26 offset1:27
	ds_load_2addr_b64 v[5:8], v53 offset0:24 offset1:25
	ds_load_2addr_b64 v[9:12], v53 offset1:1
	ds_load_2addr_b64 v[13:16], v53 offset0:2 offset1:3
	ds_load_2addr_b64 v[17:20], v53 offset0:4 offset1:5
	ds_load_2addr_b64 v[21:24], v53 offset0:6 offset1:7
	ds_load_2addr_b64 v[25:28], v53 offset0:8 offset1:9
	ds_load_2addr_b64 v[29:32], v53 offset0:10 offset1:11
	ds_load_2addr_b64 v[33:36], v53 offset0:12 offset1:13
	ds_load_2addr_b64 v[37:40], v53 offset0:14 offset1:15
	ds_load_2addr_b64 v[41:44], v53 offset0:16 offset1:17
	ds_load_2addr_b64 v[45:48], v53 offset0:18 offset1:19
	ds_load_2addr_b64 v[49:52], v53 offset0:20 offset1:21
	ds_load_2addr_b64 v[53:56], v53 offset0:22 offset1:23
	s_waitcnt lgkmcnt(0)
	s_barrier
	buffer_gl0_inv
	s_cbranch_scc1 .LBB822_67
; %bb.63:
	s_lshl_b64 s[6:7], s[6:7], 3
	v_cmp_eq_u64_e32 vcc_lo, s[2:3], v[61:62]
	s_add_u32 s1, s4, s6
	s_addc_u32 s6, s5, s7
	s_lshl_b64 s[4:5], s[10:11], 3
	s_delay_alu instid0(SALU_CYCLE_1)
	s_add_u32 s1, s1, s4
	s_addc_u32 s5, s6, s5
	s_add_u32 s4, s1, -8
	s_addc_u32 s5, s5, -1
	s_load_b64 s[4:5], s[4:5], 0x0
	s_cbranch_vccnz .LBB822_68
; %bb.64:
	s_waitcnt lgkmcnt(0)
	v_dual_mov_b32 v62, s5 :: v_dual_mov_b32 v61, s4
	s_mov_b32 s1, 0
	s_mov_b32 s3, exec_lo
	ds_store_b64 v119, v[57:58]
	s_waitcnt lgkmcnt(0)
	s_barrier
	buffer_gl0_inv
	v_cmpx_ne_u32_e32 0, v0
	s_cbranch_execz .LBB822_66
; %bb.65:
	v_add_nc_u32_e32 v61, -8, v119
	ds_load_b64 v[61:62], v61
.LBB822_66:
	s_or_b32 exec_lo, exec_lo, s3
	s_waitcnt lgkmcnt(0)
	v_sub_co_u32 v89, vcc_lo, v9, v61
	v_sub_co_ci_u32_e32 v90, vcc_lo, v10, v62, vcc_lo
	s_branch .LBB822_69
.LBB822_67:
                                        ; implicit-def: $vgpr89_vgpr90
                                        ; implicit-def: $vgpr117_vgpr118
                                        ; implicit-def: $vgpr115_vgpr116
                                        ; implicit-def: $vgpr113_vgpr114
                                        ; implicit-def: $vgpr111_vgpr112
                                        ; implicit-def: $vgpr109_vgpr110
                                        ; implicit-def: $vgpr107_vgpr108
                                        ; implicit-def: $vgpr105_vgpr106
                                        ; implicit-def: $vgpr103_vgpr104
                                        ; implicit-def: $vgpr101_vgpr102
                                        ; implicit-def: $vgpr99_vgpr100
                                        ; implicit-def: $vgpr97_vgpr98
                                        ; implicit-def: $vgpr95_vgpr96
                                        ; implicit-def: $vgpr93_vgpr94
                                        ; implicit-def: $vgpr91_vgpr92
                                        ; implicit-def: $vgpr87_vgpr88
                                        ; implicit-def: $vgpr85_vgpr86
                                        ; implicit-def: $vgpr83_vgpr84
                                        ; implicit-def: $vgpr81_vgpr82
                                        ; implicit-def: $vgpr79_vgpr80
                                        ; implicit-def: $vgpr77_vgpr78
                                        ; implicit-def: $vgpr75_vgpr76
                                        ; implicit-def: $vgpr73_vgpr74
                                        ; implicit-def: $vgpr71_vgpr72
                                        ; implicit-def: $vgpr69_vgpr70
                                        ; implicit-def: $vgpr67_vgpr68
                                        ; implicit-def: $vgpr65_vgpr66
                                        ; implicit-def: $vgpr63_vgpr64
                                        ; implicit-def: $vgpr61_vgpr62
	s_branch .LBB822_74
.LBB822_68:
	s_mov_b32 s1, -1
                                        ; implicit-def: $vgpr89_vgpr90
.LBB822_69:
	v_dual_mov_b32 v118, v10 :: v_dual_mov_b32 v117, v9
	v_dual_mov_b32 v116, v12 :: v_dual_mov_b32 v115, v11
	;; [unrolled: 1-line block ×28, first 2 shown]
	s_and_b32 vcc_lo, exec_lo, s1
	s_cbranch_vccz .LBB822_73
; %bb.70:
	v_mul_u32_u24_e32 v115, 29, v0
	s_waitcnt lgkmcnt(0)
	v_dual_mov_b32 v90, s5 :: v_dual_mov_b32 v89, s4
	s_mov_b32 s1, exec_lo
	ds_store_b64 v119, v[57:58]
	s_waitcnt lgkmcnt(0)
	s_barrier
	buffer_gl0_inv
	v_cmpx_ne_u32_e32 0, v0
	s_cbranch_execz .LBB822_72
; %bb.71:
	v_add_nc_u32_e32 v61, -8, v119
	ds_load_b64 v[89:90], v61
.LBB822_72:
	s_or_b32 exec_lo, exec_lo, s1
	v_add_nc_u32_e32 v61, 28, v115
	s_mulk_i32 s2, 0xf180
	v_add_nc_u32_e32 v62, 27, v115
	s_add_i32 s2, s2, s8
	v_add_nc_u32_e32 v63, 26, v115
	v_cmp_gt_u32_e32 vcc_lo, s2, v61
	v_add_nc_u32_e32 v65, 25, v115
	v_cmp_gt_u32_e64 s1, s2, v62
	v_add_nc_u32_e32 v67, 24, v115
	v_dual_cndmask_b32 v62, 0, v4 :: v_dual_add_nc_u32 v69, 23, v115
	v_cndmask_b32_e32 v61, 0, v3, vcc_lo
	v_cmp_gt_u32_e32 vcc_lo, s2, v63
	v_cndmask_b32_e64 v64, 0, v2, s1
	v_cndmask_b32_e64 v63, 0, v1, s1
	v_cmp_gt_u32_e64 s1, s2, v65
	v_dual_cndmask_b32 v66, 0, v8 :: v_dual_add_nc_u32 v71, 22, v115
	v_cndmask_b32_e32 v65, 0, v7, vcc_lo
	v_cmp_gt_u32_e32 vcc_lo, s2, v67
	s_delay_alu instid0(VALU_DEP_4)
	v_cndmask_b32_e64 v68, 0, v6, s1
	v_cndmask_b32_e64 v67, 0, v5, s1
	v_cmp_gt_u32_e64 s1, s2, v69
	v_dual_cndmask_b32 v70, 0, v56 :: v_dual_add_nc_u32 v73, 21, v115
	v_cndmask_b32_e32 v69, 0, v55, vcc_lo
	v_cmp_gt_u32_e32 vcc_lo, s2, v71
	v_add_nc_u32_e32 v75, 20, v115
	v_cndmask_b32_e64 v72, 0, v54, s1
	v_cndmask_b32_e64 v71, 0, v53, s1
	v_cmp_gt_u32_e64 s1, s2, v73
	v_dual_cndmask_b32 v74, 0, v52 :: v_dual_cndmask_b32 v73, 0, v51
	v_add_nc_u32_e32 v77, 19, v115
	v_cmp_gt_u32_e32 vcc_lo, s2, v75
	v_add_nc_u32_e32 v79, 18, v115
	v_cndmask_b32_e64 v76, 0, v50, s1
	v_cndmask_b32_e64 v75, 0, v49, s1
	v_cmp_gt_u32_e64 s1, s2, v77
	v_dual_cndmask_b32 v78, 0, v48 :: v_dual_cndmask_b32 v77, 0, v47
	v_add_nc_u32_e32 v81, 17, v115
	v_cmp_gt_u32_e32 vcc_lo, s2, v79
	v_add_nc_u32_e32 v83, 16, v115
	v_cndmask_b32_e64 v80, 0, v46, s1
	v_cndmask_b32_e64 v79, 0, v45, s1
	v_cmp_gt_u32_e64 s1, s2, v81
	v_dual_cndmask_b32 v82, 0, v44 :: v_dual_cndmask_b32 v81, 0, v43
	v_add_nc_u32_e32 v85, 15, v115
	v_cmp_gt_u32_e32 vcc_lo, s2, v83
	v_add_nc_u32_e32 v87, 14, v115
	v_cndmask_b32_e64 v84, 0, v42, s1
	v_cndmask_b32_e64 v83, 0, v41, s1
	v_cmp_gt_u32_e64 s1, s2, v85
	v_dual_cndmask_b32 v86, 0, v40 :: v_dual_cndmask_b32 v85, 0, v39
	v_add_nc_u32_e32 v91, 13, v115
	v_cmp_gt_u32_e32 vcc_lo, s2, v87
	v_add_nc_u32_e32 v93, 12, v115
	v_cndmask_b32_e64 v88, 0, v38, s1
	v_cndmask_b32_e64 v87, 0, v37, s1
	v_cmp_gt_u32_e64 s1, s2, v91
	v_dual_cndmask_b32 v92, 0, v36 :: v_dual_cndmask_b32 v91, 0, v35
	v_add_nc_u32_e32 v95, 11, v115
	v_cmp_gt_u32_e32 vcc_lo, s2, v93
	v_add_nc_u32_e32 v97, 10, v115
	v_cndmask_b32_e64 v94, 0, v34, s1
	v_cndmask_b32_e64 v93, 0, v33, s1
	v_cmp_gt_u32_e64 s1, s2, v95
	v_dual_cndmask_b32 v96, 0, v32 :: v_dual_cndmask_b32 v95, 0, v31
	v_add_nc_u32_e32 v99, 9, v115
	v_cmp_gt_u32_e32 vcc_lo, s2, v97
	v_add_nc_u32_e32 v101, 8, v115
	v_cndmask_b32_e64 v98, 0, v30, s1
	v_cndmask_b32_e64 v97, 0, v29, s1
	v_cmp_gt_u32_e64 s1, s2, v99
	v_dual_cndmask_b32 v100, 0, v28 :: v_dual_cndmask_b32 v99, 0, v27
	v_add_nc_u32_e32 v103, 7, v115
	v_cmp_gt_u32_e32 vcc_lo, s2, v101
	v_add_nc_u32_e32 v105, 6, v115
	v_cndmask_b32_e64 v102, 0, v26, s1
	v_cndmask_b32_e64 v101, 0, v25, s1
	v_cmp_gt_u32_e64 s1, s2, v103
	v_dual_cndmask_b32 v104, 0, v24 :: v_dual_cndmask_b32 v103, 0, v23
	v_add_nc_u32_e32 v107, 5, v115
	v_cmp_gt_u32_e32 vcc_lo, s2, v105
	v_add_nc_u32_e32 v109, 4, v115
	v_cndmask_b32_e64 v106, 0, v22, s1
	v_cndmask_b32_e64 v105, 0, v21, s1
	v_cmp_gt_u32_e64 s1, s2, v107
	v_dual_cndmask_b32 v108, 0, v20 :: v_dual_cndmask_b32 v107, 0, v19
	v_add_nc_u32_e32 v111, 3, v115
	v_cmp_gt_u32_e32 vcc_lo, s2, v109
	s_delay_alu instid0(VALU_DEP_4)
	v_cndmask_b32_e64 v110, 0, v18, s1
	v_cndmask_b32_e64 v109, 0, v17, s1
	v_add_nc_u32_e32 v116, 2, v115
	v_cmp_gt_u32_e64 s1, s2, v111
	v_dual_cndmask_b32 v112, 0, v16 :: v_dual_cndmask_b32 v111, 0, v15
	v_cmp_gt_u32_e32 vcc_lo, s2, v115
	v_add_nc_u32_e32 v117, 1, v115
	s_delay_alu instid0(VALU_DEP_4)
	v_cndmask_b32_e64 v114, 0, v14, s1
	v_cndmask_b32_e64 v113, 0, v13, s1
	v_cmp_gt_u32_e64 s1, s2, v116
	s_waitcnt lgkmcnt(0)
	v_dual_cndmask_b32 v90, 0, v90 :: v_dual_cndmask_b32 v89, 0, v89
	v_cmp_gt_u32_e64 s2, s2, v117
	s_delay_alu instid0(VALU_DEP_3) | instskip(SKIP_1) | instid1(VALU_DEP_4)
	v_cndmask_b32_e64 v116, 0, v12, s1
	v_cndmask_b32_e64 v115, 0, v11, s1
	v_sub_co_u32 v89, vcc_lo, v9, v89
	s_delay_alu instid0(VALU_DEP_4)
	v_cndmask_b32_e64 v118, 0, v10, s2
	v_cndmask_b32_e64 v117, 0, v9, s2
	v_sub_co_ci_u32_e32 v90, vcc_lo, v10, v90, vcc_lo
.LBB822_73:
	s_cbranch_execnz .LBB822_84
.LBB822_74:
	v_cmp_eq_u64_e32 vcc_lo, 1, v[59:60]
	v_cmp_ne_u32_e64 s1, 0, v0
	s_cbranch_vccnz .LBB822_78
; %bb.75:
	v_dual_mov_b32 v59, 0 :: v_dual_mov_b32 v90, v10
	v_mov_b32_e32 v89, v9
	s_mov_b32 s2, 0
	ds_store_b64 v119, v[57:58]
	s_waitcnt lgkmcnt(0)
	s_barrier
	buffer_gl0_inv
	s_and_saveexec_b32 s3, s1
	s_cbranch_execz .LBB822_77
; %bb.76:
	v_add_nc_u32_e32 v59, -8, v119
	ds_load_b64 v[59:60], v59
	s_waitcnt lgkmcnt(0)
	v_sub_co_u32 v89, vcc_lo, v9, v59
	v_sub_co_ci_u32_e32 v90, vcc_lo, v10, v60, vcc_lo
	v_mov_b32_e32 v59, v0
.LBB822_77:
	s_or_b32 exec_lo, exec_lo, s3
	s_branch .LBB822_79
.LBB822_78:
	s_mov_b32 s2, -1
                                        ; implicit-def: $vgpr89_vgpr90
                                        ; implicit-def: $vgpr59
.LBB822_79:
	v_dual_mov_b32 v116, v12 :: v_dual_mov_b32 v115, v11
	v_dual_mov_b32 v114, v14 :: v_dual_mov_b32 v113, v13
	;; [unrolled: 1-line block ×27, first 2 shown]
	s_and_not1_b32 vcc_lo, exec_lo, s2
	s_cbranch_vccnz .LBB822_83
; %bb.80:
	v_mad_u32_u24 v59, v0, 29, 28
	v_mad_u32_u24 v60, v0, 29, 27
	;; [unrolled: 1-line block ×3, first 2 shown]
	v_mul_u32_u24_e32 v89, 29, v0
	ds_store_b64 v119, v[57:58]
	v_cmp_gt_u32_e32 vcc_lo, s8, v59
	v_mad_u32_u24 v59, v0, 29, 25
	v_cmp_gt_u32_e64 s1, s8, v60
	v_mad_u32_u24 v60, v0, 29, 24
	v_cmp_gt_u32_e64 s2, s8, v89
	v_dual_cndmask_b32 v62, 0, v4 :: v_dual_cndmask_b32 v61, 0, v3
	v_cmp_gt_u32_e32 vcc_lo, s8, v63
	v_cndmask_b32_e64 v64, 0, v2, s1
	v_cndmask_b32_e64 v63, 0, v1, s1
	v_cmp_gt_u32_e64 s1, s8, v59
	v_mad_u32_u24 v59, v0, 29, 23
	v_dual_cndmask_b32 v66, 0, v8 :: v_dual_cndmask_b32 v65, 0, v7
	v_cmp_gt_u32_e32 vcc_lo, s8, v60
	v_mad_u32_u24 v60, v0, 29, 22
	v_cndmask_b32_e64 v68, 0, v6, s1
	v_cndmask_b32_e64 v67, 0, v5, s1
	v_cmp_gt_u32_e64 s1, s8, v59
	v_mad_u32_u24 v59, v0, 29, 21
	v_dual_cndmask_b32 v70, 0, v56 :: v_dual_cndmask_b32 v69, 0, v55
	v_cmp_gt_u32_e32 vcc_lo, s8, v60
	v_mad_u32_u24 v60, v0, 29, 20
	;; [unrolled: 7-line block ×11, first 2 shown]
	v_cndmask_b32_e64 v110, 0, v18, s1
	v_cndmask_b32_e64 v109, 0, v17, s1
	v_cmp_gt_u32_e64 s1, s8, v59
	v_mad_u32_u24 v59, v0, 29, 1
	v_dual_cndmask_b32 v112, 0, v16 :: v_dual_cndmask_b32 v111, 0, v15
	v_cmp_gt_u32_e32 vcc_lo, s8, v60
	s_delay_alu instid0(VALU_DEP_4)
	v_cndmask_b32_e64 v114, 0, v14, s1
	v_cndmask_b32_e64 v113, 0, v13, s1
	v_cmp_gt_u32_e64 s1, s8, v59
	s_waitcnt lgkmcnt(0)
	v_dual_cndmask_b32 v116, 0, v12 :: v_dual_cndmask_b32 v115, 0, v11
	v_cmp_ne_u32_e32 vcc_lo, 0, v0
	s_delay_alu instid0(VALU_DEP_3) | instskip(SKIP_4) | instid1(SALU_CYCLE_1)
	v_cndmask_b32_e64 v60, 0, v10, s1
	v_cndmask_b32_e64 v59, 0, v9, s1
	s_barrier
	buffer_gl0_inv
	s_and_b32 s2, vcc_lo, s2
	s_and_saveexec_b32 s1, s2
	s_cbranch_execz .LBB822_82
; %bb.81:
	v_add_nc_u32_e32 v89, -8, v119
	ds_load_b64 v[89:90], v89
	s_waitcnt lgkmcnt(0)
	v_sub_co_u32 v9, vcc_lo, v9, v89
	v_sub_co_ci_u32_e32 v10, vcc_lo, v10, v90, vcc_lo
.LBB822_82:
	s_or_b32 exec_lo, exec_lo, s1
	s_delay_alu instid0(VALU_DEP_1)
	v_dual_mov_b32 v90, v10 :: v_dual_mov_b32 v89, v9
	v_dual_mov_b32 v9, v59 :: v_dual_mov_b32 v10, v60
	v_mov_b32_e32 v59, v0
.LBB822_83:
	s_delay_alu instid0(VALU_DEP_2) | instskip(NEXT) | instid1(VALU_DEP_2)
	v_mov_b32_e32 v118, v10
	v_dual_mov_b32 v0, v59 :: v_dual_mov_b32 v117, v9
.LBB822_84:
	s_delay_alu instid0(VALU_DEP_1) | instskip(NEXT) | instid1(VALU_DEP_3)
	v_sub_co_u32 v9, vcc_lo, v11, v117
	v_sub_co_ci_u32_e32 v10, vcc_lo, v12, v118, vcc_lo
	v_sub_co_u32 v11, vcc_lo, v13, v115
	v_sub_co_ci_u32_e32 v12, vcc_lo, v14, v116, vcc_lo
	;; [unrolled: 2-line block ×27, first 2 shown]
	v_mul_u32_u24_e32 v0, 0xe8, v0
	v_sub_co_u32 v55, vcc_lo, v57, v61
	v_sub_co_ci_u32_e32 v56, vcc_lo, v58, v62, vcc_lo
	s_and_b32 vcc_lo, exec_lo, s0
	s_mov_b32 s0, -1
	s_waitcnt lgkmcnt(0)
	s_barrier
	buffer_gl0_inv
	ds_store_2addr_b64 v0, v[89:90], v[9:10] offset1:1
	ds_store_2addr_b64 v0, v[11:12], v[13:14] offset0:2 offset1:3
	ds_store_2addr_b64 v0, v[15:16], v[17:18] offset0:4 offset1:5
	ds_store_2addr_b64 v0, v[19:20], v[21:22] offset0:6 offset1:7
	ds_store_2addr_b64 v0, v[23:24], v[25:26] offset0:8 offset1:9
	ds_store_2addr_b64 v0, v[27:28], v[29:30] offset0:10 offset1:11
	ds_store_2addr_b64 v0, v[31:32], v[33:34] offset0:12 offset1:13
	ds_store_2addr_b64 v0, v[35:36], v[37:38] offset0:14 offset1:15
	ds_store_2addr_b64 v0, v[39:40], v[41:42] offset0:16 offset1:17
	ds_store_2addr_b64 v0, v[43:44], v[45:46] offset0:18 offset1:19
	ds_store_2addr_b64 v0, v[47:48], v[49:50] offset0:20 offset1:21
	ds_store_2addr_b64 v0, v[51:52], v[53:54] offset0:22 offset1:23
	ds_store_2addr_b64 v0, v[5:6], v[7:8] offset0:24 offset1:25
	ds_store_2addr_b64 v0, v[1:2], v[3:4] offset0:26 offset1:27
	ds_store_b64 v0, v[55:56] offset:224
	s_waitcnt lgkmcnt(0)
	s_cbranch_vccnz .LBB822_87
; %bb.85:
	s_and_not1_b32 vcc_lo, exec_lo, s0
	s_cbranch_vccz .LBB822_88
.LBB822_86:
	buffer_gl0_inv
	s_endpgm
.LBB822_87:
	s_barrier
	s_cbranch_execnz .LBB822_86
.LBB822_88:
	s_barrier
	buffer_gl0_inv
	s_endpgm
	.section	.rodata,"a",@progbits
	.p2align	6, 0x0
	.amdhsa_kernel _ZN7rocprim17ROCPRIM_400000_NS6detail17trampoline_kernelINS0_14default_configENS1_35adjacent_difference_config_selectorILb1EyEEZNS1_24adjacent_difference_implIS3_Lb1ELb0EPyN6thrust23THRUST_200600_302600_NS16discard_iteratorINS9_11use_defaultEEENS9_5minusIyEEEE10hipError_tPvRmT2_T3_mT4_P12ihipStream_tbEUlT_E_NS1_11comp_targetILNS1_3genE9ELNS1_11target_archE1100ELNS1_3gpuE3ELNS1_3repE0EEENS1_30default_config_static_selectorELNS0_4arch9wavefront6targetE0EEEvT1_
		.amdhsa_group_segment_fixed_size 29696
		.amdhsa_private_segment_fixed_size 0
		.amdhsa_kernarg_size 64
		.amdhsa_user_sgpr_count 15
		.amdhsa_user_sgpr_dispatch_ptr 0
		.amdhsa_user_sgpr_queue_ptr 0
		.amdhsa_user_sgpr_kernarg_segment_ptr 1
		.amdhsa_user_sgpr_dispatch_id 0
		.amdhsa_user_sgpr_private_segment_size 0
		.amdhsa_wavefront_size32 1
		.amdhsa_uses_dynamic_stack 0
		.amdhsa_enable_private_segment 0
		.amdhsa_system_sgpr_workgroup_id_x 1
		.amdhsa_system_sgpr_workgroup_id_y 0
		.amdhsa_system_sgpr_workgroup_id_z 0
		.amdhsa_system_sgpr_workgroup_info 0
		.amdhsa_system_vgpr_workitem_id 0
		.amdhsa_next_free_vgpr 120
		.amdhsa_next_free_sgpr 18
		.amdhsa_reserve_vcc 1
		.amdhsa_float_round_mode_32 0
		.amdhsa_float_round_mode_16_64 0
		.amdhsa_float_denorm_mode_32 3
		.amdhsa_float_denorm_mode_16_64 3
		.amdhsa_dx10_clamp 1
		.amdhsa_ieee_mode 1
		.amdhsa_fp16_overflow 0
		.amdhsa_workgroup_processor_mode 1
		.amdhsa_memory_ordered 1
		.amdhsa_forward_progress 0
		.amdhsa_shared_vgpr_count 0
		.amdhsa_exception_fp_ieee_invalid_op 0
		.amdhsa_exception_fp_denorm_src 0
		.amdhsa_exception_fp_ieee_div_zero 0
		.amdhsa_exception_fp_ieee_overflow 0
		.amdhsa_exception_fp_ieee_underflow 0
		.amdhsa_exception_fp_ieee_inexact 0
		.amdhsa_exception_int_div_zero 0
	.end_amdhsa_kernel
	.section	.text._ZN7rocprim17ROCPRIM_400000_NS6detail17trampoline_kernelINS0_14default_configENS1_35adjacent_difference_config_selectorILb1EyEEZNS1_24adjacent_difference_implIS3_Lb1ELb0EPyN6thrust23THRUST_200600_302600_NS16discard_iteratorINS9_11use_defaultEEENS9_5minusIyEEEE10hipError_tPvRmT2_T3_mT4_P12ihipStream_tbEUlT_E_NS1_11comp_targetILNS1_3genE9ELNS1_11target_archE1100ELNS1_3gpuE3ELNS1_3repE0EEENS1_30default_config_static_selectorELNS0_4arch9wavefront6targetE0EEEvT1_,"axG",@progbits,_ZN7rocprim17ROCPRIM_400000_NS6detail17trampoline_kernelINS0_14default_configENS1_35adjacent_difference_config_selectorILb1EyEEZNS1_24adjacent_difference_implIS3_Lb1ELb0EPyN6thrust23THRUST_200600_302600_NS16discard_iteratorINS9_11use_defaultEEENS9_5minusIyEEEE10hipError_tPvRmT2_T3_mT4_P12ihipStream_tbEUlT_E_NS1_11comp_targetILNS1_3genE9ELNS1_11target_archE1100ELNS1_3gpuE3ELNS1_3repE0EEENS1_30default_config_static_selectorELNS0_4arch9wavefront6targetE0EEEvT1_,comdat
.Lfunc_end822:
	.size	_ZN7rocprim17ROCPRIM_400000_NS6detail17trampoline_kernelINS0_14default_configENS1_35adjacent_difference_config_selectorILb1EyEEZNS1_24adjacent_difference_implIS3_Lb1ELb0EPyN6thrust23THRUST_200600_302600_NS16discard_iteratorINS9_11use_defaultEEENS9_5minusIyEEEE10hipError_tPvRmT2_T3_mT4_P12ihipStream_tbEUlT_E_NS1_11comp_targetILNS1_3genE9ELNS1_11target_archE1100ELNS1_3gpuE3ELNS1_3repE0EEENS1_30default_config_static_selectorELNS0_4arch9wavefront6targetE0EEEvT1_, .Lfunc_end822-_ZN7rocprim17ROCPRIM_400000_NS6detail17trampoline_kernelINS0_14default_configENS1_35adjacent_difference_config_selectorILb1EyEEZNS1_24adjacent_difference_implIS3_Lb1ELb0EPyN6thrust23THRUST_200600_302600_NS16discard_iteratorINS9_11use_defaultEEENS9_5minusIyEEEE10hipError_tPvRmT2_T3_mT4_P12ihipStream_tbEUlT_E_NS1_11comp_targetILNS1_3genE9ELNS1_11target_archE1100ELNS1_3gpuE3ELNS1_3repE0EEENS1_30default_config_static_selectorELNS0_4arch9wavefront6targetE0EEEvT1_
                                        ; -- End function
	.section	.AMDGPU.csdata,"",@progbits
; Kernel info:
; codeLenInByte = 5656
; NumSgprs: 20
; NumVgprs: 120
; ScratchSize: 0
; MemoryBound: 0
; FloatMode: 240
; IeeeMode: 1
; LDSByteSize: 29696 bytes/workgroup (compile time only)
; SGPRBlocks: 2
; VGPRBlocks: 14
; NumSGPRsForWavesPerEU: 20
; NumVGPRsForWavesPerEU: 120
; Occupancy: 4
; WaveLimiterHint : 1
; COMPUTE_PGM_RSRC2:SCRATCH_EN: 0
; COMPUTE_PGM_RSRC2:USER_SGPR: 15
; COMPUTE_PGM_RSRC2:TRAP_HANDLER: 0
; COMPUTE_PGM_RSRC2:TGID_X_EN: 1
; COMPUTE_PGM_RSRC2:TGID_Y_EN: 0
; COMPUTE_PGM_RSRC2:TGID_Z_EN: 0
; COMPUTE_PGM_RSRC2:TIDIG_COMP_CNT: 0
	.section	.text._ZN7rocprim17ROCPRIM_400000_NS6detail17trampoline_kernelINS0_14default_configENS1_35adjacent_difference_config_selectorILb1EyEEZNS1_24adjacent_difference_implIS3_Lb1ELb0EPyN6thrust23THRUST_200600_302600_NS16discard_iteratorINS9_11use_defaultEEENS9_5minusIyEEEE10hipError_tPvRmT2_T3_mT4_P12ihipStream_tbEUlT_E_NS1_11comp_targetILNS1_3genE8ELNS1_11target_archE1030ELNS1_3gpuE2ELNS1_3repE0EEENS1_30default_config_static_selectorELNS0_4arch9wavefront6targetE0EEEvT1_,"axG",@progbits,_ZN7rocprim17ROCPRIM_400000_NS6detail17trampoline_kernelINS0_14default_configENS1_35adjacent_difference_config_selectorILb1EyEEZNS1_24adjacent_difference_implIS3_Lb1ELb0EPyN6thrust23THRUST_200600_302600_NS16discard_iteratorINS9_11use_defaultEEENS9_5minusIyEEEE10hipError_tPvRmT2_T3_mT4_P12ihipStream_tbEUlT_E_NS1_11comp_targetILNS1_3genE8ELNS1_11target_archE1030ELNS1_3gpuE2ELNS1_3repE0EEENS1_30default_config_static_selectorELNS0_4arch9wavefront6targetE0EEEvT1_,comdat
	.protected	_ZN7rocprim17ROCPRIM_400000_NS6detail17trampoline_kernelINS0_14default_configENS1_35adjacent_difference_config_selectorILb1EyEEZNS1_24adjacent_difference_implIS3_Lb1ELb0EPyN6thrust23THRUST_200600_302600_NS16discard_iteratorINS9_11use_defaultEEENS9_5minusIyEEEE10hipError_tPvRmT2_T3_mT4_P12ihipStream_tbEUlT_E_NS1_11comp_targetILNS1_3genE8ELNS1_11target_archE1030ELNS1_3gpuE2ELNS1_3repE0EEENS1_30default_config_static_selectorELNS0_4arch9wavefront6targetE0EEEvT1_ ; -- Begin function _ZN7rocprim17ROCPRIM_400000_NS6detail17trampoline_kernelINS0_14default_configENS1_35adjacent_difference_config_selectorILb1EyEEZNS1_24adjacent_difference_implIS3_Lb1ELb0EPyN6thrust23THRUST_200600_302600_NS16discard_iteratorINS9_11use_defaultEEENS9_5minusIyEEEE10hipError_tPvRmT2_T3_mT4_P12ihipStream_tbEUlT_E_NS1_11comp_targetILNS1_3genE8ELNS1_11target_archE1030ELNS1_3gpuE2ELNS1_3repE0EEENS1_30default_config_static_selectorELNS0_4arch9wavefront6targetE0EEEvT1_
	.globl	_ZN7rocprim17ROCPRIM_400000_NS6detail17trampoline_kernelINS0_14default_configENS1_35adjacent_difference_config_selectorILb1EyEEZNS1_24adjacent_difference_implIS3_Lb1ELb0EPyN6thrust23THRUST_200600_302600_NS16discard_iteratorINS9_11use_defaultEEENS9_5minusIyEEEE10hipError_tPvRmT2_T3_mT4_P12ihipStream_tbEUlT_E_NS1_11comp_targetILNS1_3genE8ELNS1_11target_archE1030ELNS1_3gpuE2ELNS1_3repE0EEENS1_30default_config_static_selectorELNS0_4arch9wavefront6targetE0EEEvT1_
	.p2align	8
	.type	_ZN7rocprim17ROCPRIM_400000_NS6detail17trampoline_kernelINS0_14default_configENS1_35adjacent_difference_config_selectorILb1EyEEZNS1_24adjacent_difference_implIS3_Lb1ELb0EPyN6thrust23THRUST_200600_302600_NS16discard_iteratorINS9_11use_defaultEEENS9_5minusIyEEEE10hipError_tPvRmT2_T3_mT4_P12ihipStream_tbEUlT_E_NS1_11comp_targetILNS1_3genE8ELNS1_11target_archE1030ELNS1_3gpuE2ELNS1_3repE0EEENS1_30default_config_static_selectorELNS0_4arch9wavefront6targetE0EEEvT1_,@function
_ZN7rocprim17ROCPRIM_400000_NS6detail17trampoline_kernelINS0_14default_configENS1_35adjacent_difference_config_selectorILb1EyEEZNS1_24adjacent_difference_implIS3_Lb1ELb0EPyN6thrust23THRUST_200600_302600_NS16discard_iteratorINS9_11use_defaultEEENS9_5minusIyEEEE10hipError_tPvRmT2_T3_mT4_P12ihipStream_tbEUlT_E_NS1_11comp_targetILNS1_3genE8ELNS1_11target_archE1030ELNS1_3gpuE2ELNS1_3repE0EEENS1_30default_config_static_selectorELNS0_4arch9wavefront6targetE0EEEvT1_: ; @_ZN7rocprim17ROCPRIM_400000_NS6detail17trampoline_kernelINS0_14default_configENS1_35adjacent_difference_config_selectorILb1EyEEZNS1_24adjacent_difference_implIS3_Lb1ELb0EPyN6thrust23THRUST_200600_302600_NS16discard_iteratorINS9_11use_defaultEEENS9_5minusIyEEEE10hipError_tPvRmT2_T3_mT4_P12ihipStream_tbEUlT_E_NS1_11comp_targetILNS1_3genE8ELNS1_11target_archE1030ELNS1_3gpuE2ELNS1_3repE0EEENS1_30default_config_static_selectorELNS0_4arch9wavefront6targetE0EEEvT1_
; %bb.0:
	.section	.rodata,"a",@progbits
	.p2align	6, 0x0
	.amdhsa_kernel _ZN7rocprim17ROCPRIM_400000_NS6detail17trampoline_kernelINS0_14default_configENS1_35adjacent_difference_config_selectorILb1EyEEZNS1_24adjacent_difference_implIS3_Lb1ELb0EPyN6thrust23THRUST_200600_302600_NS16discard_iteratorINS9_11use_defaultEEENS9_5minusIyEEEE10hipError_tPvRmT2_T3_mT4_P12ihipStream_tbEUlT_E_NS1_11comp_targetILNS1_3genE8ELNS1_11target_archE1030ELNS1_3gpuE2ELNS1_3repE0EEENS1_30default_config_static_selectorELNS0_4arch9wavefront6targetE0EEEvT1_
		.amdhsa_group_segment_fixed_size 0
		.amdhsa_private_segment_fixed_size 0
		.amdhsa_kernarg_size 64
		.amdhsa_user_sgpr_count 15
		.amdhsa_user_sgpr_dispatch_ptr 0
		.amdhsa_user_sgpr_queue_ptr 0
		.amdhsa_user_sgpr_kernarg_segment_ptr 1
		.amdhsa_user_sgpr_dispatch_id 0
		.amdhsa_user_sgpr_private_segment_size 0
		.amdhsa_wavefront_size32 1
		.amdhsa_uses_dynamic_stack 0
		.amdhsa_enable_private_segment 0
		.amdhsa_system_sgpr_workgroup_id_x 1
		.amdhsa_system_sgpr_workgroup_id_y 0
		.amdhsa_system_sgpr_workgroup_id_z 0
		.amdhsa_system_sgpr_workgroup_info 0
		.amdhsa_system_vgpr_workitem_id 0
		.amdhsa_next_free_vgpr 1
		.amdhsa_next_free_sgpr 1
		.amdhsa_reserve_vcc 0
		.amdhsa_float_round_mode_32 0
		.amdhsa_float_round_mode_16_64 0
		.amdhsa_float_denorm_mode_32 3
		.amdhsa_float_denorm_mode_16_64 3
		.amdhsa_dx10_clamp 1
		.amdhsa_ieee_mode 1
		.amdhsa_fp16_overflow 0
		.amdhsa_workgroup_processor_mode 1
		.amdhsa_memory_ordered 1
		.amdhsa_forward_progress 0
		.amdhsa_shared_vgpr_count 0
		.amdhsa_exception_fp_ieee_invalid_op 0
		.amdhsa_exception_fp_denorm_src 0
		.amdhsa_exception_fp_ieee_div_zero 0
		.amdhsa_exception_fp_ieee_overflow 0
		.amdhsa_exception_fp_ieee_underflow 0
		.amdhsa_exception_fp_ieee_inexact 0
		.amdhsa_exception_int_div_zero 0
	.end_amdhsa_kernel
	.section	.text._ZN7rocprim17ROCPRIM_400000_NS6detail17trampoline_kernelINS0_14default_configENS1_35adjacent_difference_config_selectorILb1EyEEZNS1_24adjacent_difference_implIS3_Lb1ELb0EPyN6thrust23THRUST_200600_302600_NS16discard_iteratorINS9_11use_defaultEEENS9_5minusIyEEEE10hipError_tPvRmT2_T3_mT4_P12ihipStream_tbEUlT_E_NS1_11comp_targetILNS1_3genE8ELNS1_11target_archE1030ELNS1_3gpuE2ELNS1_3repE0EEENS1_30default_config_static_selectorELNS0_4arch9wavefront6targetE0EEEvT1_,"axG",@progbits,_ZN7rocprim17ROCPRIM_400000_NS6detail17trampoline_kernelINS0_14default_configENS1_35adjacent_difference_config_selectorILb1EyEEZNS1_24adjacent_difference_implIS3_Lb1ELb0EPyN6thrust23THRUST_200600_302600_NS16discard_iteratorINS9_11use_defaultEEENS9_5minusIyEEEE10hipError_tPvRmT2_T3_mT4_P12ihipStream_tbEUlT_E_NS1_11comp_targetILNS1_3genE8ELNS1_11target_archE1030ELNS1_3gpuE2ELNS1_3repE0EEENS1_30default_config_static_selectorELNS0_4arch9wavefront6targetE0EEEvT1_,comdat
.Lfunc_end823:
	.size	_ZN7rocprim17ROCPRIM_400000_NS6detail17trampoline_kernelINS0_14default_configENS1_35adjacent_difference_config_selectorILb1EyEEZNS1_24adjacent_difference_implIS3_Lb1ELb0EPyN6thrust23THRUST_200600_302600_NS16discard_iteratorINS9_11use_defaultEEENS9_5minusIyEEEE10hipError_tPvRmT2_T3_mT4_P12ihipStream_tbEUlT_E_NS1_11comp_targetILNS1_3genE8ELNS1_11target_archE1030ELNS1_3gpuE2ELNS1_3repE0EEENS1_30default_config_static_selectorELNS0_4arch9wavefront6targetE0EEEvT1_, .Lfunc_end823-_ZN7rocprim17ROCPRIM_400000_NS6detail17trampoline_kernelINS0_14default_configENS1_35adjacent_difference_config_selectorILb1EyEEZNS1_24adjacent_difference_implIS3_Lb1ELb0EPyN6thrust23THRUST_200600_302600_NS16discard_iteratorINS9_11use_defaultEEENS9_5minusIyEEEE10hipError_tPvRmT2_T3_mT4_P12ihipStream_tbEUlT_E_NS1_11comp_targetILNS1_3genE8ELNS1_11target_archE1030ELNS1_3gpuE2ELNS1_3repE0EEENS1_30default_config_static_selectorELNS0_4arch9wavefront6targetE0EEEvT1_
                                        ; -- End function
	.section	.AMDGPU.csdata,"",@progbits
; Kernel info:
; codeLenInByte = 0
; NumSgprs: 0
; NumVgprs: 0
; ScratchSize: 0
; MemoryBound: 0
; FloatMode: 240
; IeeeMode: 1
; LDSByteSize: 0 bytes/workgroup (compile time only)
; SGPRBlocks: 0
; VGPRBlocks: 0
; NumSGPRsForWavesPerEU: 1
; NumVGPRsForWavesPerEU: 1
; Occupancy: 16
; WaveLimiterHint : 0
; COMPUTE_PGM_RSRC2:SCRATCH_EN: 0
; COMPUTE_PGM_RSRC2:USER_SGPR: 15
; COMPUTE_PGM_RSRC2:TRAP_HANDLER: 0
; COMPUTE_PGM_RSRC2:TGID_X_EN: 1
; COMPUTE_PGM_RSRC2:TGID_Y_EN: 0
; COMPUTE_PGM_RSRC2:TGID_Z_EN: 0
; COMPUTE_PGM_RSRC2:TIDIG_COMP_CNT: 0
	.section	.text._ZN7rocprim17ROCPRIM_400000_NS6detail17trampoline_kernelINS0_14default_configENS1_25transform_config_selectorIjLb0EEEZNS1_14transform_implILb0ES3_S5_NS0_18transform_iteratorINS0_17counting_iteratorImlEEZNS1_24adjacent_difference_implIS3_Lb1ELb0EPjN6thrust23THRUST_200600_302600_NS16discard_iteratorINSD_11use_defaultEEENSD_5minusIjEEEE10hipError_tPvRmT2_T3_mT4_P12ihipStream_tbEUlmE_jEESB_NS0_8identityIvEEEESJ_SM_SN_mSO_SQ_bEUlT_E_NS1_11comp_targetILNS1_3genE0ELNS1_11target_archE4294967295ELNS1_3gpuE0ELNS1_3repE0EEENS1_30default_config_static_selectorELNS0_4arch9wavefront6targetE0EEEvT1_,"axG",@progbits,_ZN7rocprim17ROCPRIM_400000_NS6detail17trampoline_kernelINS0_14default_configENS1_25transform_config_selectorIjLb0EEEZNS1_14transform_implILb0ES3_S5_NS0_18transform_iteratorINS0_17counting_iteratorImlEEZNS1_24adjacent_difference_implIS3_Lb1ELb0EPjN6thrust23THRUST_200600_302600_NS16discard_iteratorINSD_11use_defaultEEENSD_5minusIjEEEE10hipError_tPvRmT2_T3_mT4_P12ihipStream_tbEUlmE_jEESB_NS0_8identityIvEEEESJ_SM_SN_mSO_SQ_bEUlT_E_NS1_11comp_targetILNS1_3genE0ELNS1_11target_archE4294967295ELNS1_3gpuE0ELNS1_3repE0EEENS1_30default_config_static_selectorELNS0_4arch9wavefront6targetE0EEEvT1_,comdat
	.protected	_ZN7rocprim17ROCPRIM_400000_NS6detail17trampoline_kernelINS0_14default_configENS1_25transform_config_selectorIjLb0EEEZNS1_14transform_implILb0ES3_S5_NS0_18transform_iteratorINS0_17counting_iteratorImlEEZNS1_24adjacent_difference_implIS3_Lb1ELb0EPjN6thrust23THRUST_200600_302600_NS16discard_iteratorINSD_11use_defaultEEENSD_5minusIjEEEE10hipError_tPvRmT2_T3_mT4_P12ihipStream_tbEUlmE_jEESB_NS0_8identityIvEEEESJ_SM_SN_mSO_SQ_bEUlT_E_NS1_11comp_targetILNS1_3genE0ELNS1_11target_archE4294967295ELNS1_3gpuE0ELNS1_3repE0EEENS1_30default_config_static_selectorELNS0_4arch9wavefront6targetE0EEEvT1_ ; -- Begin function _ZN7rocprim17ROCPRIM_400000_NS6detail17trampoline_kernelINS0_14default_configENS1_25transform_config_selectorIjLb0EEEZNS1_14transform_implILb0ES3_S5_NS0_18transform_iteratorINS0_17counting_iteratorImlEEZNS1_24adjacent_difference_implIS3_Lb1ELb0EPjN6thrust23THRUST_200600_302600_NS16discard_iteratorINSD_11use_defaultEEENSD_5minusIjEEEE10hipError_tPvRmT2_T3_mT4_P12ihipStream_tbEUlmE_jEESB_NS0_8identityIvEEEESJ_SM_SN_mSO_SQ_bEUlT_E_NS1_11comp_targetILNS1_3genE0ELNS1_11target_archE4294967295ELNS1_3gpuE0ELNS1_3repE0EEENS1_30default_config_static_selectorELNS0_4arch9wavefront6targetE0EEEvT1_
	.globl	_ZN7rocprim17ROCPRIM_400000_NS6detail17trampoline_kernelINS0_14default_configENS1_25transform_config_selectorIjLb0EEEZNS1_14transform_implILb0ES3_S5_NS0_18transform_iteratorINS0_17counting_iteratorImlEEZNS1_24adjacent_difference_implIS3_Lb1ELb0EPjN6thrust23THRUST_200600_302600_NS16discard_iteratorINSD_11use_defaultEEENSD_5minusIjEEEE10hipError_tPvRmT2_T3_mT4_P12ihipStream_tbEUlmE_jEESB_NS0_8identityIvEEEESJ_SM_SN_mSO_SQ_bEUlT_E_NS1_11comp_targetILNS1_3genE0ELNS1_11target_archE4294967295ELNS1_3gpuE0ELNS1_3repE0EEENS1_30default_config_static_selectorELNS0_4arch9wavefront6targetE0EEEvT1_
	.p2align	8
	.type	_ZN7rocprim17ROCPRIM_400000_NS6detail17trampoline_kernelINS0_14default_configENS1_25transform_config_selectorIjLb0EEEZNS1_14transform_implILb0ES3_S5_NS0_18transform_iteratorINS0_17counting_iteratorImlEEZNS1_24adjacent_difference_implIS3_Lb1ELb0EPjN6thrust23THRUST_200600_302600_NS16discard_iteratorINSD_11use_defaultEEENSD_5minusIjEEEE10hipError_tPvRmT2_T3_mT4_P12ihipStream_tbEUlmE_jEESB_NS0_8identityIvEEEESJ_SM_SN_mSO_SQ_bEUlT_E_NS1_11comp_targetILNS1_3genE0ELNS1_11target_archE4294967295ELNS1_3gpuE0ELNS1_3repE0EEENS1_30default_config_static_selectorELNS0_4arch9wavefront6targetE0EEEvT1_,@function
_ZN7rocprim17ROCPRIM_400000_NS6detail17trampoline_kernelINS0_14default_configENS1_25transform_config_selectorIjLb0EEEZNS1_14transform_implILb0ES3_S5_NS0_18transform_iteratorINS0_17counting_iteratorImlEEZNS1_24adjacent_difference_implIS3_Lb1ELb0EPjN6thrust23THRUST_200600_302600_NS16discard_iteratorINSD_11use_defaultEEENSD_5minusIjEEEE10hipError_tPvRmT2_T3_mT4_P12ihipStream_tbEUlmE_jEESB_NS0_8identityIvEEEESJ_SM_SN_mSO_SQ_bEUlT_E_NS1_11comp_targetILNS1_3genE0ELNS1_11target_archE4294967295ELNS1_3gpuE0ELNS1_3repE0EEENS1_30default_config_static_selectorELNS0_4arch9wavefront6targetE0EEEvT1_: ; @_ZN7rocprim17ROCPRIM_400000_NS6detail17trampoline_kernelINS0_14default_configENS1_25transform_config_selectorIjLb0EEEZNS1_14transform_implILb0ES3_S5_NS0_18transform_iteratorINS0_17counting_iteratorImlEEZNS1_24adjacent_difference_implIS3_Lb1ELb0EPjN6thrust23THRUST_200600_302600_NS16discard_iteratorINSD_11use_defaultEEENSD_5minusIjEEEE10hipError_tPvRmT2_T3_mT4_P12ihipStream_tbEUlmE_jEESB_NS0_8identityIvEEEESJ_SM_SN_mSO_SQ_bEUlT_E_NS1_11comp_targetILNS1_3genE0ELNS1_11target_archE4294967295ELNS1_3gpuE0ELNS1_3repE0EEENS1_30default_config_static_selectorELNS0_4arch9wavefront6targetE0EEEvT1_
; %bb.0:
	.section	.rodata,"a",@progbits
	.p2align	6, 0x0
	.amdhsa_kernel _ZN7rocprim17ROCPRIM_400000_NS6detail17trampoline_kernelINS0_14default_configENS1_25transform_config_selectorIjLb0EEEZNS1_14transform_implILb0ES3_S5_NS0_18transform_iteratorINS0_17counting_iteratorImlEEZNS1_24adjacent_difference_implIS3_Lb1ELb0EPjN6thrust23THRUST_200600_302600_NS16discard_iteratorINSD_11use_defaultEEENSD_5minusIjEEEE10hipError_tPvRmT2_T3_mT4_P12ihipStream_tbEUlmE_jEESB_NS0_8identityIvEEEESJ_SM_SN_mSO_SQ_bEUlT_E_NS1_11comp_targetILNS1_3genE0ELNS1_11target_archE4294967295ELNS1_3gpuE0ELNS1_3repE0EEENS1_30default_config_static_selectorELNS0_4arch9wavefront6targetE0EEEvT1_
		.amdhsa_group_segment_fixed_size 0
		.amdhsa_private_segment_fixed_size 0
		.amdhsa_kernarg_size 56
		.amdhsa_user_sgpr_count 15
		.amdhsa_user_sgpr_dispatch_ptr 0
		.amdhsa_user_sgpr_queue_ptr 0
		.amdhsa_user_sgpr_kernarg_segment_ptr 1
		.amdhsa_user_sgpr_dispatch_id 0
		.amdhsa_user_sgpr_private_segment_size 0
		.amdhsa_wavefront_size32 1
		.amdhsa_uses_dynamic_stack 0
		.amdhsa_enable_private_segment 0
		.amdhsa_system_sgpr_workgroup_id_x 1
		.amdhsa_system_sgpr_workgroup_id_y 0
		.amdhsa_system_sgpr_workgroup_id_z 0
		.amdhsa_system_sgpr_workgroup_info 0
		.amdhsa_system_vgpr_workitem_id 0
		.amdhsa_next_free_vgpr 1
		.amdhsa_next_free_sgpr 1
		.amdhsa_reserve_vcc 0
		.amdhsa_float_round_mode_32 0
		.amdhsa_float_round_mode_16_64 0
		.amdhsa_float_denorm_mode_32 3
		.amdhsa_float_denorm_mode_16_64 3
		.amdhsa_dx10_clamp 1
		.amdhsa_ieee_mode 1
		.amdhsa_fp16_overflow 0
		.amdhsa_workgroup_processor_mode 1
		.amdhsa_memory_ordered 1
		.amdhsa_forward_progress 0
		.amdhsa_shared_vgpr_count 0
		.amdhsa_exception_fp_ieee_invalid_op 0
		.amdhsa_exception_fp_denorm_src 0
		.amdhsa_exception_fp_ieee_div_zero 0
		.amdhsa_exception_fp_ieee_overflow 0
		.amdhsa_exception_fp_ieee_underflow 0
		.amdhsa_exception_fp_ieee_inexact 0
		.amdhsa_exception_int_div_zero 0
	.end_amdhsa_kernel
	.section	.text._ZN7rocprim17ROCPRIM_400000_NS6detail17trampoline_kernelINS0_14default_configENS1_25transform_config_selectorIjLb0EEEZNS1_14transform_implILb0ES3_S5_NS0_18transform_iteratorINS0_17counting_iteratorImlEEZNS1_24adjacent_difference_implIS3_Lb1ELb0EPjN6thrust23THRUST_200600_302600_NS16discard_iteratorINSD_11use_defaultEEENSD_5minusIjEEEE10hipError_tPvRmT2_T3_mT4_P12ihipStream_tbEUlmE_jEESB_NS0_8identityIvEEEESJ_SM_SN_mSO_SQ_bEUlT_E_NS1_11comp_targetILNS1_3genE0ELNS1_11target_archE4294967295ELNS1_3gpuE0ELNS1_3repE0EEENS1_30default_config_static_selectorELNS0_4arch9wavefront6targetE0EEEvT1_,"axG",@progbits,_ZN7rocprim17ROCPRIM_400000_NS6detail17trampoline_kernelINS0_14default_configENS1_25transform_config_selectorIjLb0EEEZNS1_14transform_implILb0ES3_S5_NS0_18transform_iteratorINS0_17counting_iteratorImlEEZNS1_24adjacent_difference_implIS3_Lb1ELb0EPjN6thrust23THRUST_200600_302600_NS16discard_iteratorINSD_11use_defaultEEENSD_5minusIjEEEE10hipError_tPvRmT2_T3_mT4_P12ihipStream_tbEUlmE_jEESB_NS0_8identityIvEEEESJ_SM_SN_mSO_SQ_bEUlT_E_NS1_11comp_targetILNS1_3genE0ELNS1_11target_archE4294967295ELNS1_3gpuE0ELNS1_3repE0EEENS1_30default_config_static_selectorELNS0_4arch9wavefront6targetE0EEEvT1_,comdat
.Lfunc_end824:
	.size	_ZN7rocprim17ROCPRIM_400000_NS6detail17trampoline_kernelINS0_14default_configENS1_25transform_config_selectorIjLb0EEEZNS1_14transform_implILb0ES3_S5_NS0_18transform_iteratorINS0_17counting_iteratorImlEEZNS1_24adjacent_difference_implIS3_Lb1ELb0EPjN6thrust23THRUST_200600_302600_NS16discard_iteratorINSD_11use_defaultEEENSD_5minusIjEEEE10hipError_tPvRmT2_T3_mT4_P12ihipStream_tbEUlmE_jEESB_NS0_8identityIvEEEESJ_SM_SN_mSO_SQ_bEUlT_E_NS1_11comp_targetILNS1_3genE0ELNS1_11target_archE4294967295ELNS1_3gpuE0ELNS1_3repE0EEENS1_30default_config_static_selectorELNS0_4arch9wavefront6targetE0EEEvT1_, .Lfunc_end824-_ZN7rocprim17ROCPRIM_400000_NS6detail17trampoline_kernelINS0_14default_configENS1_25transform_config_selectorIjLb0EEEZNS1_14transform_implILb0ES3_S5_NS0_18transform_iteratorINS0_17counting_iteratorImlEEZNS1_24adjacent_difference_implIS3_Lb1ELb0EPjN6thrust23THRUST_200600_302600_NS16discard_iteratorINSD_11use_defaultEEENSD_5minusIjEEEE10hipError_tPvRmT2_T3_mT4_P12ihipStream_tbEUlmE_jEESB_NS0_8identityIvEEEESJ_SM_SN_mSO_SQ_bEUlT_E_NS1_11comp_targetILNS1_3genE0ELNS1_11target_archE4294967295ELNS1_3gpuE0ELNS1_3repE0EEENS1_30default_config_static_selectorELNS0_4arch9wavefront6targetE0EEEvT1_
                                        ; -- End function
	.section	.AMDGPU.csdata,"",@progbits
; Kernel info:
; codeLenInByte = 0
; NumSgprs: 0
; NumVgprs: 0
; ScratchSize: 0
; MemoryBound: 0
; FloatMode: 240
; IeeeMode: 1
; LDSByteSize: 0 bytes/workgroup (compile time only)
; SGPRBlocks: 0
; VGPRBlocks: 0
; NumSGPRsForWavesPerEU: 1
; NumVGPRsForWavesPerEU: 1
; Occupancy: 16
; WaveLimiterHint : 0
; COMPUTE_PGM_RSRC2:SCRATCH_EN: 0
; COMPUTE_PGM_RSRC2:USER_SGPR: 15
; COMPUTE_PGM_RSRC2:TRAP_HANDLER: 0
; COMPUTE_PGM_RSRC2:TGID_X_EN: 1
; COMPUTE_PGM_RSRC2:TGID_Y_EN: 0
; COMPUTE_PGM_RSRC2:TGID_Z_EN: 0
; COMPUTE_PGM_RSRC2:TIDIG_COMP_CNT: 0
	.section	.text._ZN7rocprim17ROCPRIM_400000_NS6detail17trampoline_kernelINS0_14default_configENS1_25transform_config_selectorIjLb0EEEZNS1_14transform_implILb0ES3_S5_NS0_18transform_iteratorINS0_17counting_iteratorImlEEZNS1_24adjacent_difference_implIS3_Lb1ELb0EPjN6thrust23THRUST_200600_302600_NS16discard_iteratorINSD_11use_defaultEEENSD_5minusIjEEEE10hipError_tPvRmT2_T3_mT4_P12ihipStream_tbEUlmE_jEESB_NS0_8identityIvEEEESJ_SM_SN_mSO_SQ_bEUlT_E_NS1_11comp_targetILNS1_3genE5ELNS1_11target_archE942ELNS1_3gpuE9ELNS1_3repE0EEENS1_30default_config_static_selectorELNS0_4arch9wavefront6targetE0EEEvT1_,"axG",@progbits,_ZN7rocprim17ROCPRIM_400000_NS6detail17trampoline_kernelINS0_14default_configENS1_25transform_config_selectorIjLb0EEEZNS1_14transform_implILb0ES3_S5_NS0_18transform_iteratorINS0_17counting_iteratorImlEEZNS1_24adjacent_difference_implIS3_Lb1ELb0EPjN6thrust23THRUST_200600_302600_NS16discard_iteratorINSD_11use_defaultEEENSD_5minusIjEEEE10hipError_tPvRmT2_T3_mT4_P12ihipStream_tbEUlmE_jEESB_NS0_8identityIvEEEESJ_SM_SN_mSO_SQ_bEUlT_E_NS1_11comp_targetILNS1_3genE5ELNS1_11target_archE942ELNS1_3gpuE9ELNS1_3repE0EEENS1_30default_config_static_selectorELNS0_4arch9wavefront6targetE0EEEvT1_,comdat
	.protected	_ZN7rocprim17ROCPRIM_400000_NS6detail17trampoline_kernelINS0_14default_configENS1_25transform_config_selectorIjLb0EEEZNS1_14transform_implILb0ES3_S5_NS0_18transform_iteratorINS0_17counting_iteratorImlEEZNS1_24adjacent_difference_implIS3_Lb1ELb0EPjN6thrust23THRUST_200600_302600_NS16discard_iteratorINSD_11use_defaultEEENSD_5minusIjEEEE10hipError_tPvRmT2_T3_mT4_P12ihipStream_tbEUlmE_jEESB_NS0_8identityIvEEEESJ_SM_SN_mSO_SQ_bEUlT_E_NS1_11comp_targetILNS1_3genE5ELNS1_11target_archE942ELNS1_3gpuE9ELNS1_3repE0EEENS1_30default_config_static_selectorELNS0_4arch9wavefront6targetE0EEEvT1_ ; -- Begin function _ZN7rocprim17ROCPRIM_400000_NS6detail17trampoline_kernelINS0_14default_configENS1_25transform_config_selectorIjLb0EEEZNS1_14transform_implILb0ES3_S5_NS0_18transform_iteratorINS0_17counting_iteratorImlEEZNS1_24adjacent_difference_implIS3_Lb1ELb0EPjN6thrust23THRUST_200600_302600_NS16discard_iteratorINSD_11use_defaultEEENSD_5minusIjEEEE10hipError_tPvRmT2_T3_mT4_P12ihipStream_tbEUlmE_jEESB_NS0_8identityIvEEEESJ_SM_SN_mSO_SQ_bEUlT_E_NS1_11comp_targetILNS1_3genE5ELNS1_11target_archE942ELNS1_3gpuE9ELNS1_3repE0EEENS1_30default_config_static_selectorELNS0_4arch9wavefront6targetE0EEEvT1_
	.globl	_ZN7rocprim17ROCPRIM_400000_NS6detail17trampoline_kernelINS0_14default_configENS1_25transform_config_selectorIjLb0EEEZNS1_14transform_implILb0ES3_S5_NS0_18transform_iteratorINS0_17counting_iteratorImlEEZNS1_24adjacent_difference_implIS3_Lb1ELb0EPjN6thrust23THRUST_200600_302600_NS16discard_iteratorINSD_11use_defaultEEENSD_5minusIjEEEE10hipError_tPvRmT2_T3_mT4_P12ihipStream_tbEUlmE_jEESB_NS0_8identityIvEEEESJ_SM_SN_mSO_SQ_bEUlT_E_NS1_11comp_targetILNS1_3genE5ELNS1_11target_archE942ELNS1_3gpuE9ELNS1_3repE0EEENS1_30default_config_static_selectorELNS0_4arch9wavefront6targetE0EEEvT1_
	.p2align	8
	.type	_ZN7rocprim17ROCPRIM_400000_NS6detail17trampoline_kernelINS0_14default_configENS1_25transform_config_selectorIjLb0EEEZNS1_14transform_implILb0ES3_S5_NS0_18transform_iteratorINS0_17counting_iteratorImlEEZNS1_24adjacent_difference_implIS3_Lb1ELb0EPjN6thrust23THRUST_200600_302600_NS16discard_iteratorINSD_11use_defaultEEENSD_5minusIjEEEE10hipError_tPvRmT2_T3_mT4_P12ihipStream_tbEUlmE_jEESB_NS0_8identityIvEEEESJ_SM_SN_mSO_SQ_bEUlT_E_NS1_11comp_targetILNS1_3genE5ELNS1_11target_archE942ELNS1_3gpuE9ELNS1_3repE0EEENS1_30default_config_static_selectorELNS0_4arch9wavefront6targetE0EEEvT1_,@function
_ZN7rocprim17ROCPRIM_400000_NS6detail17trampoline_kernelINS0_14default_configENS1_25transform_config_selectorIjLb0EEEZNS1_14transform_implILb0ES3_S5_NS0_18transform_iteratorINS0_17counting_iteratorImlEEZNS1_24adjacent_difference_implIS3_Lb1ELb0EPjN6thrust23THRUST_200600_302600_NS16discard_iteratorINSD_11use_defaultEEENSD_5minusIjEEEE10hipError_tPvRmT2_T3_mT4_P12ihipStream_tbEUlmE_jEESB_NS0_8identityIvEEEESJ_SM_SN_mSO_SQ_bEUlT_E_NS1_11comp_targetILNS1_3genE5ELNS1_11target_archE942ELNS1_3gpuE9ELNS1_3repE0EEENS1_30default_config_static_selectorELNS0_4arch9wavefront6targetE0EEEvT1_: ; @_ZN7rocprim17ROCPRIM_400000_NS6detail17trampoline_kernelINS0_14default_configENS1_25transform_config_selectorIjLb0EEEZNS1_14transform_implILb0ES3_S5_NS0_18transform_iteratorINS0_17counting_iteratorImlEEZNS1_24adjacent_difference_implIS3_Lb1ELb0EPjN6thrust23THRUST_200600_302600_NS16discard_iteratorINSD_11use_defaultEEENSD_5minusIjEEEE10hipError_tPvRmT2_T3_mT4_P12ihipStream_tbEUlmE_jEESB_NS0_8identityIvEEEESJ_SM_SN_mSO_SQ_bEUlT_E_NS1_11comp_targetILNS1_3genE5ELNS1_11target_archE942ELNS1_3gpuE9ELNS1_3repE0EEENS1_30default_config_static_selectorELNS0_4arch9wavefront6targetE0EEEvT1_
; %bb.0:
	.section	.rodata,"a",@progbits
	.p2align	6, 0x0
	.amdhsa_kernel _ZN7rocprim17ROCPRIM_400000_NS6detail17trampoline_kernelINS0_14default_configENS1_25transform_config_selectorIjLb0EEEZNS1_14transform_implILb0ES3_S5_NS0_18transform_iteratorINS0_17counting_iteratorImlEEZNS1_24adjacent_difference_implIS3_Lb1ELb0EPjN6thrust23THRUST_200600_302600_NS16discard_iteratorINSD_11use_defaultEEENSD_5minusIjEEEE10hipError_tPvRmT2_T3_mT4_P12ihipStream_tbEUlmE_jEESB_NS0_8identityIvEEEESJ_SM_SN_mSO_SQ_bEUlT_E_NS1_11comp_targetILNS1_3genE5ELNS1_11target_archE942ELNS1_3gpuE9ELNS1_3repE0EEENS1_30default_config_static_selectorELNS0_4arch9wavefront6targetE0EEEvT1_
		.amdhsa_group_segment_fixed_size 0
		.amdhsa_private_segment_fixed_size 0
		.amdhsa_kernarg_size 56
		.amdhsa_user_sgpr_count 15
		.amdhsa_user_sgpr_dispatch_ptr 0
		.amdhsa_user_sgpr_queue_ptr 0
		.amdhsa_user_sgpr_kernarg_segment_ptr 1
		.amdhsa_user_sgpr_dispatch_id 0
		.amdhsa_user_sgpr_private_segment_size 0
		.amdhsa_wavefront_size32 1
		.amdhsa_uses_dynamic_stack 0
		.amdhsa_enable_private_segment 0
		.amdhsa_system_sgpr_workgroup_id_x 1
		.amdhsa_system_sgpr_workgroup_id_y 0
		.amdhsa_system_sgpr_workgroup_id_z 0
		.amdhsa_system_sgpr_workgroup_info 0
		.amdhsa_system_vgpr_workitem_id 0
		.amdhsa_next_free_vgpr 1
		.amdhsa_next_free_sgpr 1
		.amdhsa_reserve_vcc 0
		.amdhsa_float_round_mode_32 0
		.amdhsa_float_round_mode_16_64 0
		.amdhsa_float_denorm_mode_32 3
		.amdhsa_float_denorm_mode_16_64 3
		.amdhsa_dx10_clamp 1
		.amdhsa_ieee_mode 1
		.amdhsa_fp16_overflow 0
		.amdhsa_workgroup_processor_mode 1
		.amdhsa_memory_ordered 1
		.amdhsa_forward_progress 0
		.amdhsa_shared_vgpr_count 0
		.amdhsa_exception_fp_ieee_invalid_op 0
		.amdhsa_exception_fp_denorm_src 0
		.amdhsa_exception_fp_ieee_div_zero 0
		.amdhsa_exception_fp_ieee_overflow 0
		.amdhsa_exception_fp_ieee_underflow 0
		.amdhsa_exception_fp_ieee_inexact 0
		.amdhsa_exception_int_div_zero 0
	.end_amdhsa_kernel
	.section	.text._ZN7rocprim17ROCPRIM_400000_NS6detail17trampoline_kernelINS0_14default_configENS1_25transform_config_selectorIjLb0EEEZNS1_14transform_implILb0ES3_S5_NS0_18transform_iteratorINS0_17counting_iteratorImlEEZNS1_24adjacent_difference_implIS3_Lb1ELb0EPjN6thrust23THRUST_200600_302600_NS16discard_iteratorINSD_11use_defaultEEENSD_5minusIjEEEE10hipError_tPvRmT2_T3_mT4_P12ihipStream_tbEUlmE_jEESB_NS0_8identityIvEEEESJ_SM_SN_mSO_SQ_bEUlT_E_NS1_11comp_targetILNS1_3genE5ELNS1_11target_archE942ELNS1_3gpuE9ELNS1_3repE0EEENS1_30default_config_static_selectorELNS0_4arch9wavefront6targetE0EEEvT1_,"axG",@progbits,_ZN7rocprim17ROCPRIM_400000_NS6detail17trampoline_kernelINS0_14default_configENS1_25transform_config_selectorIjLb0EEEZNS1_14transform_implILb0ES3_S5_NS0_18transform_iteratorINS0_17counting_iteratorImlEEZNS1_24adjacent_difference_implIS3_Lb1ELb0EPjN6thrust23THRUST_200600_302600_NS16discard_iteratorINSD_11use_defaultEEENSD_5minusIjEEEE10hipError_tPvRmT2_T3_mT4_P12ihipStream_tbEUlmE_jEESB_NS0_8identityIvEEEESJ_SM_SN_mSO_SQ_bEUlT_E_NS1_11comp_targetILNS1_3genE5ELNS1_11target_archE942ELNS1_3gpuE9ELNS1_3repE0EEENS1_30default_config_static_selectorELNS0_4arch9wavefront6targetE0EEEvT1_,comdat
.Lfunc_end825:
	.size	_ZN7rocprim17ROCPRIM_400000_NS6detail17trampoline_kernelINS0_14default_configENS1_25transform_config_selectorIjLb0EEEZNS1_14transform_implILb0ES3_S5_NS0_18transform_iteratorINS0_17counting_iteratorImlEEZNS1_24adjacent_difference_implIS3_Lb1ELb0EPjN6thrust23THRUST_200600_302600_NS16discard_iteratorINSD_11use_defaultEEENSD_5minusIjEEEE10hipError_tPvRmT2_T3_mT4_P12ihipStream_tbEUlmE_jEESB_NS0_8identityIvEEEESJ_SM_SN_mSO_SQ_bEUlT_E_NS1_11comp_targetILNS1_3genE5ELNS1_11target_archE942ELNS1_3gpuE9ELNS1_3repE0EEENS1_30default_config_static_selectorELNS0_4arch9wavefront6targetE0EEEvT1_, .Lfunc_end825-_ZN7rocprim17ROCPRIM_400000_NS6detail17trampoline_kernelINS0_14default_configENS1_25transform_config_selectorIjLb0EEEZNS1_14transform_implILb0ES3_S5_NS0_18transform_iteratorINS0_17counting_iteratorImlEEZNS1_24adjacent_difference_implIS3_Lb1ELb0EPjN6thrust23THRUST_200600_302600_NS16discard_iteratorINSD_11use_defaultEEENSD_5minusIjEEEE10hipError_tPvRmT2_T3_mT4_P12ihipStream_tbEUlmE_jEESB_NS0_8identityIvEEEESJ_SM_SN_mSO_SQ_bEUlT_E_NS1_11comp_targetILNS1_3genE5ELNS1_11target_archE942ELNS1_3gpuE9ELNS1_3repE0EEENS1_30default_config_static_selectorELNS0_4arch9wavefront6targetE0EEEvT1_
                                        ; -- End function
	.section	.AMDGPU.csdata,"",@progbits
; Kernel info:
; codeLenInByte = 0
; NumSgprs: 0
; NumVgprs: 0
; ScratchSize: 0
; MemoryBound: 0
; FloatMode: 240
; IeeeMode: 1
; LDSByteSize: 0 bytes/workgroup (compile time only)
; SGPRBlocks: 0
; VGPRBlocks: 0
; NumSGPRsForWavesPerEU: 1
; NumVGPRsForWavesPerEU: 1
; Occupancy: 16
; WaveLimiterHint : 0
; COMPUTE_PGM_RSRC2:SCRATCH_EN: 0
; COMPUTE_PGM_RSRC2:USER_SGPR: 15
; COMPUTE_PGM_RSRC2:TRAP_HANDLER: 0
; COMPUTE_PGM_RSRC2:TGID_X_EN: 1
; COMPUTE_PGM_RSRC2:TGID_Y_EN: 0
; COMPUTE_PGM_RSRC2:TGID_Z_EN: 0
; COMPUTE_PGM_RSRC2:TIDIG_COMP_CNT: 0
	.section	.text._ZN7rocprim17ROCPRIM_400000_NS6detail17trampoline_kernelINS0_14default_configENS1_25transform_config_selectorIjLb0EEEZNS1_14transform_implILb0ES3_S5_NS0_18transform_iteratorINS0_17counting_iteratorImlEEZNS1_24adjacent_difference_implIS3_Lb1ELb0EPjN6thrust23THRUST_200600_302600_NS16discard_iteratorINSD_11use_defaultEEENSD_5minusIjEEEE10hipError_tPvRmT2_T3_mT4_P12ihipStream_tbEUlmE_jEESB_NS0_8identityIvEEEESJ_SM_SN_mSO_SQ_bEUlT_E_NS1_11comp_targetILNS1_3genE4ELNS1_11target_archE910ELNS1_3gpuE8ELNS1_3repE0EEENS1_30default_config_static_selectorELNS0_4arch9wavefront6targetE0EEEvT1_,"axG",@progbits,_ZN7rocprim17ROCPRIM_400000_NS6detail17trampoline_kernelINS0_14default_configENS1_25transform_config_selectorIjLb0EEEZNS1_14transform_implILb0ES3_S5_NS0_18transform_iteratorINS0_17counting_iteratorImlEEZNS1_24adjacent_difference_implIS3_Lb1ELb0EPjN6thrust23THRUST_200600_302600_NS16discard_iteratorINSD_11use_defaultEEENSD_5minusIjEEEE10hipError_tPvRmT2_T3_mT4_P12ihipStream_tbEUlmE_jEESB_NS0_8identityIvEEEESJ_SM_SN_mSO_SQ_bEUlT_E_NS1_11comp_targetILNS1_3genE4ELNS1_11target_archE910ELNS1_3gpuE8ELNS1_3repE0EEENS1_30default_config_static_selectorELNS0_4arch9wavefront6targetE0EEEvT1_,comdat
	.protected	_ZN7rocprim17ROCPRIM_400000_NS6detail17trampoline_kernelINS0_14default_configENS1_25transform_config_selectorIjLb0EEEZNS1_14transform_implILb0ES3_S5_NS0_18transform_iteratorINS0_17counting_iteratorImlEEZNS1_24adjacent_difference_implIS3_Lb1ELb0EPjN6thrust23THRUST_200600_302600_NS16discard_iteratorINSD_11use_defaultEEENSD_5minusIjEEEE10hipError_tPvRmT2_T3_mT4_P12ihipStream_tbEUlmE_jEESB_NS0_8identityIvEEEESJ_SM_SN_mSO_SQ_bEUlT_E_NS1_11comp_targetILNS1_3genE4ELNS1_11target_archE910ELNS1_3gpuE8ELNS1_3repE0EEENS1_30default_config_static_selectorELNS0_4arch9wavefront6targetE0EEEvT1_ ; -- Begin function _ZN7rocprim17ROCPRIM_400000_NS6detail17trampoline_kernelINS0_14default_configENS1_25transform_config_selectorIjLb0EEEZNS1_14transform_implILb0ES3_S5_NS0_18transform_iteratorINS0_17counting_iteratorImlEEZNS1_24adjacent_difference_implIS3_Lb1ELb0EPjN6thrust23THRUST_200600_302600_NS16discard_iteratorINSD_11use_defaultEEENSD_5minusIjEEEE10hipError_tPvRmT2_T3_mT4_P12ihipStream_tbEUlmE_jEESB_NS0_8identityIvEEEESJ_SM_SN_mSO_SQ_bEUlT_E_NS1_11comp_targetILNS1_3genE4ELNS1_11target_archE910ELNS1_3gpuE8ELNS1_3repE0EEENS1_30default_config_static_selectorELNS0_4arch9wavefront6targetE0EEEvT1_
	.globl	_ZN7rocprim17ROCPRIM_400000_NS6detail17trampoline_kernelINS0_14default_configENS1_25transform_config_selectorIjLb0EEEZNS1_14transform_implILb0ES3_S5_NS0_18transform_iteratorINS0_17counting_iteratorImlEEZNS1_24adjacent_difference_implIS3_Lb1ELb0EPjN6thrust23THRUST_200600_302600_NS16discard_iteratorINSD_11use_defaultEEENSD_5minusIjEEEE10hipError_tPvRmT2_T3_mT4_P12ihipStream_tbEUlmE_jEESB_NS0_8identityIvEEEESJ_SM_SN_mSO_SQ_bEUlT_E_NS1_11comp_targetILNS1_3genE4ELNS1_11target_archE910ELNS1_3gpuE8ELNS1_3repE0EEENS1_30default_config_static_selectorELNS0_4arch9wavefront6targetE0EEEvT1_
	.p2align	8
	.type	_ZN7rocprim17ROCPRIM_400000_NS6detail17trampoline_kernelINS0_14default_configENS1_25transform_config_selectorIjLb0EEEZNS1_14transform_implILb0ES3_S5_NS0_18transform_iteratorINS0_17counting_iteratorImlEEZNS1_24adjacent_difference_implIS3_Lb1ELb0EPjN6thrust23THRUST_200600_302600_NS16discard_iteratorINSD_11use_defaultEEENSD_5minusIjEEEE10hipError_tPvRmT2_T3_mT4_P12ihipStream_tbEUlmE_jEESB_NS0_8identityIvEEEESJ_SM_SN_mSO_SQ_bEUlT_E_NS1_11comp_targetILNS1_3genE4ELNS1_11target_archE910ELNS1_3gpuE8ELNS1_3repE0EEENS1_30default_config_static_selectorELNS0_4arch9wavefront6targetE0EEEvT1_,@function
_ZN7rocprim17ROCPRIM_400000_NS6detail17trampoline_kernelINS0_14default_configENS1_25transform_config_selectorIjLb0EEEZNS1_14transform_implILb0ES3_S5_NS0_18transform_iteratorINS0_17counting_iteratorImlEEZNS1_24adjacent_difference_implIS3_Lb1ELb0EPjN6thrust23THRUST_200600_302600_NS16discard_iteratorINSD_11use_defaultEEENSD_5minusIjEEEE10hipError_tPvRmT2_T3_mT4_P12ihipStream_tbEUlmE_jEESB_NS0_8identityIvEEEESJ_SM_SN_mSO_SQ_bEUlT_E_NS1_11comp_targetILNS1_3genE4ELNS1_11target_archE910ELNS1_3gpuE8ELNS1_3repE0EEENS1_30default_config_static_selectorELNS0_4arch9wavefront6targetE0EEEvT1_: ; @_ZN7rocprim17ROCPRIM_400000_NS6detail17trampoline_kernelINS0_14default_configENS1_25transform_config_selectorIjLb0EEEZNS1_14transform_implILb0ES3_S5_NS0_18transform_iteratorINS0_17counting_iteratorImlEEZNS1_24adjacent_difference_implIS3_Lb1ELb0EPjN6thrust23THRUST_200600_302600_NS16discard_iteratorINSD_11use_defaultEEENSD_5minusIjEEEE10hipError_tPvRmT2_T3_mT4_P12ihipStream_tbEUlmE_jEESB_NS0_8identityIvEEEESJ_SM_SN_mSO_SQ_bEUlT_E_NS1_11comp_targetILNS1_3genE4ELNS1_11target_archE910ELNS1_3gpuE8ELNS1_3repE0EEENS1_30default_config_static_selectorELNS0_4arch9wavefront6targetE0EEEvT1_
; %bb.0:
	.section	.rodata,"a",@progbits
	.p2align	6, 0x0
	.amdhsa_kernel _ZN7rocprim17ROCPRIM_400000_NS6detail17trampoline_kernelINS0_14default_configENS1_25transform_config_selectorIjLb0EEEZNS1_14transform_implILb0ES3_S5_NS0_18transform_iteratorINS0_17counting_iteratorImlEEZNS1_24adjacent_difference_implIS3_Lb1ELb0EPjN6thrust23THRUST_200600_302600_NS16discard_iteratorINSD_11use_defaultEEENSD_5minusIjEEEE10hipError_tPvRmT2_T3_mT4_P12ihipStream_tbEUlmE_jEESB_NS0_8identityIvEEEESJ_SM_SN_mSO_SQ_bEUlT_E_NS1_11comp_targetILNS1_3genE4ELNS1_11target_archE910ELNS1_3gpuE8ELNS1_3repE0EEENS1_30default_config_static_selectorELNS0_4arch9wavefront6targetE0EEEvT1_
		.amdhsa_group_segment_fixed_size 0
		.amdhsa_private_segment_fixed_size 0
		.amdhsa_kernarg_size 56
		.amdhsa_user_sgpr_count 15
		.amdhsa_user_sgpr_dispatch_ptr 0
		.amdhsa_user_sgpr_queue_ptr 0
		.amdhsa_user_sgpr_kernarg_segment_ptr 1
		.amdhsa_user_sgpr_dispatch_id 0
		.amdhsa_user_sgpr_private_segment_size 0
		.amdhsa_wavefront_size32 1
		.amdhsa_uses_dynamic_stack 0
		.amdhsa_enable_private_segment 0
		.amdhsa_system_sgpr_workgroup_id_x 1
		.amdhsa_system_sgpr_workgroup_id_y 0
		.amdhsa_system_sgpr_workgroup_id_z 0
		.amdhsa_system_sgpr_workgroup_info 0
		.amdhsa_system_vgpr_workitem_id 0
		.amdhsa_next_free_vgpr 1
		.amdhsa_next_free_sgpr 1
		.amdhsa_reserve_vcc 0
		.amdhsa_float_round_mode_32 0
		.amdhsa_float_round_mode_16_64 0
		.amdhsa_float_denorm_mode_32 3
		.amdhsa_float_denorm_mode_16_64 3
		.amdhsa_dx10_clamp 1
		.amdhsa_ieee_mode 1
		.amdhsa_fp16_overflow 0
		.amdhsa_workgroup_processor_mode 1
		.amdhsa_memory_ordered 1
		.amdhsa_forward_progress 0
		.amdhsa_shared_vgpr_count 0
		.amdhsa_exception_fp_ieee_invalid_op 0
		.amdhsa_exception_fp_denorm_src 0
		.amdhsa_exception_fp_ieee_div_zero 0
		.amdhsa_exception_fp_ieee_overflow 0
		.amdhsa_exception_fp_ieee_underflow 0
		.amdhsa_exception_fp_ieee_inexact 0
		.amdhsa_exception_int_div_zero 0
	.end_amdhsa_kernel
	.section	.text._ZN7rocprim17ROCPRIM_400000_NS6detail17trampoline_kernelINS0_14default_configENS1_25transform_config_selectorIjLb0EEEZNS1_14transform_implILb0ES3_S5_NS0_18transform_iteratorINS0_17counting_iteratorImlEEZNS1_24adjacent_difference_implIS3_Lb1ELb0EPjN6thrust23THRUST_200600_302600_NS16discard_iteratorINSD_11use_defaultEEENSD_5minusIjEEEE10hipError_tPvRmT2_T3_mT4_P12ihipStream_tbEUlmE_jEESB_NS0_8identityIvEEEESJ_SM_SN_mSO_SQ_bEUlT_E_NS1_11comp_targetILNS1_3genE4ELNS1_11target_archE910ELNS1_3gpuE8ELNS1_3repE0EEENS1_30default_config_static_selectorELNS0_4arch9wavefront6targetE0EEEvT1_,"axG",@progbits,_ZN7rocprim17ROCPRIM_400000_NS6detail17trampoline_kernelINS0_14default_configENS1_25transform_config_selectorIjLb0EEEZNS1_14transform_implILb0ES3_S5_NS0_18transform_iteratorINS0_17counting_iteratorImlEEZNS1_24adjacent_difference_implIS3_Lb1ELb0EPjN6thrust23THRUST_200600_302600_NS16discard_iteratorINSD_11use_defaultEEENSD_5minusIjEEEE10hipError_tPvRmT2_T3_mT4_P12ihipStream_tbEUlmE_jEESB_NS0_8identityIvEEEESJ_SM_SN_mSO_SQ_bEUlT_E_NS1_11comp_targetILNS1_3genE4ELNS1_11target_archE910ELNS1_3gpuE8ELNS1_3repE0EEENS1_30default_config_static_selectorELNS0_4arch9wavefront6targetE0EEEvT1_,comdat
.Lfunc_end826:
	.size	_ZN7rocprim17ROCPRIM_400000_NS6detail17trampoline_kernelINS0_14default_configENS1_25transform_config_selectorIjLb0EEEZNS1_14transform_implILb0ES3_S5_NS0_18transform_iteratorINS0_17counting_iteratorImlEEZNS1_24adjacent_difference_implIS3_Lb1ELb0EPjN6thrust23THRUST_200600_302600_NS16discard_iteratorINSD_11use_defaultEEENSD_5minusIjEEEE10hipError_tPvRmT2_T3_mT4_P12ihipStream_tbEUlmE_jEESB_NS0_8identityIvEEEESJ_SM_SN_mSO_SQ_bEUlT_E_NS1_11comp_targetILNS1_3genE4ELNS1_11target_archE910ELNS1_3gpuE8ELNS1_3repE0EEENS1_30default_config_static_selectorELNS0_4arch9wavefront6targetE0EEEvT1_, .Lfunc_end826-_ZN7rocprim17ROCPRIM_400000_NS6detail17trampoline_kernelINS0_14default_configENS1_25transform_config_selectorIjLb0EEEZNS1_14transform_implILb0ES3_S5_NS0_18transform_iteratorINS0_17counting_iteratorImlEEZNS1_24adjacent_difference_implIS3_Lb1ELb0EPjN6thrust23THRUST_200600_302600_NS16discard_iteratorINSD_11use_defaultEEENSD_5minusIjEEEE10hipError_tPvRmT2_T3_mT4_P12ihipStream_tbEUlmE_jEESB_NS0_8identityIvEEEESJ_SM_SN_mSO_SQ_bEUlT_E_NS1_11comp_targetILNS1_3genE4ELNS1_11target_archE910ELNS1_3gpuE8ELNS1_3repE0EEENS1_30default_config_static_selectorELNS0_4arch9wavefront6targetE0EEEvT1_
                                        ; -- End function
	.section	.AMDGPU.csdata,"",@progbits
; Kernel info:
; codeLenInByte = 0
; NumSgprs: 0
; NumVgprs: 0
; ScratchSize: 0
; MemoryBound: 0
; FloatMode: 240
; IeeeMode: 1
; LDSByteSize: 0 bytes/workgroup (compile time only)
; SGPRBlocks: 0
; VGPRBlocks: 0
; NumSGPRsForWavesPerEU: 1
; NumVGPRsForWavesPerEU: 1
; Occupancy: 16
; WaveLimiterHint : 0
; COMPUTE_PGM_RSRC2:SCRATCH_EN: 0
; COMPUTE_PGM_RSRC2:USER_SGPR: 15
; COMPUTE_PGM_RSRC2:TRAP_HANDLER: 0
; COMPUTE_PGM_RSRC2:TGID_X_EN: 1
; COMPUTE_PGM_RSRC2:TGID_Y_EN: 0
; COMPUTE_PGM_RSRC2:TGID_Z_EN: 0
; COMPUTE_PGM_RSRC2:TIDIG_COMP_CNT: 0
	.section	.text._ZN7rocprim17ROCPRIM_400000_NS6detail17trampoline_kernelINS0_14default_configENS1_25transform_config_selectorIjLb0EEEZNS1_14transform_implILb0ES3_S5_NS0_18transform_iteratorINS0_17counting_iteratorImlEEZNS1_24adjacent_difference_implIS3_Lb1ELb0EPjN6thrust23THRUST_200600_302600_NS16discard_iteratorINSD_11use_defaultEEENSD_5minusIjEEEE10hipError_tPvRmT2_T3_mT4_P12ihipStream_tbEUlmE_jEESB_NS0_8identityIvEEEESJ_SM_SN_mSO_SQ_bEUlT_E_NS1_11comp_targetILNS1_3genE3ELNS1_11target_archE908ELNS1_3gpuE7ELNS1_3repE0EEENS1_30default_config_static_selectorELNS0_4arch9wavefront6targetE0EEEvT1_,"axG",@progbits,_ZN7rocprim17ROCPRIM_400000_NS6detail17trampoline_kernelINS0_14default_configENS1_25transform_config_selectorIjLb0EEEZNS1_14transform_implILb0ES3_S5_NS0_18transform_iteratorINS0_17counting_iteratorImlEEZNS1_24adjacent_difference_implIS3_Lb1ELb0EPjN6thrust23THRUST_200600_302600_NS16discard_iteratorINSD_11use_defaultEEENSD_5minusIjEEEE10hipError_tPvRmT2_T3_mT4_P12ihipStream_tbEUlmE_jEESB_NS0_8identityIvEEEESJ_SM_SN_mSO_SQ_bEUlT_E_NS1_11comp_targetILNS1_3genE3ELNS1_11target_archE908ELNS1_3gpuE7ELNS1_3repE0EEENS1_30default_config_static_selectorELNS0_4arch9wavefront6targetE0EEEvT1_,comdat
	.protected	_ZN7rocprim17ROCPRIM_400000_NS6detail17trampoline_kernelINS0_14default_configENS1_25transform_config_selectorIjLb0EEEZNS1_14transform_implILb0ES3_S5_NS0_18transform_iteratorINS0_17counting_iteratorImlEEZNS1_24adjacent_difference_implIS3_Lb1ELb0EPjN6thrust23THRUST_200600_302600_NS16discard_iteratorINSD_11use_defaultEEENSD_5minusIjEEEE10hipError_tPvRmT2_T3_mT4_P12ihipStream_tbEUlmE_jEESB_NS0_8identityIvEEEESJ_SM_SN_mSO_SQ_bEUlT_E_NS1_11comp_targetILNS1_3genE3ELNS1_11target_archE908ELNS1_3gpuE7ELNS1_3repE0EEENS1_30default_config_static_selectorELNS0_4arch9wavefront6targetE0EEEvT1_ ; -- Begin function _ZN7rocprim17ROCPRIM_400000_NS6detail17trampoline_kernelINS0_14default_configENS1_25transform_config_selectorIjLb0EEEZNS1_14transform_implILb0ES3_S5_NS0_18transform_iteratorINS0_17counting_iteratorImlEEZNS1_24adjacent_difference_implIS3_Lb1ELb0EPjN6thrust23THRUST_200600_302600_NS16discard_iteratorINSD_11use_defaultEEENSD_5minusIjEEEE10hipError_tPvRmT2_T3_mT4_P12ihipStream_tbEUlmE_jEESB_NS0_8identityIvEEEESJ_SM_SN_mSO_SQ_bEUlT_E_NS1_11comp_targetILNS1_3genE3ELNS1_11target_archE908ELNS1_3gpuE7ELNS1_3repE0EEENS1_30default_config_static_selectorELNS0_4arch9wavefront6targetE0EEEvT1_
	.globl	_ZN7rocprim17ROCPRIM_400000_NS6detail17trampoline_kernelINS0_14default_configENS1_25transform_config_selectorIjLb0EEEZNS1_14transform_implILb0ES3_S5_NS0_18transform_iteratorINS0_17counting_iteratorImlEEZNS1_24adjacent_difference_implIS3_Lb1ELb0EPjN6thrust23THRUST_200600_302600_NS16discard_iteratorINSD_11use_defaultEEENSD_5minusIjEEEE10hipError_tPvRmT2_T3_mT4_P12ihipStream_tbEUlmE_jEESB_NS0_8identityIvEEEESJ_SM_SN_mSO_SQ_bEUlT_E_NS1_11comp_targetILNS1_3genE3ELNS1_11target_archE908ELNS1_3gpuE7ELNS1_3repE0EEENS1_30default_config_static_selectorELNS0_4arch9wavefront6targetE0EEEvT1_
	.p2align	8
	.type	_ZN7rocprim17ROCPRIM_400000_NS6detail17trampoline_kernelINS0_14default_configENS1_25transform_config_selectorIjLb0EEEZNS1_14transform_implILb0ES3_S5_NS0_18transform_iteratorINS0_17counting_iteratorImlEEZNS1_24adjacent_difference_implIS3_Lb1ELb0EPjN6thrust23THRUST_200600_302600_NS16discard_iteratorINSD_11use_defaultEEENSD_5minusIjEEEE10hipError_tPvRmT2_T3_mT4_P12ihipStream_tbEUlmE_jEESB_NS0_8identityIvEEEESJ_SM_SN_mSO_SQ_bEUlT_E_NS1_11comp_targetILNS1_3genE3ELNS1_11target_archE908ELNS1_3gpuE7ELNS1_3repE0EEENS1_30default_config_static_selectorELNS0_4arch9wavefront6targetE0EEEvT1_,@function
_ZN7rocprim17ROCPRIM_400000_NS6detail17trampoline_kernelINS0_14default_configENS1_25transform_config_selectorIjLb0EEEZNS1_14transform_implILb0ES3_S5_NS0_18transform_iteratorINS0_17counting_iteratorImlEEZNS1_24adjacent_difference_implIS3_Lb1ELb0EPjN6thrust23THRUST_200600_302600_NS16discard_iteratorINSD_11use_defaultEEENSD_5minusIjEEEE10hipError_tPvRmT2_T3_mT4_P12ihipStream_tbEUlmE_jEESB_NS0_8identityIvEEEESJ_SM_SN_mSO_SQ_bEUlT_E_NS1_11comp_targetILNS1_3genE3ELNS1_11target_archE908ELNS1_3gpuE7ELNS1_3repE0EEENS1_30default_config_static_selectorELNS0_4arch9wavefront6targetE0EEEvT1_: ; @_ZN7rocprim17ROCPRIM_400000_NS6detail17trampoline_kernelINS0_14default_configENS1_25transform_config_selectorIjLb0EEEZNS1_14transform_implILb0ES3_S5_NS0_18transform_iteratorINS0_17counting_iteratorImlEEZNS1_24adjacent_difference_implIS3_Lb1ELb0EPjN6thrust23THRUST_200600_302600_NS16discard_iteratorINSD_11use_defaultEEENSD_5minusIjEEEE10hipError_tPvRmT2_T3_mT4_P12ihipStream_tbEUlmE_jEESB_NS0_8identityIvEEEESJ_SM_SN_mSO_SQ_bEUlT_E_NS1_11comp_targetILNS1_3genE3ELNS1_11target_archE908ELNS1_3gpuE7ELNS1_3repE0EEENS1_30default_config_static_selectorELNS0_4arch9wavefront6targetE0EEEvT1_
; %bb.0:
	.section	.rodata,"a",@progbits
	.p2align	6, 0x0
	.amdhsa_kernel _ZN7rocprim17ROCPRIM_400000_NS6detail17trampoline_kernelINS0_14default_configENS1_25transform_config_selectorIjLb0EEEZNS1_14transform_implILb0ES3_S5_NS0_18transform_iteratorINS0_17counting_iteratorImlEEZNS1_24adjacent_difference_implIS3_Lb1ELb0EPjN6thrust23THRUST_200600_302600_NS16discard_iteratorINSD_11use_defaultEEENSD_5minusIjEEEE10hipError_tPvRmT2_T3_mT4_P12ihipStream_tbEUlmE_jEESB_NS0_8identityIvEEEESJ_SM_SN_mSO_SQ_bEUlT_E_NS1_11comp_targetILNS1_3genE3ELNS1_11target_archE908ELNS1_3gpuE7ELNS1_3repE0EEENS1_30default_config_static_selectorELNS0_4arch9wavefront6targetE0EEEvT1_
		.amdhsa_group_segment_fixed_size 0
		.amdhsa_private_segment_fixed_size 0
		.amdhsa_kernarg_size 56
		.amdhsa_user_sgpr_count 15
		.amdhsa_user_sgpr_dispatch_ptr 0
		.amdhsa_user_sgpr_queue_ptr 0
		.amdhsa_user_sgpr_kernarg_segment_ptr 1
		.amdhsa_user_sgpr_dispatch_id 0
		.amdhsa_user_sgpr_private_segment_size 0
		.amdhsa_wavefront_size32 1
		.amdhsa_uses_dynamic_stack 0
		.amdhsa_enable_private_segment 0
		.amdhsa_system_sgpr_workgroup_id_x 1
		.amdhsa_system_sgpr_workgroup_id_y 0
		.amdhsa_system_sgpr_workgroup_id_z 0
		.amdhsa_system_sgpr_workgroup_info 0
		.amdhsa_system_vgpr_workitem_id 0
		.amdhsa_next_free_vgpr 1
		.amdhsa_next_free_sgpr 1
		.amdhsa_reserve_vcc 0
		.amdhsa_float_round_mode_32 0
		.amdhsa_float_round_mode_16_64 0
		.amdhsa_float_denorm_mode_32 3
		.amdhsa_float_denorm_mode_16_64 3
		.amdhsa_dx10_clamp 1
		.amdhsa_ieee_mode 1
		.amdhsa_fp16_overflow 0
		.amdhsa_workgroup_processor_mode 1
		.amdhsa_memory_ordered 1
		.amdhsa_forward_progress 0
		.amdhsa_shared_vgpr_count 0
		.amdhsa_exception_fp_ieee_invalid_op 0
		.amdhsa_exception_fp_denorm_src 0
		.amdhsa_exception_fp_ieee_div_zero 0
		.amdhsa_exception_fp_ieee_overflow 0
		.amdhsa_exception_fp_ieee_underflow 0
		.amdhsa_exception_fp_ieee_inexact 0
		.amdhsa_exception_int_div_zero 0
	.end_amdhsa_kernel
	.section	.text._ZN7rocprim17ROCPRIM_400000_NS6detail17trampoline_kernelINS0_14default_configENS1_25transform_config_selectorIjLb0EEEZNS1_14transform_implILb0ES3_S5_NS0_18transform_iteratorINS0_17counting_iteratorImlEEZNS1_24adjacent_difference_implIS3_Lb1ELb0EPjN6thrust23THRUST_200600_302600_NS16discard_iteratorINSD_11use_defaultEEENSD_5minusIjEEEE10hipError_tPvRmT2_T3_mT4_P12ihipStream_tbEUlmE_jEESB_NS0_8identityIvEEEESJ_SM_SN_mSO_SQ_bEUlT_E_NS1_11comp_targetILNS1_3genE3ELNS1_11target_archE908ELNS1_3gpuE7ELNS1_3repE0EEENS1_30default_config_static_selectorELNS0_4arch9wavefront6targetE0EEEvT1_,"axG",@progbits,_ZN7rocprim17ROCPRIM_400000_NS6detail17trampoline_kernelINS0_14default_configENS1_25transform_config_selectorIjLb0EEEZNS1_14transform_implILb0ES3_S5_NS0_18transform_iteratorINS0_17counting_iteratorImlEEZNS1_24adjacent_difference_implIS3_Lb1ELb0EPjN6thrust23THRUST_200600_302600_NS16discard_iteratorINSD_11use_defaultEEENSD_5minusIjEEEE10hipError_tPvRmT2_T3_mT4_P12ihipStream_tbEUlmE_jEESB_NS0_8identityIvEEEESJ_SM_SN_mSO_SQ_bEUlT_E_NS1_11comp_targetILNS1_3genE3ELNS1_11target_archE908ELNS1_3gpuE7ELNS1_3repE0EEENS1_30default_config_static_selectorELNS0_4arch9wavefront6targetE0EEEvT1_,comdat
.Lfunc_end827:
	.size	_ZN7rocprim17ROCPRIM_400000_NS6detail17trampoline_kernelINS0_14default_configENS1_25transform_config_selectorIjLb0EEEZNS1_14transform_implILb0ES3_S5_NS0_18transform_iteratorINS0_17counting_iteratorImlEEZNS1_24adjacent_difference_implIS3_Lb1ELb0EPjN6thrust23THRUST_200600_302600_NS16discard_iteratorINSD_11use_defaultEEENSD_5minusIjEEEE10hipError_tPvRmT2_T3_mT4_P12ihipStream_tbEUlmE_jEESB_NS0_8identityIvEEEESJ_SM_SN_mSO_SQ_bEUlT_E_NS1_11comp_targetILNS1_3genE3ELNS1_11target_archE908ELNS1_3gpuE7ELNS1_3repE0EEENS1_30default_config_static_selectorELNS0_4arch9wavefront6targetE0EEEvT1_, .Lfunc_end827-_ZN7rocprim17ROCPRIM_400000_NS6detail17trampoline_kernelINS0_14default_configENS1_25transform_config_selectorIjLb0EEEZNS1_14transform_implILb0ES3_S5_NS0_18transform_iteratorINS0_17counting_iteratorImlEEZNS1_24adjacent_difference_implIS3_Lb1ELb0EPjN6thrust23THRUST_200600_302600_NS16discard_iteratorINSD_11use_defaultEEENSD_5minusIjEEEE10hipError_tPvRmT2_T3_mT4_P12ihipStream_tbEUlmE_jEESB_NS0_8identityIvEEEESJ_SM_SN_mSO_SQ_bEUlT_E_NS1_11comp_targetILNS1_3genE3ELNS1_11target_archE908ELNS1_3gpuE7ELNS1_3repE0EEENS1_30default_config_static_selectorELNS0_4arch9wavefront6targetE0EEEvT1_
                                        ; -- End function
	.section	.AMDGPU.csdata,"",@progbits
; Kernel info:
; codeLenInByte = 0
; NumSgprs: 0
; NumVgprs: 0
; ScratchSize: 0
; MemoryBound: 0
; FloatMode: 240
; IeeeMode: 1
; LDSByteSize: 0 bytes/workgroup (compile time only)
; SGPRBlocks: 0
; VGPRBlocks: 0
; NumSGPRsForWavesPerEU: 1
; NumVGPRsForWavesPerEU: 1
; Occupancy: 16
; WaveLimiterHint : 0
; COMPUTE_PGM_RSRC2:SCRATCH_EN: 0
; COMPUTE_PGM_RSRC2:USER_SGPR: 15
; COMPUTE_PGM_RSRC2:TRAP_HANDLER: 0
; COMPUTE_PGM_RSRC2:TGID_X_EN: 1
; COMPUTE_PGM_RSRC2:TGID_Y_EN: 0
; COMPUTE_PGM_RSRC2:TGID_Z_EN: 0
; COMPUTE_PGM_RSRC2:TIDIG_COMP_CNT: 0
	.section	.text._ZN7rocprim17ROCPRIM_400000_NS6detail17trampoline_kernelINS0_14default_configENS1_25transform_config_selectorIjLb0EEEZNS1_14transform_implILb0ES3_S5_NS0_18transform_iteratorINS0_17counting_iteratorImlEEZNS1_24adjacent_difference_implIS3_Lb1ELb0EPjN6thrust23THRUST_200600_302600_NS16discard_iteratorINSD_11use_defaultEEENSD_5minusIjEEEE10hipError_tPvRmT2_T3_mT4_P12ihipStream_tbEUlmE_jEESB_NS0_8identityIvEEEESJ_SM_SN_mSO_SQ_bEUlT_E_NS1_11comp_targetILNS1_3genE2ELNS1_11target_archE906ELNS1_3gpuE6ELNS1_3repE0EEENS1_30default_config_static_selectorELNS0_4arch9wavefront6targetE0EEEvT1_,"axG",@progbits,_ZN7rocprim17ROCPRIM_400000_NS6detail17trampoline_kernelINS0_14default_configENS1_25transform_config_selectorIjLb0EEEZNS1_14transform_implILb0ES3_S5_NS0_18transform_iteratorINS0_17counting_iteratorImlEEZNS1_24adjacent_difference_implIS3_Lb1ELb0EPjN6thrust23THRUST_200600_302600_NS16discard_iteratorINSD_11use_defaultEEENSD_5minusIjEEEE10hipError_tPvRmT2_T3_mT4_P12ihipStream_tbEUlmE_jEESB_NS0_8identityIvEEEESJ_SM_SN_mSO_SQ_bEUlT_E_NS1_11comp_targetILNS1_3genE2ELNS1_11target_archE906ELNS1_3gpuE6ELNS1_3repE0EEENS1_30default_config_static_selectorELNS0_4arch9wavefront6targetE0EEEvT1_,comdat
	.protected	_ZN7rocprim17ROCPRIM_400000_NS6detail17trampoline_kernelINS0_14default_configENS1_25transform_config_selectorIjLb0EEEZNS1_14transform_implILb0ES3_S5_NS0_18transform_iteratorINS0_17counting_iteratorImlEEZNS1_24adjacent_difference_implIS3_Lb1ELb0EPjN6thrust23THRUST_200600_302600_NS16discard_iteratorINSD_11use_defaultEEENSD_5minusIjEEEE10hipError_tPvRmT2_T3_mT4_P12ihipStream_tbEUlmE_jEESB_NS0_8identityIvEEEESJ_SM_SN_mSO_SQ_bEUlT_E_NS1_11comp_targetILNS1_3genE2ELNS1_11target_archE906ELNS1_3gpuE6ELNS1_3repE0EEENS1_30default_config_static_selectorELNS0_4arch9wavefront6targetE0EEEvT1_ ; -- Begin function _ZN7rocprim17ROCPRIM_400000_NS6detail17trampoline_kernelINS0_14default_configENS1_25transform_config_selectorIjLb0EEEZNS1_14transform_implILb0ES3_S5_NS0_18transform_iteratorINS0_17counting_iteratorImlEEZNS1_24adjacent_difference_implIS3_Lb1ELb0EPjN6thrust23THRUST_200600_302600_NS16discard_iteratorINSD_11use_defaultEEENSD_5minusIjEEEE10hipError_tPvRmT2_T3_mT4_P12ihipStream_tbEUlmE_jEESB_NS0_8identityIvEEEESJ_SM_SN_mSO_SQ_bEUlT_E_NS1_11comp_targetILNS1_3genE2ELNS1_11target_archE906ELNS1_3gpuE6ELNS1_3repE0EEENS1_30default_config_static_selectorELNS0_4arch9wavefront6targetE0EEEvT1_
	.globl	_ZN7rocprim17ROCPRIM_400000_NS6detail17trampoline_kernelINS0_14default_configENS1_25transform_config_selectorIjLb0EEEZNS1_14transform_implILb0ES3_S5_NS0_18transform_iteratorINS0_17counting_iteratorImlEEZNS1_24adjacent_difference_implIS3_Lb1ELb0EPjN6thrust23THRUST_200600_302600_NS16discard_iteratorINSD_11use_defaultEEENSD_5minusIjEEEE10hipError_tPvRmT2_T3_mT4_P12ihipStream_tbEUlmE_jEESB_NS0_8identityIvEEEESJ_SM_SN_mSO_SQ_bEUlT_E_NS1_11comp_targetILNS1_3genE2ELNS1_11target_archE906ELNS1_3gpuE6ELNS1_3repE0EEENS1_30default_config_static_selectorELNS0_4arch9wavefront6targetE0EEEvT1_
	.p2align	8
	.type	_ZN7rocprim17ROCPRIM_400000_NS6detail17trampoline_kernelINS0_14default_configENS1_25transform_config_selectorIjLb0EEEZNS1_14transform_implILb0ES3_S5_NS0_18transform_iteratorINS0_17counting_iteratorImlEEZNS1_24adjacent_difference_implIS3_Lb1ELb0EPjN6thrust23THRUST_200600_302600_NS16discard_iteratorINSD_11use_defaultEEENSD_5minusIjEEEE10hipError_tPvRmT2_T3_mT4_P12ihipStream_tbEUlmE_jEESB_NS0_8identityIvEEEESJ_SM_SN_mSO_SQ_bEUlT_E_NS1_11comp_targetILNS1_3genE2ELNS1_11target_archE906ELNS1_3gpuE6ELNS1_3repE0EEENS1_30default_config_static_selectorELNS0_4arch9wavefront6targetE0EEEvT1_,@function
_ZN7rocprim17ROCPRIM_400000_NS6detail17trampoline_kernelINS0_14default_configENS1_25transform_config_selectorIjLb0EEEZNS1_14transform_implILb0ES3_S5_NS0_18transform_iteratorINS0_17counting_iteratorImlEEZNS1_24adjacent_difference_implIS3_Lb1ELb0EPjN6thrust23THRUST_200600_302600_NS16discard_iteratorINSD_11use_defaultEEENSD_5minusIjEEEE10hipError_tPvRmT2_T3_mT4_P12ihipStream_tbEUlmE_jEESB_NS0_8identityIvEEEESJ_SM_SN_mSO_SQ_bEUlT_E_NS1_11comp_targetILNS1_3genE2ELNS1_11target_archE906ELNS1_3gpuE6ELNS1_3repE0EEENS1_30default_config_static_selectorELNS0_4arch9wavefront6targetE0EEEvT1_: ; @_ZN7rocprim17ROCPRIM_400000_NS6detail17trampoline_kernelINS0_14default_configENS1_25transform_config_selectorIjLb0EEEZNS1_14transform_implILb0ES3_S5_NS0_18transform_iteratorINS0_17counting_iteratorImlEEZNS1_24adjacent_difference_implIS3_Lb1ELb0EPjN6thrust23THRUST_200600_302600_NS16discard_iteratorINSD_11use_defaultEEENSD_5minusIjEEEE10hipError_tPvRmT2_T3_mT4_P12ihipStream_tbEUlmE_jEESB_NS0_8identityIvEEEESJ_SM_SN_mSO_SQ_bEUlT_E_NS1_11comp_targetILNS1_3genE2ELNS1_11target_archE906ELNS1_3gpuE6ELNS1_3repE0EEENS1_30default_config_static_selectorELNS0_4arch9wavefront6targetE0EEEvT1_
; %bb.0:
	.section	.rodata,"a",@progbits
	.p2align	6, 0x0
	.amdhsa_kernel _ZN7rocprim17ROCPRIM_400000_NS6detail17trampoline_kernelINS0_14default_configENS1_25transform_config_selectorIjLb0EEEZNS1_14transform_implILb0ES3_S5_NS0_18transform_iteratorINS0_17counting_iteratorImlEEZNS1_24adjacent_difference_implIS3_Lb1ELb0EPjN6thrust23THRUST_200600_302600_NS16discard_iteratorINSD_11use_defaultEEENSD_5minusIjEEEE10hipError_tPvRmT2_T3_mT4_P12ihipStream_tbEUlmE_jEESB_NS0_8identityIvEEEESJ_SM_SN_mSO_SQ_bEUlT_E_NS1_11comp_targetILNS1_3genE2ELNS1_11target_archE906ELNS1_3gpuE6ELNS1_3repE0EEENS1_30default_config_static_selectorELNS0_4arch9wavefront6targetE0EEEvT1_
		.amdhsa_group_segment_fixed_size 0
		.amdhsa_private_segment_fixed_size 0
		.amdhsa_kernarg_size 56
		.amdhsa_user_sgpr_count 15
		.amdhsa_user_sgpr_dispatch_ptr 0
		.amdhsa_user_sgpr_queue_ptr 0
		.amdhsa_user_sgpr_kernarg_segment_ptr 1
		.amdhsa_user_sgpr_dispatch_id 0
		.amdhsa_user_sgpr_private_segment_size 0
		.amdhsa_wavefront_size32 1
		.amdhsa_uses_dynamic_stack 0
		.amdhsa_enable_private_segment 0
		.amdhsa_system_sgpr_workgroup_id_x 1
		.amdhsa_system_sgpr_workgroup_id_y 0
		.amdhsa_system_sgpr_workgroup_id_z 0
		.amdhsa_system_sgpr_workgroup_info 0
		.amdhsa_system_vgpr_workitem_id 0
		.amdhsa_next_free_vgpr 1
		.amdhsa_next_free_sgpr 1
		.amdhsa_reserve_vcc 0
		.amdhsa_float_round_mode_32 0
		.amdhsa_float_round_mode_16_64 0
		.amdhsa_float_denorm_mode_32 3
		.amdhsa_float_denorm_mode_16_64 3
		.amdhsa_dx10_clamp 1
		.amdhsa_ieee_mode 1
		.amdhsa_fp16_overflow 0
		.amdhsa_workgroup_processor_mode 1
		.amdhsa_memory_ordered 1
		.amdhsa_forward_progress 0
		.amdhsa_shared_vgpr_count 0
		.amdhsa_exception_fp_ieee_invalid_op 0
		.amdhsa_exception_fp_denorm_src 0
		.amdhsa_exception_fp_ieee_div_zero 0
		.amdhsa_exception_fp_ieee_overflow 0
		.amdhsa_exception_fp_ieee_underflow 0
		.amdhsa_exception_fp_ieee_inexact 0
		.amdhsa_exception_int_div_zero 0
	.end_amdhsa_kernel
	.section	.text._ZN7rocprim17ROCPRIM_400000_NS6detail17trampoline_kernelINS0_14default_configENS1_25transform_config_selectorIjLb0EEEZNS1_14transform_implILb0ES3_S5_NS0_18transform_iteratorINS0_17counting_iteratorImlEEZNS1_24adjacent_difference_implIS3_Lb1ELb0EPjN6thrust23THRUST_200600_302600_NS16discard_iteratorINSD_11use_defaultEEENSD_5minusIjEEEE10hipError_tPvRmT2_T3_mT4_P12ihipStream_tbEUlmE_jEESB_NS0_8identityIvEEEESJ_SM_SN_mSO_SQ_bEUlT_E_NS1_11comp_targetILNS1_3genE2ELNS1_11target_archE906ELNS1_3gpuE6ELNS1_3repE0EEENS1_30default_config_static_selectorELNS0_4arch9wavefront6targetE0EEEvT1_,"axG",@progbits,_ZN7rocprim17ROCPRIM_400000_NS6detail17trampoline_kernelINS0_14default_configENS1_25transform_config_selectorIjLb0EEEZNS1_14transform_implILb0ES3_S5_NS0_18transform_iteratorINS0_17counting_iteratorImlEEZNS1_24adjacent_difference_implIS3_Lb1ELb0EPjN6thrust23THRUST_200600_302600_NS16discard_iteratorINSD_11use_defaultEEENSD_5minusIjEEEE10hipError_tPvRmT2_T3_mT4_P12ihipStream_tbEUlmE_jEESB_NS0_8identityIvEEEESJ_SM_SN_mSO_SQ_bEUlT_E_NS1_11comp_targetILNS1_3genE2ELNS1_11target_archE906ELNS1_3gpuE6ELNS1_3repE0EEENS1_30default_config_static_selectorELNS0_4arch9wavefront6targetE0EEEvT1_,comdat
.Lfunc_end828:
	.size	_ZN7rocprim17ROCPRIM_400000_NS6detail17trampoline_kernelINS0_14default_configENS1_25transform_config_selectorIjLb0EEEZNS1_14transform_implILb0ES3_S5_NS0_18transform_iteratorINS0_17counting_iteratorImlEEZNS1_24adjacent_difference_implIS3_Lb1ELb0EPjN6thrust23THRUST_200600_302600_NS16discard_iteratorINSD_11use_defaultEEENSD_5minusIjEEEE10hipError_tPvRmT2_T3_mT4_P12ihipStream_tbEUlmE_jEESB_NS0_8identityIvEEEESJ_SM_SN_mSO_SQ_bEUlT_E_NS1_11comp_targetILNS1_3genE2ELNS1_11target_archE906ELNS1_3gpuE6ELNS1_3repE0EEENS1_30default_config_static_selectorELNS0_4arch9wavefront6targetE0EEEvT1_, .Lfunc_end828-_ZN7rocprim17ROCPRIM_400000_NS6detail17trampoline_kernelINS0_14default_configENS1_25transform_config_selectorIjLb0EEEZNS1_14transform_implILb0ES3_S5_NS0_18transform_iteratorINS0_17counting_iteratorImlEEZNS1_24adjacent_difference_implIS3_Lb1ELb0EPjN6thrust23THRUST_200600_302600_NS16discard_iteratorINSD_11use_defaultEEENSD_5minusIjEEEE10hipError_tPvRmT2_T3_mT4_P12ihipStream_tbEUlmE_jEESB_NS0_8identityIvEEEESJ_SM_SN_mSO_SQ_bEUlT_E_NS1_11comp_targetILNS1_3genE2ELNS1_11target_archE906ELNS1_3gpuE6ELNS1_3repE0EEENS1_30default_config_static_selectorELNS0_4arch9wavefront6targetE0EEEvT1_
                                        ; -- End function
	.section	.AMDGPU.csdata,"",@progbits
; Kernel info:
; codeLenInByte = 0
; NumSgprs: 0
; NumVgprs: 0
; ScratchSize: 0
; MemoryBound: 0
; FloatMode: 240
; IeeeMode: 1
; LDSByteSize: 0 bytes/workgroup (compile time only)
; SGPRBlocks: 0
; VGPRBlocks: 0
; NumSGPRsForWavesPerEU: 1
; NumVGPRsForWavesPerEU: 1
; Occupancy: 16
; WaveLimiterHint : 0
; COMPUTE_PGM_RSRC2:SCRATCH_EN: 0
; COMPUTE_PGM_RSRC2:USER_SGPR: 15
; COMPUTE_PGM_RSRC2:TRAP_HANDLER: 0
; COMPUTE_PGM_RSRC2:TGID_X_EN: 1
; COMPUTE_PGM_RSRC2:TGID_Y_EN: 0
; COMPUTE_PGM_RSRC2:TGID_Z_EN: 0
; COMPUTE_PGM_RSRC2:TIDIG_COMP_CNT: 0
	.section	.text._ZN7rocprim17ROCPRIM_400000_NS6detail17trampoline_kernelINS0_14default_configENS1_25transform_config_selectorIjLb0EEEZNS1_14transform_implILb0ES3_S5_NS0_18transform_iteratorINS0_17counting_iteratorImlEEZNS1_24adjacent_difference_implIS3_Lb1ELb0EPjN6thrust23THRUST_200600_302600_NS16discard_iteratorINSD_11use_defaultEEENSD_5minusIjEEEE10hipError_tPvRmT2_T3_mT4_P12ihipStream_tbEUlmE_jEESB_NS0_8identityIvEEEESJ_SM_SN_mSO_SQ_bEUlT_E_NS1_11comp_targetILNS1_3genE10ELNS1_11target_archE1201ELNS1_3gpuE5ELNS1_3repE0EEENS1_30default_config_static_selectorELNS0_4arch9wavefront6targetE0EEEvT1_,"axG",@progbits,_ZN7rocprim17ROCPRIM_400000_NS6detail17trampoline_kernelINS0_14default_configENS1_25transform_config_selectorIjLb0EEEZNS1_14transform_implILb0ES3_S5_NS0_18transform_iteratorINS0_17counting_iteratorImlEEZNS1_24adjacent_difference_implIS3_Lb1ELb0EPjN6thrust23THRUST_200600_302600_NS16discard_iteratorINSD_11use_defaultEEENSD_5minusIjEEEE10hipError_tPvRmT2_T3_mT4_P12ihipStream_tbEUlmE_jEESB_NS0_8identityIvEEEESJ_SM_SN_mSO_SQ_bEUlT_E_NS1_11comp_targetILNS1_3genE10ELNS1_11target_archE1201ELNS1_3gpuE5ELNS1_3repE0EEENS1_30default_config_static_selectorELNS0_4arch9wavefront6targetE0EEEvT1_,comdat
	.protected	_ZN7rocprim17ROCPRIM_400000_NS6detail17trampoline_kernelINS0_14default_configENS1_25transform_config_selectorIjLb0EEEZNS1_14transform_implILb0ES3_S5_NS0_18transform_iteratorINS0_17counting_iteratorImlEEZNS1_24adjacent_difference_implIS3_Lb1ELb0EPjN6thrust23THRUST_200600_302600_NS16discard_iteratorINSD_11use_defaultEEENSD_5minusIjEEEE10hipError_tPvRmT2_T3_mT4_P12ihipStream_tbEUlmE_jEESB_NS0_8identityIvEEEESJ_SM_SN_mSO_SQ_bEUlT_E_NS1_11comp_targetILNS1_3genE10ELNS1_11target_archE1201ELNS1_3gpuE5ELNS1_3repE0EEENS1_30default_config_static_selectorELNS0_4arch9wavefront6targetE0EEEvT1_ ; -- Begin function _ZN7rocprim17ROCPRIM_400000_NS6detail17trampoline_kernelINS0_14default_configENS1_25transform_config_selectorIjLb0EEEZNS1_14transform_implILb0ES3_S5_NS0_18transform_iteratorINS0_17counting_iteratorImlEEZNS1_24adjacent_difference_implIS3_Lb1ELb0EPjN6thrust23THRUST_200600_302600_NS16discard_iteratorINSD_11use_defaultEEENSD_5minusIjEEEE10hipError_tPvRmT2_T3_mT4_P12ihipStream_tbEUlmE_jEESB_NS0_8identityIvEEEESJ_SM_SN_mSO_SQ_bEUlT_E_NS1_11comp_targetILNS1_3genE10ELNS1_11target_archE1201ELNS1_3gpuE5ELNS1_3repE0EEENS1_30default_config_static_selectorELNS0_4arch9wavefront6targetE0EEEvT1_
	.globl	_ZN7rocprim17ROCPRIM_400000_NS6detail17trampoline_kernelINS0_14default_configENS1_25transform_config_selectorIjLb0EEEZNS1_14transform_implILb0ES3_S5_NS0_18transform_iteratorINS0_17counting_iteratorImlEEZNS1_24adjacent_difference_implIS3_Lb1ELb0EPjN6thrust23THRUST_200600_302600_NS16discard_iteratorINSD_11use_defaultEEENSD_5minusIjEEEE10hipError_tPvRmT2_T3_mT4_P12ihipStream_tbEUlmE_jEESB_NS0_8identityIvEEEESJ_SM_SN_mSO_SQ_bEUlT_E_NS1_11comp_targetILNS1_3genE10ELNS1_11target_archE1201ELNS1_3gpuE5ELNS1_3repE0EEENS1_30default_config_static_selectorELNS0_4arch9wavefront6targetE0EEEvT1_
	.p2align	8
	.type	_ZN7rocprim17ROCPRIM_400000_NS6detail17trampoline_kernelINS0_14default_configENS1_25transform_config_selectorIjLb0EEEZNS1_14transform_implILb0ES3_S5_NS0_18transform_iteratorINS0_17counting_iteratorImlEEZNS1_24adjacent_difference_implIS3_Lb1ELb0EPjN6thrust23THRUST_200600_302600_NS16discard_iteratorINSD_11use_defaultEEENSD_5minusIjEEEE10hipError_tPvRmT2_T3_mT4_P12ihipStream_tbEUlmE_jEESB_NS0_8identityIvEEEESJ_SM_SN_mSO_SQ_bEUlT_E_NS1_11comp_targetILNS1_3genE10ELNS1_11target_archE1201ELNS1_3gpuE5ELNS1_3repE0EEENS1_30default_config_static_selectorELNS0_4arch9wavefront6targetE0EEEvT1_,@function
_ZN7rocprim17ROCPRIM_400000_NS6detail17trampoline_kernelINS0_14default_configENS1_25transform_config_selectorIjLb0EEEZNS1_14transform_implILb0ES3_S5_NS0_18transform_iteratorINS0_17counting_iteratorImlEEZNS1_24adjacent_difference_implIS3_Lb1ELb0EPjN6thrust23THRUST_200600_302600_NS16discard_iteratorINSD_11use_defaultEEENSD_5minusIjEEEE10hipError_tPvRmT2_T3_mT4_P12ihipStream_tbEUlmE_jEESB_NS0_8identityIvEEEESJ_SM_SN_mSO_SQ_bEUlT_E_NS1_11comp_targetILNS1_3genE10ELNS1_11target_archE1201ELNS1_3gpuE5ELNS1_3repE0EEENS1_30default_config_static_selectorELNS0_4arch9wavefront6targetE0EEEvT1_: ; @_ZN7rocprim17ROCPRIM_400000_NS6detail17trampoline_kernelINS0_14default_configENS1_25transform_config_selectorIjLb0EEEZNS1_14transform_implILb0ES3_S5_NS0_18transform_iteratorINS0_17counting_iteratorImlEEZNS1_24adjacent_difference_implIS3_Lb1ELb0EPjN6thrust23THRUST_200600_302600_NS16discard_iteratorINSD_11use_defaultEEENSD_5minusIjEEEE10hipError_tPvRmT2_T3_mT4_P12ihipStream_tbEUlmE_jEESB_NS0_8identityIvEEEESJ_SM_SN_mSO_SQ_bEUlT_E_NS1_11comp_targetILNS1_3genE10ELNS1_11target_archE1201ELNS1_3gpuE5ELNS1_3repE0EEENS1_30default_config_static_selectorELNS0_4arch9wavefront6targetE0EEEvT1_
; %bb.0:
	.section	.rodata,"a",@progbits
	.p2align	6, 0x0
	.amdhsa_kernel _ZN7rocprim17ROCPRIM_400000_NS6detail17trampoline_kernelINS0_14default_configENS1_25transform_config_selectorIjLb0EEEZNS1_14transform_implILb0ES3_S5_NS0_18transform_iteratorINS0_17counting_iteratorImlEEZNS1_24adjacent_difference_implIS3_Lb1ELb0EPjN6thrust23THRUST_200600_302600_NS16discard_iteratorINSD_11use_defaultEEENSD_5minusIjEEEE10hipError_tPvRmT2_T3_mT4_P12ihipStream_tbEUlmE_jEESB_NS0_8identityIvEEEESJ_SM_SN_mSO_SQ_bEUlT_E_NS1_11comp_targetILNS1_3genE10ELNS1_11target_archE1201ELNS1_3gpuE5ELNS1_3repE0EEENS1_30default_config_static_selectorELNS0_4arch9wavefront6targetE0EEEvT1_
		.amdhsa_group_segment_fixed_size 0
		.amdhsa_private_segment_fixed_size 0
		.amdhsa_kernarg_size 56
		.amdhsa_user_sgpr_count 15
		.amdhsa_user_sgpr_dispatch_ptr 0
		.amdhsa_user_sgpr_queue_ptr 0
		.amdhsa_user_sgpr_kernarg_segment_ptr 1
		.amdhsa_user_sgpr_dispatch_id 0
		.amdhsa_user_sgpr_private_segment_size 0
		.amdhsa_wavefront_size32 1
		.amdhsa_uses_dynamic_stack 0
		.amdhsa_enable_private_segment 0
		.amdhsa_system_sgpr_workgroup_id_x 1
		.amdhsa_system_sgpr_workgroup_id_y 0
		.amdhsa_system_sgpr_workgroup_id_z 0
		.amdhsa_system_sgpr_workgroup_info 0
		.amdhsa_system_vgpr_workitem_id 0
		.amdhsa_next_free_vgpr 1
		.amdhsa_next_free_sgpr 1
		.amdhsa_reserve_vcc 0
		.amdhsa_float_round_mode_32 0
		.amdhsa_float_round_mode_16_64 0
		.amdhsa_float_denorm_mode_32 3
		.amdhsa_float_denorm_mode_16_64 3
		.amdhsa_dx10_clamp 1
		.amdhsa_ieee_mode 1
		.amdhsa_fp16_overflow 0
		.amdhsa_workgroup_processor_mode 1
		.amdhsa_memory_ordered 1
		.amdhsa_forward_progress 0
		.amdhsa_shared_vgpr_count 0
		.amdhsa_exception_fp_ieee_invalid_op 0
		.amdhsa_exception_fp_denorm_src 0
		.amdhsa_exception_fp_ieee_div_zero 0
		.amdhsa_exception_fp_ieee_overflow 0
		.amdhsa_exception_fp_ieee_underflow 0
		.amdhsa_exception_fp_ieee_inexact 0
		.amdhsa_exception_int_div_zero 0
	.end_amdhsa_kernel
	.section	.text._ZN7rocprim17ROCPRIM_400000_NS6detail17trampoline_kernelINS0_14default_configENS1_25transform_config_selectorIjLb0EEEZNS1_14transform_implILb0ES3_S5_NS0_18transform_iteratorINS0_17counting_iteratorImlEEZNS1_24adjacent_difference_implIS3_Lb1ELb0EPjN6thrust23THRUST_200600_302600_NS16discard_iteratorINSD_11use_defaultEEENSD_5minusIjEEEE10hipError_tPvRmT2_T3_mT4_P12ihipStream_tbEUlmE_jEESB_NS0_8identityIvEEEESJ_SM_SN_mSO_SQ_bEUlT_E_NS1_11comp_targetILNS1_3genE10ELNS1_11target_archE1201ELNS1_3gpuE5ELNS1_3repE0EEENS1_30default_config_static_selectorELNS0_4arch9wavefront6targetE0EEEvT1_,"axG",@progbits,_ZN7rocprim17ROCPRIM_400000_NS6detail17trampoline_kernelINS0_14default_configENS1_25transform_config_selectorIjLb0EEEZNS1_14transform_implILb0ES3_S5_NS0_18transform_iteratorINS0_17counting_iteratorImlEEZNS1_24adjacent_difference_implIS3_Lb1ELb0EPjN6thrust23THRUST_200600_302600_NS16discard_iteratorINSD_11use_defaultEEENSD_5minusIjEEEE10hipError_tPvRmT2_T3_mT4_P12ihipStream_tbEUlmE_jEESB_NS0_8identityIvEEEESJ_SM_SN_mSO_SQ_bEUlT_E_NS1_11comp_targetILNS1_3genE10ELNS1_11target_archE1201ELNS1_3gpuE5ELNS1_3repE0EEENS1_30default_config_static_selectorELNS0_4arch9wavefront6targetE0EEEvT1_,comdat
.Lfunc_end829:
	.size	_ZN7rocprim17ROCPRIM_400000_NS6detail17trampoline_kernelINS0_14default_configENS1_25transform_config_selectorIjLb0EEEZNS1_14transform_implILb0ES3_S5_NS0_18transform_iteratorINS0_17counting_iteratorImlEEZNS1_24adjacent_difference_implIS3_Lb1ELb0EPjN6thrust23THRUST_200600_302600_NS16discard_iteratorINSD_11use_defaultEEENSD_5minusIjEEEE10hipError_tPvRmT2_T3_mT4_P12ihipStream_tbEUlmE_jEESB_NS0_8identityIvEEEESJ_SM_SN_mSO_SQ_bEUlT_E_NS1_11comp_targetILNS1_3genE10ELNS1_11target_archE1201ELNS1_3gpuE5ELNS1_3repE0EEENS1_30default_config_static_selectorELNS0_4arch9wavefront6targetE0EEEvT1_, .Lfunc_end829-_ZN7rocprim17ROCPRIM_400000_NS6detail17trampoline_kernelINS0_14default_configENS1_25transform_config_selectorIjLb0EEEZNS1_14transform_implILb0ES3_S5_NS0_18transform_iteratorINS0_17counting_iteratorImlEEZNS1_24adjacent_difference_implIS3_Lb1ELb0EPjN6thrust23THRUST_200600_302600_NS16discard_iteratorINSD_11use_defaultEEENSD_5minusIjEEEE10hipError_tPvRmT2_T3_mT4_P12ihipStream_tbEUlmE_jEESB_NS0_8identityIvEEEESJ_SM_SN_mSO_SQ_bEUlT_E_NS1_11comp_targetILNS1_3genE10ELNS1_11target_archE1201ELNS1_3gpuE5ELNS1_3repE0EEENS1_30default_config_static_selectorELNS0_4arch9wavefront6targetE0EEEvT1_
                                        ; -- End function
	.section	.AMDGPU.csdata,"",@progbits
; Kernel info:
; codeLenInByte = 0
; NumSgprs: 0
; NumVgprs: 0
; ScratchSize: 0
; MemoryBound: 0
; FloatMode: 240
; IeeeMode: 1
; LDSByteSize: 0 bytes/workgroup (compile time only)
; SGPRBlocks: 0
; VGPRBlocks: 0
; NumSGPRsForWavesPerEU: 1
; NumVGPRsForWavesPerEU: 1
; Occupancy: 16
; WaveLimiterHint : 0
; COMPUTE_PGM_RSRC2:SCRATCH_EN: 0
; COMPUTE_PGM_RSRC2:USER_SGPR: 15
; COMPUTE_PGM_RSRC2:TRAP_HANDLER: 0
; COMPUTE_PGM_RSRC2:TGID_X_EN: 1
; COMPUTE_PGM_RSRC2:TGID_Y_EN: 0
; COMPUTE_PGM_RSRC2:TGID_Z_EN: 0
; COMPUTE_PGM_RSRC2:TIDIG_COMP_CNT: 0
	.section	.text._ZN7rocprim17ROCPRIM_400000_NS6detail17trampoline_kernelINS0_14default_configENS1_25transform_config_selectorIjLb0EEEZNS1_14transform_implILb0ES3_S5_NS0_18transform_iteratorINS0_17counting_iteratorImlEEZNS1_24adjacent_difference_implIS3_Lb1ELb0EPjN6thrust23THRUST_200600_302600_NS16discard_iteratorINSD_11use_defaultEEENSD_5minusIjEEEE10hipError_tPvRmT2_T3_mT4_P12ihipStream_tbEUlmE_jEESB_NS0_8identityIvEEEESJ_SM_SN_mSO_SQ_bEUlT_E_NS1_11comp_targetILNS1_3genE10ELNS1_11target_archE1200ELNS1_3gpuE4ELNS1_3repE0EEENS1_30default_config_static_selectorELNS0_4arch9wavefront6targetE0EEEvT1_,"axG",@progbits,_ZN7rocprim17ROCPRIM_400000_NS6detail17trampoline_kernelINS0_14default_configENS1_25transform_config_selectorIjLb0EEEZNS1_14transform_implILb0ES3_S5_NS0_18transform_iteratorINS0_17counting_iteratorImlEEZNS1_24adjacent_difference_implIS3_Lb1ELb0EPjN6thrust23THRUST_200600_302600_NS16discard_iteratorINSD_11use_defaultEEENSD_5minusIjEEEE10hipError_tPvRmT2_T3_mT4_P12ihipStream_tbEUlmE_jEESB_NS0_8identityIvEEEESJ_SM_SN_mSO_SQ_bEUlT_E_NS1_11comp_targetILNS1_3genE10ELNS1_11target_archE1200ELNS1_3gpuE4ELNS1_3repE0EEENS1_30default_config_static_selectorELNS0_4arch9wavefront6targetE0EEEvT1_,comdat
	.protected	_ZN7rocprim17ROCPRIM_400000_NS6detail17trampoline_kernelINS0_14default_configENS1_25transform_config_selectorIjLb0EEEZNS1_14transform_implILb0ES3_S5_NS0_18transform_iteratorINS0_17counting_iteratorImlEEZNS1_24adjacent_difference_implIS3_Lb1ELb0EPjN6thrust23THRUST_200600_302600_NS16discard_iteratorINSD_11use_defaultEEENSD_5minusIjEEEE10hipError_tPvRmT2_T3_mT4_P12ihipStream_tbEUlmE_jEESB_NS0_8identityIvEEEESJ_SM_SN_mSO_SQ_bEUlT_E_NS1_11comp_targetILNS1_3genE10ELNS1_11target_archE1200ELNS1_3gpuE4ELNS1_3repE0EEENS1_30default_config_static_selectorELNS0_4arch9wavefront6targetE0EEEvT1_ ; -- Begin function _ZN7rocprim17ROCPRIM_400000_NS6detail17trampoline_kernelINS0_14default_configENS1_25transform_config_selectorIjLb0EEEZNS1_14transform_implILb0ES3_S5_NS0_18transform_iteratorINS0_17counting_iteratorImlEEZNS1_24adjacent_difference_implIS3_Lb1ELb0EPjN6thrust23THRUST_200600_302600_NS16discard_iteratorINSD_11use_defaultEEENSD_5minusIjEEEE10hipError_tPvRmT2_T3_mT4_P12ihipStream_tbEUlmE_jEESB_NS0_8identityIvEEEESJ_SM_SN_mSO_SQ_bEUlT_E_NS1_11comp_targetILNS1_3genE10ELNS1_11target_archE1200ELNS1_3gpuE4ELNS1_3repE0EEENS1_30default_config_static_selectorELNS0_4arch9wavefront6targetE0EEEvT1_
	.globl	_ZN7rocprim17ROCPRIM_400000_NS6detail17trampoline_kernelINS0_14default_configENS1_25transform_config_selectorIjLb0EEEZNS1_14transform_implILb0ES3_S5_NS0_18transform_iteratorINS0_17counting_iteratorImlEEZNS1_24adjacent_difference_implIS3_Lb1ELb0EPjN6thrust23THRUST_200600_302600_NS16discard_iteratorINSD_11use_defaultEEENSD_5minusIjEEEE10hipError_tPvRmT2_T3_mT4_P12ihipStream_tbEUlmE_jEESB_NS0_8identityIvEEEESJ_SM_SN_mSO_SQ_bEUlT_E_NS1_11comp_targetILNS1_3genE10ELNS1_11target_archE1200ELNS1_3gpuE4ELNS1_3repE0EEENS1_30default_config_static_selectorELNS0_4arch9wavefront6targetE0EEEvT1_
	.p2align	8
	.type	_ZN7rocprim17ROCPRIM_400000_NS6detail17trampoline_kernelINS0_14default_configENS1_25transform_config_selectorIjLb0EEEZNS1_14transform_implILb0ES3_S5_NS0_18transform_iteratorINS0_17counting_iteratorImlEEZNS1_24adjacent_difference_implIS3_Lb1ELb0EPjN6thrust23THRUST_200600_302600_NS16discard_iteratorINSD_11use_defaultEEENSD_5minusIjEEEE10hipError_tPvRmT2_T3_mT4_P12ihipStream_tbEUlmE_jEESB_NS0_8identityIvEEEESJ_SM_SN_mSO_SQ_bEUlT_E_NS1_11comp_targetILNS1_3genE10ELNS1_11target_archE1200ELNS1_3gpuE4ELNS1_3repE0EEENS1_30default_config_static_selectorELNS0_4arch9wavefront6targetE0EEEvT1_,@function
_ZN7rocprim17ROCPRIM_400000_NS6detail17trampoline_kernelINS0_14default_configENS1_25transform_config_selectorIjLb0EEEZNS1_14transform_implILb0ES3_S5_NS0_18transform_iteratorINS0_17counting_iteratorImlEEZNS1_24adjacent_difference_implIS3_Lb1ELb0EPjN6thrust23THRUST_200600_302600_NS16discard_iteratorINSD_11use_defaultEEENSD_5minusIjEEEE10hipError_tPvRmT2_T3_mT4_P12ihipStream_tbEUlmE_jEESB_NS0_8identityIvEEEESJ_SM_SN_mSO_SQ_bEUlT_E_NS1_11comp_targetILNS1_3genE10ELNS1_11target_archE1200ELNS1_3gpuE4ELNS1_3repE0EEENS1_30default_config_static_selectorELNS0_4arch9wavefront6targetE0EEEvT1_: ; @_ZN7rocprim17ROCPRIM_400000_NS6detail17trampoline_kernelINS0_14default_configENS1_25transform_config_selectorIjLb0EEEZNS1_14transform_implILb0ES3_S5_NS0_18transform_iteratorINS0_17counting_iteratorImlEEZNS1_24adjacent_difference_implIS3_Lb1ELb0EPjN6thrust23THRUST_200600_302600_NS16discard_iteratorINSD_11use_defaultEEENSD_5minusIjEEEE10hipError_tPvRmT2_T3_mT4_P12ihipStream_tbEUlmE_jEESB_NS0_8identityIvEEEESJ_SM_SN_mSO_SQ_bEUlT_E_NS1_11comp_targetILNS1_3genE10ELNS1_11target_archE1200ELNS1_3gpuE4ELNS1_3repE0EEENS1_30default_config_static_selectorELNS0_4arch9wavefront6targetE0EEEvT1_
; %bb.0:
	.section	.rodata,"a",@progbits
	.p2align	6, 0x0
	.amdhsa_kernel _ZN7rocprim17ROCPRIM_400000_NS6detail17trampoline_kernelINS0_14default_configENS1_25transform_config_selectorIjLb0EEEZNS1_14transform_implILb0ES3_S5_NS0_18transform_iteratorINS0_17counting_iteratorImlEEZNS1_24adjacent_difference_implIS3_Lb1ELb0EPjN6thrust23THRUST_200600_302600_NS16discard_iteratorINSD_11use_defaultEEENSD_5minusIjEEEE10hipError_tPvRmT2_T3_mT4_P12ihipStream_tbEUlmE_jEESB_NS0_8identityIvEEEESJ_SM_SN_mSO_SQ_bEUlT_E_NS1_11comp_targetILNS1_3genE10ELNS1_11target_archE1200ELNS1_3gpuE4ELNS1_3repE0EEENS1_30default_config_static_selectorELNS0_4arch9wavefront6targetE0EEEvT1_
		.amdhsa_group_segment_fixed_size 0
		.amdhsa_private_segment_fixed_size 0
		.amdhsa_kernarg_size 56
		.amdhsa_user_sgpr_count 15
		.amdhsa_user_sgpr_dispatch_ptr 0
		.amdhsa_user_sgpr_queue_ptr 0
		.amdhsa_user_sgpr_kernarg_segment_ptr 1
		.amdhsa_user_sgpr_dispatch_id 0
		.amdhsa_user_sgpr_private_segment_size 0
		.amdhsa_wavefront_size32 1
		.amdhsa_uses_dynamic_stack 0
		.amdhsa_enable_private_segment 0
		.amdhsa_system_sgpr_workgroup_id_x 1
		.amdhsa_system_sgpr_workgroup_id_y 0
		.amdhsa_system_sgpr_workgroup_id_z 0
		.amdhsa_system_sgpr_workgroup_info 0
		.amdhsa_system_vgpr_workitem_id 0
		.amdhsa_next_free_vgpr 1
		.amdhsa_next_free_sgpr 1
		.amdhsa_reserve_vcc 0
		.amdhsa_float_round_mode_32 0
		.amdhsa_float_round_mode_16_64 0
		.amdhsa_float_denorm_mode_32 3
		.amdhsa_float_denorm_mode_16_64 3
		.amdhsa_dx10_clamp 1
		.amdhsa_ieee_mode 1
		.amdhsa_fp16_overflow 0
		.amdhsa_workgroup_processor_mode 1
		.amdhsa_memory_ordered 1
		.amdhsa_forward_progress 0
		.amdhsa_shared_vgpr_count 0
		.amdhsa_exception_fp_ieee_invalid_op 0
		.amdhsa_exception_fp_denorm_src 0
		.amdhsa_exception_fp_ieee_div_zero 0
		.amdhsa_exception_fp_ieee_overflow 0
		.amdhsa_exception_fp_ieee_underflow 0
		.amdhsa_exception_fp_ieee_inexact 0
		.amdhsa_exception_int_div_zero 0
	.end_amdhsa_kernel
	.section	.text._ZN7rocprim17ROCPRIM_400000_NS6detail17trampoline_kernelINS0_14default_configENS1_25transform_config_selectorIjLb0EEEZNS1_14transform_implILb0ES3_S5_NS0_18transform_iteratorINS0_17counting_iteratorImlEEZNS1_24adjacent_difference_implIS3_Lb1ELb0EPjN6thrust23THRUST_200600_302600_NS16discard_iteratorINSD_11use_defaultEEENSD_5minusIjEEEE10hipError_tPvRmT2_T3_mT4_P12ihipStream_tbEUlmE_jEESB_NS0_8identityIvEEEESJ_SM_SN_mSO_SQ_bEUlT_E_NS1_11comp_targetILNS1_3genE10ELNS1_11target_archE1200ELNS1_3gpuE4ELNS1_3repE0EEENS1_30default_config_static_selectorELNS0_4arch9wavefront6targetE0EEEvT1_,"axG",@progbits,_ZN7rocprim17ROCPRIM_400000_NS6detail17trampoline_kernelINS0_14default_configENS1_25transform_config_selectorIjLb0EEEZNS1_14transform_implILb0ES3_S5_NS0_18transform_iteratorINS0_17counting_iteratorImlEEZNS1_24adjacent_difference_implIS3_Lb1ELb0EPjN6thrust23THRUST_200600_302600_NS16discard_iteratorINSD_11use_defaultEEENSD_5minusIjEEEE10hipError_tPvRmT2_T3_mT4_P12ihipStream_tbEUlmE_jEESB_NS0_8identityIvEEEESJ_SM_SN_mSO_SQ_bEUlT_E_NS1_11comp_targetILNS1_3genE10ELNS1_11target_archE1200ELNS1_3gpuE4ELNS1_3repE0EEENS1_30default_config_static_selectorELNS0_4arch9wavefront6targetE0EEEvT1_,comdat
.Lfunc_end830:
	.size	_ZN7rocprim17ROCPRIM_400000_NS6detail17trampoline_kernelINS0_14default_configENS1_25transform_config_selectorIjLb0EEEZNS1_14transform_implILb0ES3_S5_NS0_18transform_iteratorINS0_17counting_iteratorImlEEZNS1_24adjacent_difference_implIS3_Lb1ELb0EPjN6thrust23THRUST_200600_302600_NS16discard_iteratorINSD_11use_defaultEEENSD_5minusIjEEEE10hipError_tPvRmT2_T3_mT4_P12ihipStream_tbEUlmE_jEESB_NS0_8identityIvEEEESJ_SM_SN_mSO_SQ_bEUlT_E_NS1_11comp_targetILNS1_3genE10ELNS1_11target_archE1200ELNS1_3gpuE4ELNS1_3repE0EEENS1_30default_config_static_selectorELNS0_4arch9wavefront6targetE0EEEvT1_, .Lfunc_end830-_ZN7rocprim17ROCPRIM_400000_NS6detail17trampoline_kernelINS0_14default_configENS1_25transform_config_selectorIjLb0EEEZNS1_14transform_implILb0ES3_S5_NS0_18transform_iteratorINS0_17counting_iteratorImlEEZNS1_24adjacent_difference_implIS3_Lb1ELb0EPjN6thrust23THRUST_200600_302600_NS16discard_iteratorINSD_11use_defaultEEENSD_5minusIjEEEE10hipError_tPvRmT2_T3_mT4_P12ihipStream_tbEUlmE_jEESB_NS0_8identityIvEEEESJ_SM_SN_mSO_SQ_bEUlT_E_NS1_11comp_targetILNS1_3genE10ELNS1_11target_archE1200ELNS1_3gpuE4ELNS1_3repE0EEENS1_30default_config_static_selectorELNS0_4arch9wavefront6targetE0EEEvT1_
                                        ; -- End function
	.section	.AMDGPU.csdata,"",@progbits
; Kernel info:
; codeLenInByte = 0
; NumSgprs: 0
; NumVgprs: 0
; ScratchSize: 0
; MemoryBound: 0
; FloatMode: 240
; IeeeMode: 1
; LDSByteSize: 0 bytes/workgroup (compile time only)
; SGPRBlocks: 0
; VGPRBlocks: 0
; NumSGPRsForWavesPerEU: 1
; NumVGPRsForWavesPerEU: 1
; Occupancy: 16
; WaveLimiterHint : 0
; COMPUTE_PGM_RSRC2:SCRATCH_EN: 0
; COMPUTE_PGM_RSRC2:USER_SGPR: 15
; COMPUTE_PGM_RSRC2:TRAP_HANDLER: 0
; COMPUTE_PGM_RSRC2:TGID_X_EN: 1
; COMPUTE_PGM_RSRC2:TGID_Y_EN: 0
; COMPUTE_PGM_RSRC2:TGID_Z_EN: 0
; COMPUTE_PGM_RSRC2:TIDIG_COMP_CNT: 0
	.section	.text._ZN7rocprim17ROCPRIM_400000_NS6detail17trampoline_kernelINS0_14default_configENS1_25transform_config_selectorIjLb0EEEZNS1_14transform_implILb0ES3_S5_NS0_18transform_iteratorINS0_17counting_iteratorImlEEZNS1_24adjacent_difference_implIS3_Lb1ELb0EPjN6thrust23THRUST_200600_302600_NS16discard_iteratorINSD_11use_defaultEEENSD_5minusIjEEEE10hipError_tPvRmT2_T3_mT4_P12ihipStream_tbEUlmE_jEESB_NS0_8identityIvEEEESJ_SM_SN_mSO_SQ_bEUlT_E_NS1_11comp_targetILNS1_3genE9ELNS1_11target_archE1100ELNS1_3gpuE3ELNS1_3repE0EEENS1_30default_config_static_selectorELNS0_4arch9wavefront6targetE0EEEvT1_,"axG",@progbits,_ZN7rocprim17ROCPRIM_400000_NS6detail17trampoline_kernelINS0_14default_configENS1_25transform_config_selectorIjLb0EEEZNS1_14transform_implILb0ES3_S5_NS0_18transform_iteratorINS0_17counting_iteratorImlEEZNS1_24adjacent_difference_implIS3_Lb1ELb0EPjN6thrust23THRUST_200600_302600_NS16discard_iteratorINSD_11use_defaultEEENSD_5minusIjEEEE10hipError_tPvRmT2_T3_mT4_P12ihipStream_tbEUlmE_jEESB_NS0_8identityIvEEEESJ_SM_SN_mSO_SQ_bEUlT_E_NS1_11comp_targetILNS1_3genE9ELNS1_11target_archE1100ELNS1_3gpuE3ELNS1_3repE0EEENS1_30default_config_static_selectorELNS0_4arch9wavefront6targetE0EEEvT1_,comdat
	.protected	_ZN7rocprim17ROCPRIM_400000_NS6detail17trampoline_kernelINS0_14default_configENS1_25transform_config_selectorIjLb0EEEZNS1_14transform_implILb0ES3_S5_NS0_18transform_iteratorINS0_17counting_iteratorImlEEZNS1_24adjacent_difference_implIS3_Lb1ELb0EPjN6thrust23THRUST_200600_302600_NS16discard_iteratorINSD_11use_defaultEEENSD_5minusIjEEEE10hipError_tPvRmT2_T3_mT4_P12ihipStream_tbEUlmE_jEESB_NS0_8identityIvEEEESJ_SM_SN_mSO_SQ_bEUlT_E_NS1_11comp_targetILNS1_3genE9ELNS1_11target_archE1100ELNS1_3gpuE3ELNS1_3repE0EEENS1_30default_config_static_selectorELNS0_4arch9wavefront6targetE0EEEvT1_ ; -- Begin function _ZN7rocprim17ROCPRIM_400000_NS6detail17trampoline_kernelINS0_14default_configENS1_25transform_config_selectorIjLb0EEEZNS1_14transform_implILb0ES3_S5_NS0_18transform_iteratorINS0_17counting_iteratorImlEEZNS1_24adjacent_difference_implIS3_Lb1ELb0EPjN6thrust23THRUST_200600_302600_NS16discard_iteratorINSD_11use_defaultEEENSD_5minusIjEEEE10hipError_tPvRmT2_T3_mT4_P12ihipStream_tbEUlmE_jEESB_NS0_8identityIvEEEESJ_SM_SN_mSO_SQ_bEUlT_E_NS1_11comp_targetILNS1_3genE9ELNS1_11target_archE1100ELNS1_3gpuE3ELNS1_3repE0EEENS1_30default_config_static_selectorELNS0_4arch9wavefront6targetE0EEEvT1_
	.globl	_ZN7rocprim17ROCPRIM_400000_NS6detail17trampoline_kernelINS0_14default_configENS1_25transform_config_selectorIjLb0EEEZNS1_14transform_implILb0ES3_S5_NS0_18transform_iteratorINS0_17counting_iteratorImlEEZNS1_24adjacent_difference_implIS3_Lb1ELb0EPjN6thrust23THRUST_200600_302600_NS16discard_iteratorINSD_11use_defaultEEENSD_5minusIjEEEE10hipError_tPvRmT2_T3_mT4_P12ihipStream_tbEUlmE_jEESB_NS0_8identityIvEEEESJ_SM_SN_mSO_SQ_bEUlT_E_NS1_11comp_targetILNS1_3genE9ELNS1_11target_archE1100ELNS1_3gpuE3ELNS1_3repE0EEENS1_30default_config_static_selectorELNS0_4arch9wavefront6targetE0EEEvT1_
	.p2align	8
	.type	_ZN7rocprim17ROCPRIM_400000_NS6detail17trampoline_kernelINS0_14default_configENS1_25transform_config_selectorIjLb0EEEZNS1_14transform_implILb0ES3_S5_NS0_18transform_iteratorINS0_17counting_iteratorImlEEZNS1_24adjacent_difference_implIS3_Lb1ELb0EPjN6thrust23THRUST_200600_302600_NS16discard_iteratorINSD_11use_defaultEEENSD_5minusIjEEEE10hipError_tPvRmT2_T3_mT4_P12ihipStream_tbEUlmE_jEESB_NS0_8identityIvEEEESJ_SM_SN_mSO_SQ_bEUlT_E_NS1_11comp_targetILNS1_3genE9ELNS1_11target_archE1100ELNS1_3gpuE3ELNS1_3repE0EEENS1_30default_config_static_selectorELNS0_4arch9wavefront6targetE0EEEvT1_,@function
_ZN7rocprim17ROCPRIM_400000_NS6detail17trampoline_kernelINS0_14default_configENS1_25transform_config_selectorIjLb0EEEZNS1_14transform_implILb0ES3_S5_NS0_18transform_iteratorINS0_17counting_iteratorImlEEZNS1_24adjacent_difference_implIS3_Lb1ELb0EPjN6thrust23THRUST_200600_302600_NS16discard_iteratorINSD_11use_defaultEEENSD_5minusIjEEEE10hipError_tPvRmT2_T3_mT4_P12ihipStream_tbEUlmE_jEESB_NS0_8identityIvEEEESJ_SM_SN_mSO_SQ_bEUlT_E_NS1_11comp_targetILNS1_3genE9ELNS1_11target_archE1100ELNS1_3gpuE3ELNS1_3repE0EEENS1_30default_config_static_selectorELNS0_4arch9wavefront6targetE0EEEvT1_: ; @_ZN7rocprim17ROCPRIM_400000_NS6detail17trampoline_kernelINS0_14default_configENS1_25transform_config_selectorIjLb0EEEZNS1_14transform_implILb0ES3_S5_NS0_18transform_iteratorINS0_17counting_iteratorImlEEZNS1_24adjacent_difference_implIS3_Lb1ELb0EPjN6thrust23THRUST_200600_302600_NS16discard_iteratorINSD_11use_defaultEEENSD_5minusIjEEEE10hipError_tPvRmT2_T3_mT4_P12ihipStream_tbEUlmE_jEESB_NS0_8identityIvEEEESJ_SM_SN_mSO_SQ_bEUlT_E_NS1_11comp_targetILNS1_3genE9ELNS1_11target_archE1100ELNS1_3gpuE3ELNS1_3repE0EEENS1_30default_config_static_selectorELNS0_4arch9wavefront6targetE0EEEvT1_
; %bb.0:
	s_clause 0x4
	s_load_b128 s[4:7], s[0:1], 0x0
	s_load_b64 s[2:3], s[0:1], 0x18
	s_load_b64 s[12:13], s[0:1], 0x28
	s_load_b32 s11, s[0:1], 0x38
	s_load_b32 s8, s[0:1], 0x10
	s_waitcnt lgkmcnt(0)
	s_add_u32 s9, s2, s4
	s_addc_u32 s10, s3, s5
	s_lshl_b64 s[2:3], s[2:3], 2
	s_delay_alu instid0(SALU_CYCLE_1)
	s_add_u32 s4, s12, s2
	s_addc_u32 s5, s13, s3
	s_add_i32 s11, s11, -1
	s_lshl_b32 s2, s15, 6
	s_mov_b32 s3, 0
	s_cmp_lg_u32 s15, s11
	s_mov_b32 s11, -1
	s_cbranch_scc0 .LBB831_2
; %bb.1:
	s_add_u32 s11, s9, s2
	s_addc_u32 s12, s10, 0
	v_add_co_u32 v3, s11, s11, v0
	s_delay_alu instid0(VALU_DEP_1) | instskip(SKIP_1) | instid1(VALU_DEP_2)
	v_add_co_ci_u32_e64 v5, null, s12, 0, s11
	s_lshl_b64 s[12:13], s[2:3], 2
	v_mad_u64_u32 v[1:2], null, v3, s8, 0
	s_add_u32 s12, s4, s12
	s_addc_u32 s13, s5, s13
	s_mov_b32 s11, s3
	s_delay_alu instid0(VALU_DEP_1) | instskip(NEXT) | instid1(VALU_DEP_1)
	v_mad_u64_u32 v[3:4], null, v5, s8, v[2:3]
	v_mov_b32_e32 v2, v3
	s_delay_alu instid0(VALU_DEP_1) | instskip(NEXT) | instid1(VALU_DEP_1)
	v_lshlrev_b64 v[1:2], 2, v[1:2]
	v_add_co_u32 v1, vcc_lo, s6, v1
	s_delay_alu instid0(VALU_DEP_2)
	v_add_co_ci_u32_e32 v2, vcc_lo, s7, v2, vcc_lo
	global_load_b32 v1, v[1:2], off
	v_lshlrev_b32_e32 v2, 2, v0
	s_waitcnt vmcnt(0)
	global_store_b32 v2, v1, s[12:13]
.LBB831_2:
	s_and_not1_b32 vcc_lo, exec_lo, s11
	s_cbranch_vccnz .LBB831_7
; %bb.3:
	s_load_b32 s0, s[0:1], 0x20
                                        ; implicit-def: $vgpr1
	s_waitcnt lgkmcnt(0)
	s_sub_i32 s0, s0, s2
	s_delay_alu instid0(SALU_CYCLE_1)
	v_cmp_gt_u32_e32 vcc_lo, s0, v0
	s_and_saveexec_b32 s1, vcc_lo
	s_cbranch_execz .LBB831_5
; %bb.4:
	s_add_u32 s0, s9, s2
	s_addc_u32 s9, s10, 0
	v_add_co_u32 v3, s0, s0, v0
	s_delay_alu instid0(VALU_DEP_1) | instskip(NEXT) | instid1(VALU_DEP_2)
	v_add_co_ci_u32_e64 v5, null, s9, 0, s0
	v_mad_u64_u32 v[1:2], null, v3, s8, 0
	s_delay_alu instid0(VALU_DEP_1) | instskip(NEXT) | instid1(VALU_DEP_1)
	v_mad_u64_u32 v[3:4], null, v5, s8, v[2:3]
	v_mov_b32_e32 v2, v3
	s_delay_alu instid0(VALU_DEP_1) | instskip(NEXT) | instid1(VALU_DEP_1)
	v_lshlrev_b64 v[1:2], 2, v[1:2]
	v_add_co_u32 v1, s0, s6, v1
	s_delay_alu instid0(VALU_DEP_1)
	v_add_co_ci_u32_e64 v2, s0, s7, v2, s0
	global_load_b32 v1, v[1:2], off
.LBB831_5:
	s_or_b32 exec_lo, exec_lo, s1
	s_and_saveexec_b32 s0, vcc_lo
	s_cbranch_execz .LBB831_7
; %bb.6:
	s_lshl_b64 s[0:1], s[2:3], 2
	v_lshlrev_b32_e32 v0, 2, v0
	s_add_u32 s0, s4, s0
	s_addc_u32 s1, s5, s1
	s_waitcnt vmcnt(0)
	global_store_b32 v0, v1, s[0:1]
.LBB831_7:
	s_nop 0
	s_sendmsg sendmsg(MSG_DEALLOC_VGPRS)
	s_endpgm
	.section	.rodata,"a",@progbits
	.p2align	6, 0x0
	.amdhsa_kernel _ZN7rocprim17ROCPRIM_400000_NS6detail17trampoline_kernelINS0_14default_configENS1_25transform_config_selectorIjLb0EEEZNS1_14transform_implILb0ES3_S5_NS0_18transform_iteratorINS0_17counting_iteratorImlEEZNS1_24adjacent_difference_implIS3_Lb1ELb0EPjN6thrust23THRUST_200600_302600_NS16discard_iteratorINSD_11use_defaultEEENSD_5minusIjEEEE10hipError_tPvRmT2_T3_mT4_P12ihipStream_tbEUlmE_jEESB_NS0_8identityIvEEEESJ_SM_SN_mSO_SQ_bEUlT_E_NS1_11comp_targetILNS1_3genE9ELNS1_11target_archE1100ELNS1_3gpuE3ELNS1_3repE0EEENS1_30default_config_static_selectorELNS0_4arch9wavefront6targetE0EEEvT1_
		.amdhsa_group_segment_fixed_size 0
		.amdhsa_private_segment_fixed_size 0
		.amdhsa_kernarg_size 312
		.amdhsa_user_sgpr_count 15
		.amdhsa_user_sgpr_dispatch_ptr 0
		.amdhsa_user_sgpr_queue_ptr 0
		.amdhsa_user_sgpr_kernarg_segment_ptr 1
		.amdhsa_user_sgpr_dispatch_id 0
		.amdhsa_user_sgpr_private_segment_size 0
		.amdhsa_wavefront_size32 1
		.amdhsa_uses_dynamic_stack 0
		.amdhsa_enable_private_segment 0
		.amdhsa_system_sgpr_workgroup_id_x 1
		.amdhsa_system_sgpr_workgroup_id_y 0
		.amdhsa_system_sgpr_workgroup_id_z 0
		.amdhsa_system_sgpr_workgroup_info 0
		.amdhsa_system_vgpr_workitem_id 0
		.amdhsa_next_free_vgpr 6
		.amdhsa_next_free_sgpr 16
		.amdhsa_reserve_vcc 1
		.amdhsa_float_round_mode_32 0
		.amdhsa_float_round_mode_16_64 0
		.amdhsa_float_denorm_mode_32 3
		.amdhsa_float_denorm_mode_16_64 3
		.amdhsa_dx10_clamp 1
		.amdhsa_ieee_mode 1
		.amdhsa_fp16_overflow 0
		.amdhsa_workgroup_processor_mode 1
		.amdhsa_memory_ordered 1
		.amdhsa_forward_progress 0
		.amdhsa_shared_vgpr_count 0
		.amdhsa_exception_fp_ieee_invalid_op 0
		.amdhsa_exception_fp_denorm_src 0
		.amdhsa_exception_fp_ieee_div_zero 0
		.amdhsa_exception_fp_ieee_overflow 0
		.amdhsa_exception_fp_ieee_underflow 0
		.amdhsa_exception_fp_ieee_inexact 0
		.amdhsa_exception_int_div_zero 0
	.end_amdhsa_kernel
	.section	.text._ZN7rocprim17ROCPRIM_400000_NS6detail17trampoline_kernelINS0_14default_configENS1_25transform_config_selectorIjLb0EEEZNS1_14transform_implILb0ES3_S5_NS0_18transform_iteratorINS0_17counting_iteratorImlEEZNS1_24adjacent_difference_implIS3_Lb1ELb0EPjN6thrust23THRUST_200600_302600_NS16discard_iteratorINSD_11use_defaultEEENSD_5minusIjEEEE10hipError_tPvRmT2_T3_mT4_P12ihipStream_tbEUlmE_jEESB_NS0_8identityIvEEEESJ_SM_SN_mSO_SQ_bEUlT_E_NS1_11comp_targetILNS1_3genE9ELNS1_11target_archE1100ELNS1_3gpuE3ELNS1_3repE0EEENS1_30default_config_static_selectorELNS0_4arch9wavefront6targetE0EEEvT1_,"axG",@progbits,_ZN7rocprim17ROCPRIM_400000_NS6detail17trampoline_kernelINS0_14default_configENS1_25transform_config_selectorIjLb0EEEZNS1_14transform_implILb0ES3_S5_NS0_18transform_iteratorINS0_17counting_iteratorImlEEZNS1_24adjacent_difference_implIS3_Lb1ELb0EPjN6thrust23THRUST_200600_302600_NS16discard_iteratorINSD_11use_defaultEEENSD_5minusIjEEEE10hipError_tPvRmT2_T3_mT4_P12ihipStream_tbEUlmE_jEESB_NS0_8identityIvEEEESJ_SM_SN_mSO_SQ_bEUlT_E_NS1_11comp_targetILNS1_3genE9ELNS1_11target_archE1100ELNS1_3gpuE3ELNS1_3repE0EEENS1_30default_config_static_selectorELNS0_4arch9wavefront6targetE0EEEvT1_,comdat
.Lfunc_end831:
	.size	_ZN7rocprim17ROCPRIM_400000_NS6detail17trampoline_kernelINS0_14default_configENS1_25transform_config_selectorIjLb0EEEZNS1_14transform_implILb0ES3_S5_NS0_18transform_iteratorINS0_17counting_iteratorImlEEZNS1_24adjacent_difference_implIS3_Lb1ELb0EPjN6thrust23THRUST_200600_302600_NS16discard_iteratorINSD_11use_defaultEEENSD_5minusIjEEEE10hipError_tPvRmT2_T3_mT4_P12ihipStream_tbEUlmE_jEESB_NS0_8identityIvEEEESJ_SM_SN_mSO_SQ_bEUlT_E_NS1_11comp_targetILNS1_3genE9ELNS1_11target_archE1100ELNS1_3gpuE3ELNS1_3repE0EEENS1_30default_config_static_selectorELNS0_4arch9wavefront6targetE0EEEvT1_, .Lfunc_end831-_ZN7rocprim17ROCPRIM_400000_NS6detail17trampoline_kernelINS0_14default_configENS1_25transform_config_selectorIjLb0EEEZNS1_14transform_implILb0ES3_S5_NS0_18transform_iteratorINS0_17counting_iteratorImlEEZNS1_24adjacent_difference_implIS3_Lb1ELb0EPjN6thrust23THRUST_200600_302600_NS16discard_iteratorINSD_11use_defaultEEENSD_5minusIjEEEE10hipError_tPvRmT2_T3_mT4_P12ihipStream_tbEUlmE_jEESB_NS0_8identityIvEEEESJ_SM_SN_mSO_SQ_bEUlT_E_NS1_11comp_targetILNS1_3genE9ELNS1_11target_archE1100ELNS1_3gpuE3ELNS1_3repE0EEENS1_30default_config_static_selectorELNS0_4arch9wavefront6targetE0EEEvT1_
                                        ; -- End function
	.section	.AMDGPU.csdata,"",@progbits
; Kernel info:
; codeLenInByte = 400
; NumSgprs: 18
; NumVgprs: 6
; ScratchSize: 0
; MemoryBound: 0
; FloatMode: 240
; IeeeMode: 1
; LDSByteSize: 0 bytes/workgroup (compile time only)
; SGPRBlocks: 2
; VGPRBlocks: 0
; NumSGPRsForWavesPerEU: 18
; NumVGPRsForWavesPerEU: 6
; Occupancy: 16
; WaveLimiterHint : 0
; COMPUTE_PGM_RSRC2:SCRATCH_EN: 0
; COMPUTE_PGM_RSRC2:USER_SGPR: 15
; COMPUTE_PGM_RSRC2:TRAP_HANDLER: 0
; COMPUTE_PGM_RSRC2:TGID_X_EN: 1
; COMPUTE_PGM_RSRC2:TGID_Y_EN: 0
; COMPUTE_PGM_RSRC2:TGID_Z_EN: 0
; COMPUTE_PGM_RSRC2:TIDIG_COMP_CNT: 0
	.section	.text._ZN7rocprim17ROCPRIM_400000_NS6detail17trampoline_kernelINS0_14default_configENS1_25transform_config_selectorIjLb0EEEZNS1_14transform_implILb0ES3_S5_NS0_18transform_iteratorINS0_17counting_iteratorImlEEZNS1_24adjacent_difference_implIS3_Lb1ELb0EPjN6thrust23THRUST_200600_302600_NS16discard_iteratorINSD_11use_defaultEEENSD_5minusIjEEEE10hipError_tPvRmT2_T3_mT4_P12ihipStream_tbEUlmE_jEESB_NS0_8identityIvEEEESJ_SM_SN_mSO_SQ_bEUlT_E_NS1_11comp_targetILNS1_3genE8ELNS1_11target_archE1030ELNS1_3gpuE2ELNS1_3repE0EEENS1_30default_config_static_selectorELNS0_4arch9wavefront6targetE0EEEvT1_,"axG",@progbits,_ZN7rocprim17ROCPRIM_400000_NS6detail17trampoline_kernelINS0_14default_configENS1_25transform_config_selectorIjLb0EEEZNS1_14transform_implILb0ES3_S5_NS0_18transform_iteratorINS0_17counting_iteratorImlEEZNS1_24adjacent_difference_implIS3_Lb1ELb0EPjN6thrust23THRUST_200600_302600_NS16discard_iteratorINSD_11use_defaultEEENSD_5minusIjEEEE10hipError_tPvRmT2_T3_mT4_P12ihipStream_tbEUlmE_jEESB_NS0_8identityIvEEEESJ_SM_SN_mSO_SQ_bEUlT_E_NS1_11comp_targetILNS1_3genE8ELNS1_11target_archE1030ELNS1_3gpuE2ELNS1_3repE0EEENS1_30default_config_static_selectorELNS0_4arch9wavefront6targetE0EEEvT1_,comdat
	.protected	_ZN7rocprim17ROCPRIM_400000_NS6detail17trampoline_kernelINS0_14default_configENS1_25transform_config_selectorIjLb0EEEZNS1_14transform_implILb0ES3_S5_NS0_18transform_iteratorINS0_17counting_iteratorImlEEZNS1_24adjacent_difference_implIS3_Lb1ELb0EPjN6thrust23THRUST_200600_302600_NS16discard_iteratorINSD_11use_defaultEEENSD_5minusIjEEEE10hipError_tPvRmT2_T3_mT4_P12ihipStream_tbEUlmE_jEESB_NS0_8identityIvEEEESJ_SM_SN_mSO_SQ_bEUlT_E_NS1_11comp_targetILNS1_3genE8ELNS1_11target_archE1030ELNS1_3gpuE2ELNS1_3repE0EEENS1_30default_config_static_selectorELNS0_4arch9wavefront6targetE0EEEvT1_ ; -- Begin function _ZN7rocprim17ROCPRIM_400000_NS6detail17trampoline_kernelINS0_14default_configENS1_25transform_config_selectorIjLb0EEEZNS1_14transform_implILb0ES3_S5_NS0_18transform_iteratorINS0_17counting_iteratorImlEEZNS1_24adjacent_difference_implIS3_Lb1ELb0EPjN6thrust23THRUST_200600_302600_NS16discard_iteratorINSD_11use_defaultEEENSD_5minusIjEEEE10hipError_tPvRmT2_T3_mT4_P12ihipStream_tbEUlmE_jEESB_NS0_8identityIvEEEESJ_SM_SN_mSO_SQ_bEUlT_E_NS1_11comp_targetILNS1_3genE8ELNS1_11target_archE1030ELNS1_3gpuE2ELNS1_3repE0EEENS1_30default_config_static_selectorELNS0_4arch9wavefront6targetE0EEEvT1_
	.globl	_ZN7rocprim17ROCPRIM_400000_NS6detail17trampoline_kernelINS0_14default_configENS1_25transform_config_selectorIjLb0EEEZNS1_14transform_implILb0ES3_S5_NS0_18transform_iteratorINS0_17counting_iteratorImlEEZNS1_24adjacent_difference_implIS3_Lb1ELb0EPjN6thrust23THRUST_200600_302600_NS16discard_iteratorINSD_11use_defaultEEENSD_5minusIjEEEE10hipError_tPvRmT2_T3_mT4_P12ihipStream_tbEUlmE_jEESB_NS0_8identityIvEEEESJ_SM_SN_mSO_SQ_bEUlT_E_NS1_11comp_targetILNS1_3genE8ELNS1_11target_archE1030ELNS1_3gpuE2ELNS1_3repE0EEENS1_30default_config_static_selectorELNS0_4arch9wavefront6targetE0EEEvT1_
	.p2align	8
	.type	_ZN7rocprim17ROCPRIM_400000_NS6detail17trampoline_kernelINS0_14default_configENS1_25transform_config_selectorIjLb0EEEZNS1_14transform_implILb0ES3_S5_NS0_18transform_iteratorINS0_17counting_iteratorImlEEZNS1_24adjacent_difference_implIS3_Lb1ELb0EPjN6thrust23THRUST_200600_302600_NS16discard_iteratorINSD_11use_defaultEEENSD_5minusIjEEEE10hipError_tPvRmT2_T3_mT4_P12ihipStream_tbEUlmE_jEESB_NS0_8identityIvEEEESJ_SM_SN_mSO_SQ_bEUlT_E_NS1_11comp_targetILNS1_3genE8ELNS1_11target_archE1030ELNS1_3gpuE2ELNS1_3repE0EEENS1_30default_config_static_selectorELNS0_4arch9wavefront6targetE0EEEvT1_,@function
_ZN7rocprim17ROCPRIM_400000_NS6detail17trampoline_kernelINS0_14default_configENS1_25transform_config_selectorIjLb0EEEZNS1_14transform_implILb0ES3_S5_NS0_18transform_iteratorINS0_17counting_iteratorImlEEZNS1_24adjacent_difference_implIS3_Lb1ELb0EPjN6thrust23THRUST_200600_302600_NS16discard_iteratorINSD_11use_defaultEEENSD_5minusIjEEEE10hipError_tPvRmT2_T3_mT4_P12ihipStream_tbEUlmE_jEESB_NS0_8identityIvEEEESJ_SM_SN_mSO_SQ_bEUlT_E_NS1_11comp_targetILNS1_3genE8ELNS1_11target_archE1030ELNS1_3gpuE2ELNS1_3repE0EEENS1_30default_config_static_selectorELNS0_4arch9wavefront6targetE0EEEvT1_: ; @_ZN7rocprim17ROCPRIM_400000_NS6detail17trampoline_kernelINS0_14default_configENS1_25transform_config_selectorIjLb0EEEZNS1_14transform_implILb0ES3_S5_NS0_18transform_iteratorINS0_17counting_iteratorImlEEZNS1_24adjacent_difference_implIS3_Lb1ELb0EPjN6thrust23THRUST_200600_302600_NS16discard_iteratorINSD_11use_defaultEEENSD_5minusIjEEEE10hipError_tPvRmT2_T3_mT4_P12ihipStream_tbEUlmE_jEESB_NS0_8identityIvEEEESJ_SM_SN_mSO_SQ_bEUlT_E_NS1_11comp_targetILNS1_3genE8ELNS1_11target_archE1030ELNS1_3gpuE2ELNS1_3repE0EEENS1_30default_config_static_selectorELNS0_4arch9wavefront6targetE0EEEvT1_
; %bb.0:
	.section	.rodata,"a",@progbits
	.p2align	6, 0x0
	.amdhsa_kernel _ZN7rocprim17ROCPRIM_400000_NS6detail17trampoline_kernelINS0_14default_configENS1_25transform_config_selectorIjLb0EEEZNS1_14transform_implILb0ES3_S5_NS0_18transform_iteratorINS0_17counting_iteratorImlEEZNS1_24adjacent_difference_implIS3_Lb1ELb0EPjN6thrust23THRUST_200600_302600_NS16discard_iteratorINSD_11use_defaultEEENSD_5minusIjEEEE10hipError_tPvRmT2_T3_mT4_P12ihipStream_tbEUlmE_jEESB_NS0_8identityIvEEEESJ_SM_SN_mSO_SQ_bEUlT_E_NS1_11comp_targetILNS1_3genE8ELNS1_11target_archE1030ELNS1_3gpuE2ELNS1_3repE0EEENS1_30default_config_static_selectorELNS0_4arch9wavefront6targetE0EEEvT1_
		.amdhsa_group_segment_fixed_size 0
		.amdhsa_private_segment_fixed_size 0
		.amdhsa_kernarg_size 56
		.amdhsa_user_sgpr_count 15
		.amdhsa_user_sgpr_dispatch_ptr 0
		.amdhsa_user_sgpr_queue_ptr 0
		.amdhsa_user_sgpr_kernarg_segment_ptr 1
		.amdhsa_user_sgpr_dispatch_id 0
		.amdhsa_user_sgpr_private_segment_size 0
		.amdhsa_wavefront_size32 1
		.amdhsa_uses_dynamic_stack 0
		.amdhsa_enable_private_segment 0
		.amdhsa_system_sgpr_workgroup_id_x 1
		.amdhsa_system_sgpr_workgroup_id_y 0
		.amdhsa_system_sgpr_workgroup_id_z 0
		.amdhsa_system_sgpr_workgroup_info 0
		.amdhsa_system_vgpr_workitem_id 0
		.amdhsa_next_free_vgpr 1
		.amdhsa_next_free_sgpr 1
		.amdhsa_reserve_vcc 0
		.amdhsa_float_round_mode_32 0
		.amdhsa_float_round_mode_16_64 0
		.amdhsa_float_denorm_mode_32 3
		.amdhsa_float_denorm_mode_16_64 3
		.amdhsa_dx10_clamp 1
		.amdhsa_ieee_mode 1
		.amdhsa_fp16_overflow 0
		.amdhsa_workgroup_processor_mode 1
		.amdhsa_memory_ordered 1
		.amdhsa_forward_progress 0
		.amdhsa_shared_vgpr_count 0
		.amdhsa_exception_fp_ieee_invalid_op 0
		.amdhsa_exception_fp_denorm_src 0
		.amdhsa_exception_fp_ieee_div_zero 0
		.amdhsa_exception_fp_ieee_overflow 0
		.amdhsa_exception_fp_ieee_underflow 0
		.amdhsa_exception_fp_ieee_inexact 0
		.amdhsa_exception_int_div_zero 0
	.end_amdhsa_kernel
	.section	.text._ZN7rocprim17ROCPRIM_400000_NS6detail17trampoline_kernelINS0_14default_configENS1_25transform_config_selectorIjLb0EEEZNS1_14transform_implILb0ES3_S5_NS0_18transform_iteratorINS0_17counting_iteratorImlEEZNS1_24adjacent_difference_implIS3_Lb1ELb0EPjN6thrust23THRUST_200600_302600_NS16discard_iteratorINSD_11use_defaultEEENSD_5minusIjEEEE10hipError_tPvRmT2_T3_mT4_P12ihipStream_tbEUlmE_jEESB_NS0_8identityIvEEEESJ_SM_SN_mSO_SQ_bEUlT_E_NS1_11comp_targetILNS1_3genE8ELNS1_11target_archE1030ELNS1_3gpuE2ELNS1_3repE0EEENS1_30default_config_static_selectorELNS0_4arch9wavefront6targetE0EEEvT1_,"axG",@progbits,_ZN7rocprim17ROCPRIM_400000_NS6detail17trampoline_kernelINS0_14default_configENS1_25transform_config_selectorIjLb0EEEZNS1_14transform_implILb0ES3_S5_NS0_18transform_iteratorINS0_17counting_iteratorImlEEZNS1_24adjacent_difference_implIS3_Lb1ELb0EPjN6thrust23THRUST_200600_302600_NS16discard_iteratorINSD_11use_defaultEEENSD_5minusIjEEEE10hipError_tPvRmT2_T3_mT4_P12ihipStream_tbEUlmE_jEESB_NS0_8identityIvEEEESJ_SM_SN_mSO_SQ_bEUlT_E_NS1_11comp_targetILNS1_3genE8ELNS1_11target_archE1030ELNS1_3gpuE2ELNS1_3repE0EEENS1_30default_config_static_selectorELNS0_4arch9wavefront6targetE0EEEvT1_,comdat
.Lfunc_end832:
	.size	_ZN7rocprim17ROCPRIM_400000_NS6detail17trampoline_kernelINS0_14default_configENS1_25transform_config_selectorIjLb0EEEZNS1_14transform_implILb0ES3_S5_NS0_18transform_iteratorINS0_17counting_iteratorImlEEZNS1_24adjacent_difference_implIS3_Lb1ELb0EPjN6thrust23THRUST_200600_302600_NS16discard_iteratorINSD_11use_defaultEEENSD_5minusIjEEEE10hipError_tPvRmT2_T3_mT4_P12ihipStream_tbEUlmE_jEESB_NS0_8identityIvEEEESJ_SM_SN_mSO_SQ_bEUlT_E_NS1_11comp_targetILNS1_3genE8ELNS1_11target_archE1030ELNS1_3gpuE2ELNS1_3repE0EEENS1_30default_config_static_selectorELNS0_4arch9wavefront6targetE0EEEvT1_, .Lfunc_end832-_ZN7rocprim17ROCPRIM_400000_NS6detail17trampoline_kernelINS0_14default_configENS1_25transform_config_selectorIjLb0EEEZNS1_14transform_implILb0ES3_S5_NS0_18transform_iteratorINS0_17counting_iteratorImlEEZNS1_24adjacent_difference_implIS3_Lb1ELb0EPjN6thrust23THRUST_200600_302600_NS16discard_iteratorINSD_11use_defaultEEENSD_5minusIjEEEE10hipError_tPvRmT2_T3_mT4_P12ihipStream_tbEUlmE_jEESB_NS0_8identityIvEEEESJ_SM_SN_mSO_SQ_bEUlT_E_NS1_11comp_targetILNS1_3genE8ELNS1_11target_archE1030ELNS1_3gpuE2ELNS1_3repE0EEENS1_30default_config_static_selectorELNS0_4arch9wavefront6targetE0EEEvT1_
                                        ; -- End function
	.section	.AMDGPU.csdata,"",@progbits
; Kernel info:
; codeLenInByte = 0
; NumSgprs: 0
; NumVgprs: 0
; ScratchSize: 0
; MemoryBound: 0
; FloatMode: 240
; IeeeMode: 1
; LDSByteSize: 0 bytes/workgroup (compile time only)
; SGPRBlocks: 0
; VGPRBlocks: 0
; NumSGPRsForWavesPerEU: 1
; NumVGPRsForWavesPerEU: 1
; Occupancy: 16
; WaveLimiterHint : 0
; COMPUTE_PGM_RSRC2:SCRATCH_EN: 0
; COMPUTE_PGM_RSRC2:USER_SGPR: 15
; COMPUTE_PGM_RSRC2:TRAP_HANDLER: 0
; COMPUTE_PGM_RSRC2:TGID_X_EN: 1
; COMPUTE_PGM_RSRC2:TGID_Y_EN: 0
; COMPUTE_PGM_RSRC2:TGID_Z_EN: 0
; COMPUTE_PGM_RSRC2:TIDIG_COMP_CNT: 0
	.section	.text._ZN7rocprim17ROCPRIM_400000_NS6detail17trampoline_kernelINS0_14default_configENS1_35adjacent_difference_config_selectorILb1EjEEZNS1_24adjacent_difference_implIS3_Lb1ELb0EPjN6thrust23THRUST_200600_302600_NS16discard_iteratorINS9_11use_defaultEEENS9_5minusIjEEEE10hipError_tPvRmT2_T3_mT4_P12ihipStream_tbEUlT_E_NS1_11comp_targetILNS1_3genE0ELNS1_11target_archE4294967295ELNS1_3gpuE0ELNS1_3repE0EEENS1_30default_config_static_selectorELNS0_4arch9wavefront6targetE0EEEvT1_,"axG",@progbits,_ZN7rocprim17ROCPRIM_400000_NS6detail17trampoline_kernelINS0_14default_configENS1_35adjacent_difference_config_selectorILb1EjEEZNS1_24adjacent_difference_implIS3_Lb1ELb0EPjN6thrust23THRUST_200600_302600_NS16discard_iteratorINS9_11use_defaultEEENS9_5minusIjEEEE10hipError_tPvRmT2_T3_mT4_P12ihipStream_tbEUlT_E_NS1_11comp_targetILNS1_3genE0ELNS1_11target_archE4294967295ELNS1_3gpuE0ELNS1_3repE0EEENS1_30default_config_static_selectorELNS0_4arch9wavefront6targetE0EEEvT1_,comdat
	.protected	_ZN7rocprim17ROCPRIM_400000_NS6detail17trampoline_kernelINS0_14default_configENS1_35adjacent_difference_config_selectorILb1EjEEZNS1_24adjacent_difference_implIS3_Lb1ELb0EPjN6thrust23THRUST_200600_302600_NS16discard_iteratorINS9_11use_defaultEEENS9_5minusIjEEEE10hipError_tPvRmT2_T3_mT4_P12ihipStream_tbEUlT_E_NS1_11comp_targetILNS1_3genE0ELNS1_11target_archE4294967295ELNS1_3gpuE0ELNS1_3repE0EEENS1_30default_config_static_selectorELNS0_4arch9wavefront6targetE0EEEvT1_ ; -- Begin function _ZN7rocprim17ROCPRIM_400000_NS6detail17trampoline_kernelINS0_14default_configENS1_35adjacent_difference_config_selectorILb1EjEEZNS1_24adjacent_difference_implIS3_Lb1ELb0EPjN6thrust23THRUST_200600_302600_NS16discard_iteratorINS9_11use_defaultEEENS9_5minusIjEEEE10hipError_tPvRmT2_T3_mT4_P12ihipStream_tbEUlT_E_NS1_11comp_targetILNS1_3genE0ELNS1_11target_archE4294967295ELNS1_3gpuE0ELNS1_3repE0EEENS1_30default_config_static_selectorELNS0_4arch9wavefront6targetE0EEEvT1_
	.globl	_ZN7rocprim17ROCPRIM_400000_NS6detail17trampoline_kernelINS0_14default_configENS1_35adjacent_difference_config_selectorILb1EjEEZNS1_24adjacent_difference_implIS3_Lb1ELb0EPjN6thrust23THRUST_200600_302600_NS16discard_iteratorINS9_11use_defaultEEENS9_5minusIjEEEE10hipError_tPvRmT2_T3_mT4_P12ihipStream_tbEUlT_E_NS1_11comp_targetILNS1_3genE0ELNS1_11target_archE4294967295ELNS1_3gpuE0ELNS1_3repE0EEENS1_30default_config_static_selectorELNS0_4arch9wavefront6targetE0EEEvT1_
	.p2align	8
	.type	_ZN7rocprim17ROCPRIM_400000_NS6detail17trampoline_kernelINS0_14default_configENS1_35adjacent_difference_config_selectorILb1EjEEZNS1_24adjacent_difference_implIS3_Lb1ELb0EPjN6thrust23THRUST_200600_302600_NS16discard_iteratorINS9_11use_defaultEEENS9_5minusIjEEEE10hipError_tPvRmT2_T3_mT4_P12ihipStream_tbEUlT_E_NS1_11comp_targetILNS1_3genE0ELNS1_11target_archE4294967295ELNS1_3gpuE0ELNS1_3repE0EEENS1_30default_config_static_selectorELNS0_4arch9wavefront6targetE0EEEvT1_,@function
_ZN7rocprim17ROCPRIM_400000_NS6detail17trampoline_kernelINS0_14default_configENS1_35adjacent_difference_config_selectorILb1EjEEZNS1_24adjacent_difference_implIS3_Lb1ELb0EPjN6thrust23THRUST_200600_302600_NS16discard_iteratorINS9_11use_defaultEEENS9_5minusIjEEEE10hipError_tPvRmT2_T3_mT4_P12ihipStream_tbEUlT_E_NS1_11comp_targetILNS1_3genE0ELNS1_11target_archE4294967295ELNS1_3gpuE0ELNS1_3repE0EEENS1_30default_config_static_selectorELNS0_4arch9wavefront6targetE0EEEvT1_: ; @_ZN7rocprim17ROCPRIM_400000_NS6detail17trampoline_kernelINS0_14default_configENS1_35adjacent_difference_config_selectorILb1EjEEZNS1_24adjacent_difference_implIS3_Lb1ELb0EPjN6thrust23THRUST_200600_302600_NS16discard_iteratorINS9_11use_defaultEEENS9_5minusIjEEEE10hipError_tPvRmT2_T3_mT4_P12ihipStream_tbEUlT_E_NS1_11comp_targetILNS1_3genE0ELNS1_11target_archE4294967295ELNS1_3gpuE0ELNS1_3repE0EEENS1_30default_config_static_selectorELNS0_4arch9wavefront6targetE0EEEvT1_
; %bb.0:
	.section	.rodata,"a",@progbits
	.p2align	6, 0x0
	.amdhsa_kernel _ZN7rocprim17ROCPRIM_400000_NS6detail17trampoline_kernelINS0_14default_configENS1_35adjacent_difference_config_selectorILb1EjEEZNS1_24adjacent_difference_implIS3_Lb1ELb0EPjN6thrust23THRUST_200600_302600_NS16discard_iteratorINS9_11use_defaultEEENS9_5minusIjEEEE10hipError_tPvRmT2_T3_mT4_P12ihipStream_tbEUlT_E_NS1_11comp_targetILNS1_3genE0ELNS1_11target_archE4294967295ELNS1_3gpuE0ELNS1_3repE0EEENS1_30default_config_static_selectorELNS0_4arch9wavefront6targetE0EEEvT1_
		.amdhsa_group_segment_fixed_size 0
		.amdhsa_private_segment_fixed_size 0
		.amdhsa_kernarg_size 64
		.amdhsa_user_sgpr_count 15
		.amdhsa_user_sgpr_dispatch_ptr 0
		.amdhsa_user_sgpr_queue_ptr 0
		.amdhsa_user_sgpr_kernarg_segment_ptr 1
		.amdhsa_user_sgpr_dispatch_id 0
		.amdhsa_user_sgpr_private_segment_size 0
		.amdhsa_wavefront_size32 1
		.amdhsa_uses_dynamic_stack 0
		.amdhsa_enable_private_segment 0
		.amdhsa_system_sgpr_workgroup_id_x 1
		.amdhsa_system_sgpr_workgroup_id_y 0
		.amdhsa_system_sgpr_workgroup_id_z 0
		.amdhsa_system_sgpr_workgroup_info 0
		.amdhsa_system_vgpr_workitem_id 0
		.amdhsa_next_free_vgpr 1
		.amdhsa_next_free_sgpr 1
		.amdhsa_reserve_vcc 0
		.amdhsa_float_round_mode_32 0
		.amdhsa_float_round_mode_16_64 0
		.amdhsa_float_denorm_mode_32 3
		.amdhsa_float_denorm_mode_16_64 3
		.amdhsa_dx10_clamp 1
		.amdhsa_ieee_mode 1
		.amdhsa_fp16_overflow 0
		.amdhsa_workgroup_processor_mode 1
		.amdhsa_memory_ordered 1
		.amdhsa_forward_progress 0
		.amdhsa_shared_vgpr_count 0
		.amdhsa_exception_fp_ieee_invalid_op 0
		.amdhsa_exception_fp_denorm_src 0
		.amdhsa_exception_fp_ieee_div_zero 0
		.amdhsa_exception_fp_ieee_overflow 0
		.amdhsa_exception_fp_ieee_underflow 0
		.amdhsa_exception_fp_ieee_inexact 0
		.amdhsa_exception_int_div_zero 0
	.end_amdhsa_kernel
	.section	.text._ZN7rocprim17ROCPRIM_400000_NS6detail17trampoline_kernelINS0_14default_configENS1_35adjacent_difference_config_selectorILb1EjEEZNS1_24adjacent_difference_implIS3_Lb1ELb0EPjN6thrust23THRUST_200600_302600_NS16discard_iteratorINS9_11use_defaultEEENS9_5minusIjEEEE10hipError_tPvRmT2_T3_mT4_P12ihipStream_tbEUlT_E_NS1_11comp_targetILNS1_3genE0ELNS1_11target_archE4294967295ELNS1_3gpuE0ELNS1_3repE0EEENS1_30default_config_static_selectorELNS0_4arch9wavefront6targetE0EEEvT1_,"axG",@progbits,_ZN7rocprim17ROCPRIM_400000_NS6detail17trampoline_kernelINS0_14default_configENS1_35adjacent_difference_config_selectorILb1EjEEZNS1_24adjacent_difference_implIS3_Lb1ELb0EPjN6thrust23THRUST_200600_302600_NS16discard_iteratorINS9_11use_defaultEEENS9_5minusIjEEEE10hipError_tPvRmT2_T3_mT4_P12ihipStream_tbEUlT_E_NS1_11comp_targetILNS1_3genE0ELNS1_11target_archE4294967295ELNS1_3gpuE0ELNS1_3repE0EEENS1_30default_config_static_selectorELNS0_4arch9wavefront6targetE0EEEvT1_,comdat
.Lfunc_end833:
	.size	_ZN7rocprim17ROCPRIM_400000_NS6detail17trampoline_kernelINS0_14default_configENS1_35adjacent_difference_config_selectorILb1EjEEZNS1_24adjacent_difference_implIS3_Lb1ELb0EPjN6thrust23THRUST_200600_302600_NS16discard_iteratorINS9_11use_defaultEEENS9_5minusIjEEEE10hipError_tPvRmT2_T3_mT4_P12ihipStream_tbEUlT_E_NS1_11comp_targetILNS1_3genE0ELNS1_11target_archE4294967295ELNS1_3gpuE0ELNS1_3repE0EEENS1_30default_config_static_selectorELNS0_4arch9wavefront6targetE0EEEvT1_, .Lfunc_end833-_ZN7rocprim17ROCPRIM_400000_NS6detail17trampoline_kernelINS0_14default_configENS1_35adjacent_difference_config_selectorILb1EjEEZNS1_24adjacent_difference_implIS3_Lb1ELb0EPjN6thrust23THRUST_200600_302600_NS16discard_iteratorINS9_11use_defaultEEENS9_5minusIjEEEE10hipError_tPvRmT2_T3_mT4_P12ihipStream_tbEUlT_E_NS1_11comp_targetILNS1_3genE0ELNS1_11target_archE4294967295ELNS1_3gpuE0ELNS1_3repE0EEENS1_30default_config_static_selectorELNS0_4arch9wavefront6targetE0EEEvT1_
                                        ; -- End function
	.section	.AMDGPU.csdata,"",@progbits
; Kernel info:
; codeLenInByte = 0
; NumSgprs: 0
; NumVgprs: 0
; ScratchSize: 0
; MemoryBound: 0
; FloatMode: 240
; IeeeMode: 1
; LDSByteSize: 0 bytes/workgroup (compile time only)
; SGPRBlocks: 0
; VGPRBlocks: 0
; NumSGPRsForWavesPerEU: 1
; NumVGPRsForWavesPerEU: 1
; Occupancy: 16
; WaveLimiterHint : 0
; COMPUTE_PGM_RSRC2:SCRATCH_EN: 0
; COMPUTE_PGM_RSRC2:USER_SGPR: 15
; COMPUTE_PGM_RSRC2:TRAP_HANDLER: 0
; COMPUTE_PGM_RSRC2:TGID_X_EN: 1
; COMPUTE_PGM_RSRC2:TGID_Y_EN: 0
; COMPUTE_PGM_RSRC2:TGID_Z_EN: 0
; COMPUTE_PGM_RSRC2:TIDIG_COMP_CNT: 0
	.section	.text._ZN7rocprim17ROCPRIM_400000_NS6detail17trampoline_kernelINS0_14default_configENS1_35adjacent_difference_config_selectorILb1EjEEZNS1_24adjacent_difference_implIS3_Lb1ELb0EPjN6thrust23THRUST_200600_302600_NS16discard_iteratorINS9_11use_defaultEEENS9_5minusIjEEEE10hipError_tPvRmT2_T3_mT4_P12ihipStream_tbEUlT_E_NS1_11comp_targetILNS1_3genE10ELNS1_11target_archE1201ELNS1_3gpuE5ELNS1_3repE0EEENS1_30default_config_static_selectorELNS0_4arch9wavefront6targetE0EEEvT1_,"axG",@progbits,_ZN7rocprim17ROCPRIM_400000_NS6detail17trampoline_kernelINS0_14default_configENS1_35adjacent_difference_config_selectorILb1EjEEZNS1_24adjacent_difference_implIS3_Lb1ELb0EPjN6thrust23THRUST_200600_302600_NS16discard_iteratorINS9_11use_defaultEEENS9_5minusIjEEEE10hipError_tPvRmT2_T3_mT4_P12ihipStream_tbEUlT_E_NS1_11comp_targetILNS1_3genE10ELNS1_11target_archE1201ELNS1_3gpuE5ELNS1_3repE0EEENS1_30default_config_static_selectorELNS0_4arch9wavefront6targetE0EEEvT1_,comdat
	.protected	_ZN7rocprim17ROCPRIM_400000_NS6detail17trampoline_kernelINS0_14default_configENS1_35adjacent_difference_config_selectorILb1EjEEZNS1_24adjacent_difference_implIS3_Lb1ELb0EPjN6thrust23THRUST_200600_302600_NS16discard_iteratorINS9_11use_defaultEEENS9_5minusIjEEEE10hipError_tPvRmT2_T3_mT4_P12ihipStream_tbEUlT_E_NS1_11comp_targetILNS1_3genE10ELNS1_11target_archE1201ELNS1_3gpuE5ELNS1_3repE0EEENS1_30default_config_static_selectorELNS0_4arch9wavefront6targetE0EEEvT1_ ; -- Begin function _ZN7rocprim17ROCPRIM_400000_NS6detail17trampoline_kernelINS0_14default_configENS1_35adjacent_difference_config_selectorILb1EjEEZNS1_24adjacent_difference_implIS3_Lb1ELb0EPjN6thrust23THRUST_200600_302600_NS16discard_iteratorINS9_11use_defaultEEENS9_5minusIjEEEE10hipError_tPvRmT2_T3_mT4_P12ihipStream_tbEUlT_E_NS1_11comp_targetILNS1_3genE10ELNS1_11target_archE1201ELNS1_3gpuE5ELNS1_3repE0EEENS1_30default_config_static_selectorELNS0_4arch9wavefront6targetE0EEEvT1_
	.globl	_ZN7rocprim17ROCPRIM_400000_NS6detail17trampoline_kernelINS0_14default_configENS1_35adjacent_difference_config_selectorILb1EjEEZNS1_24adjacent_difference_implIS3_Lb1ELb0EPjN6thrust23THRUST_200600_302600_NS16discard_iteratorINS9_11use_defaultEEENS9_5minusIjEEEE10hipError_tPvRmT2_T3_mT4_P12ihipStream_tbEUlT_E_NS1_11comp_targetILNS1_3genE10ELNS1_11target_archE1201ELNS1_3gpuE5ELNS1_3repE0EEENS1_30default_config_static_selectorELNS0_4arch9wavefront6targetE0EEEvT1_
	.p2align	8
	.type	_ZN7rocprim17ROCPRIM_400000_NS6detail17trampoline_kernelINS0_14default_configENS1_35adjacent_difference_config_selectorILb1EjEEZNS1_24adjacent_difference_implIS3_Lb1ELb0EPjN6thrust23THRUST_200600_302600_NS16discard_iteratorINS9_11use_defaultEEENS9_5minusIjEEEE10hipError_tPvRmT2_T3_mT4_P12ihipStream_tbEUlT_E_NS1_11comp_targetILNS1_3genE10ELNS1_11target_archE1201ELNS1_3gpuE5ELNS1_3repE0EEENS1_30default_config_static_selectorELNS0_4arch9wavefront6targetE0EEEvT1_,@function
_ZN7rocprim17ROCPRIM_400000_NS6detail17trampoline_kernelINS0_14default_configENS1_35adjacent_difference_config_selectorILb1EjEEZNS1_24adjacent_difference_implIS3_Lb1ELb0EPjN6thrust23THRUST_200600_302600_NS16discard_iteratorINS9_11use_defaultEEENS9_5minusIjEEEE10hipError_tPvRmT2_T3_mT4_P12ihipStream_tbEUlT_E_NS1_11comp_targetILNS1_3genE10ELNS1_11target_archE1201ELNS1_3gpuE5ELNS1_3repE0EEENS1_30default_config_static_selectorELNS0_4arch9wavefront6targetE0EEEvT1_: ; @_ZN7rocprim17ROCPRIM_400000_NS6detail17trampoline_kernelINS0_14default_configENS1_35adjacent_difference_config_selectorILb1EjEEZNS1_24adjacent_difference_implIS3_Lb1ELb0EPjN6thrust23THRUST_200600_302600_NS16discard_iteratorINS9_11use_defaultEEENS9_5minusIjEEEE10hipError_tPvRmT2_T3_mT4_P12ihipStream_tbEUlT_E_NS1_11comp_targetILNS1_3genE10ELNS1_11target_archE1201ELNS1_3gpuE5ELNS1_3repE0EEENS1_30default_config_static_selectorELNS0_4arch9wavefront6targetE0EEEvT1_
; %bb.0:
	.section	.rodata,"a",@progbits
	.p2align	6, 0x0
	.amdhsa_kernel _ZN7rocprim17ROCPRIM_400000_NS6detail17trampoline_kernelINS0_14default_configENS1_35adjacent_difference_config_selectorILb1EjEEZNS1_24adjacent_difference_implIS3_Lb1ELb0EPjN6thrust23THRUST_200600_302600_NS16discard_iteratorINS9_11use_defaultEEENS9_5minusIjEEEE10hipError_tPvRmT2_T3_mT4_P12ihipStream_tbEUlT_E_NS1_11comp_targetILNS1_3genE10ELNS1_11target_archE1201ELNS1_3gpuE5ELNS1_3repE0EEENS1_30default_config_static_selectorELNS0_4arch9wavefront6targetE0EEEvT1_
		.amdhsa_group_segment_fixed_size 0
		.amdhsa_private_segment_fixed_size 0
		.amdhsa_kernarg_size 64
		.amdhsa_user_sgpr_count 15
		.amdhsa_user_sgpr_dispatch_ptr 0
		.amdhsa_user_sgpr_queue_ptr 0
		.amdhsa_user_sgpr_kernarg_segment_ptr 1
		.amdhsa_user_sgpr_dispatch_id 0
		.amdhsa_user_sgpr_private_segment_size 0
		.amdhsa_wavefront_size32 1
		.amdhsa_uses_dynamic_stack 0
		.amdhsa_enable_private_segment 0
		.amdhsa_system_sgpr_workgroup_id_x 1
		.amdhsa_system_sgpr_workgroup_id_y 0
		.amdhsa_system_sgpr_workgroup_id_z 0
		.amdhsa_system_sgpr_workgroup_info 0
		.amdhsa_system_vgpr_workitem_id 0
		.amdhsa_next_free_vgpr 1
		.amdhsa_next_free_sgpr 1
		.amdhsa_reserve_vcc 0
		.amdhsa_float_round_mode_32 0
		.amdhsa_float_round_mode_16_64 0
		.amdhsa_float_denorm_mode_32 3
		.amdhsa_float_denorm_mode_16_64 3
		.amdhsa_dx10_clamp 1
		.amdhsa_ieee_mode 1
		.amdhsa_fp16_overflow 0
		.amdhsa_workgroup_processor_mode 1
		.amdhsa_memory_ordered 1
		.amdhsa_forward_progress 0
		.amdhsa_shared_vgpr_count 0
		.amdhsa_exception_fp_ieee_invalid_op 0
		.amdhsa_exception_fp_denorm_src 0
		.amdhsa_exception_fp_ieee_div_zero 0
		.amdhsa_exception_fp_ieee_overflow 0
		.amdhsa_exception_fp_ieee_underflow 0
		.amdhsa_exception_fp_ieee_inexact 0
		.amdhsa_exception_int_div_zero 0
	.end_amdhsa_kernel
	.section	.text._ZN7rocprim17ROCPRIM_400000_NS6detail17trampoline_kernelINS0_14default_configENS1_35adjacent_difference_config_selectorILb1EjEEZNS1_24adjacent_difference_implIS3_Lb1ELb0EPjN6thrust23THRUST_200600_302600_NS16discard_iteratorINS9_11use_defaultEEENS9_5minusIjEEEE10hipError_tPvRmT2_T3_mT4_P12ihipStream_tbEUlT_E_NS1_11comp_targetILNS1_3genE10ELNS1_11target_archE1201ELNS1_3gpuE5ELNS1_3repE0EEENS1_30default_config_static_selectorELNS0_4arch9wavefront6targetE0EEEvT1_,"axG",@progbits,_ZN7rocprim17ROCPRIM_400000_NS6detail17trampoline_kernelINS0_14default_configENS1_35adjacent_difference_config_selectorILb1EjEEZNS1_24adjacent_difference_implIS3_Lb1ELb0EPjN6thrust23THRUST_200600_302600_NS16discard_iteratorINS9_11use_defaultEEENS9_5minusIjEEEE10hipError_tPvRmT2_T3_mT4_P12ihipStream_tbEUlT_E_NS1_11comp_targetILNS1_3genE10ELNS1_11target_archE1201ELNS1_3gpuE5ELNS1_3repE0EEENS1_30default_config_static_selectorELNS0_4arch9wavefront6targetE0EEEvT1_,comdat
.Lfunc_end834:
	.size	_ZN7rocprim17ROCPRIM_400000_NS6detail17trampoline_kernelINS0_14default_configENS1_35adjacent_difference_config_selectorILb1EjEEZNS1_24adjacent_difference_implIS3_Lb1ELb0EPjN6thrust23THRUST_200600_302600_NS16discard_iteratorINS9_11use_defaultEEENS9_5minusIjEEEE10hipError_tPvRmT2_T3_mT4_P12ihipStream_tbEUlT_E_NS1_11comp_targetILNS1_3genE10ELNS1_11target_archE1201ELNS1_3gpuE5ELNS1_3repE0EEENS1_30default_config_static_selectorELNS0_4arch9wavefront6targetE0EEEvT1_, .Lfunc_end834-_ZN7rocprim17ROCPRIM_400000_NS6detail17trampoline_kernelINS0_14default_configENS1_35adjacent_difference_config_selectorILb1EjEEZNS1_24adjacent_difference_implIS3_Lb1ELb0EPjN6thrust23THRUST_200600_302600_NS16discard_iteratorINS9_11use_defaultEEENS9_5minusIjEEEE10hipError_tPvRmT2_T3_mT4_P12ihipStream_tbEUlT_E_NS1_11comp_targetILNS1_3genE10ELNS1_11target_archE1201ELNS1_3gpuE5ELNS1_3repE0EEENS1_30default_config_static_selectorELNS0_4arch9wavefront6targetE0EEEvT1_
                                        ; -- End function
	.section	.AMDGPU.csdata,"",@progbits
; Kernel info:
; codeLenInByte = 0
; NumSgprs: 0
; NumVgprs: 0
; ScratchSize: 0
; MemoryBound: 0
; FloatMode: 240
; IeeeMode: 1
; LDSByteSize: 0 bytes/workgroup (compile time only)
; SGPRBlocks: 0
; VGPRBlocks: 0
; NumSGPRsForWavesPerEU: 1
; NumVGPRsForWavesPerEU: 1
; Occupancy: 16
; WaveLimiterHint : 0
; COMPUTE_PGM_RSRC2:SCRATCH_EN: 0
; COMPUTE_PGM_RSRC2:USER_SGPR: 15
; COMPUTE_PGM_RSRC2:TRAP_HANDLER: 0
; COMPUTE_PGM_RSRC2:TGID_X_EN: 1
; COMPUTE_PGM_RSRC2:TGID_Y_EN: 0
; COMPUTE_PGM_RSRC2:TGID_Z_EN: 0
; COMPUTE_PGM_RSRC2:TIDIG_COMP_CNT: 0
	.section	.text._ZN7rocprim17ROCPRIM_400000_NS6detail17trampoline_kernelINS0_14default_configENS1_35adjacent_difference_config_selectorILb1EjEEZNS1_24adjacent_difference_implIS3_Lb1ELb0EPjN6thrust23THRUST_200600_302600_NS16discard_iteratorINS9_11use_defaultEEENS9_5minusIjEEEE10hipError_tPvRmT2_T3_mT4_P12ihipStream_tbEUlT_E_NS1_11comp_targetILNS1_3genE5ELNS1_11target_archE942ELNS1_3gpuE9ELNS1_3repE0EEENS1_30default_config_static_selectorELNS0_4arch9wavefront6targetE0EEEvT1_,"axG",@progbits,_ZN7rocprim17ROCPRIM_400000_NS6detail17trampoline_kernelINS0_14default_configENS1_35adjacent_difference_config_selectorILb1EjEEZNS1_24adjacent_difference_implIS3_Lb1ELb0EPjN6thrust23THRUST_200600_302600_NS16discard_iteratorINS9_11use_defaultEEENS9_5minusIjEEEE10hipError_tPvRmT2_T3_mT4_P12ihipStream_tbEUlT_E_NS1_11comp_targetILNS1_3genE5ELNS1_11target_archE942ELNS1_3gpuE9ELNS1_3repE0EEENS1_30default_config_static_selectorELNS0_4arch9wavefront6targetE0EEEvT1_,comdat
	.protected	_ZN7rocprim17ROCPRIM_400000_NS6detail17trampoline_kernelINS0_14default_configENS1_35adjacent_difference_config_selectorILb1EjEEZNS1_24adjacent_difference_implIS3_Lb1ELb0EPjN6thrust23THRUST_200600_302600_NS16discard_iteratorINS9_11use_defaultEEENS9_5minusIjEEEE10hipError_tPvRmT2_T3_mT4_P12ihipStream_tbEUlT_E_NS1_11comp_targetILNS1_3genE5ELNS1_11target_archE942ELNS1_3gpuE9ELNS1_3repE0EEENS1_30default_config_static_selectorELNS0_4arch9wavefront6targetE0EEEvT1_ ; -- Begin function _ZN7rocprim17ROCPRIM_400000_NS6detail17trampoline_kernelINS0_14default_configENS1_35adjacent_difference_config_selectorILb1EjEEZNS1_24adjacent_difference_implIS3_Lb1ELb0EPjN6thrust23THRUST_200600_302600_NS16discard_iteratorINS9_11use_defaultEEENS9_5minusIjEEEE10hipError_tPvRmT2_T3_mT4_P12ihipStream_tbEUlT_E_NS1_11comp_targetILNS1_3genE5ELNS1_11target_archE942ELNS1_3gpuE9ELNS1_3repE0EEENS1_30default_config_static_selectorELNS0_4arch9wavefront6targetE0EEEvT1_
	.globl	_ZN7rocprim17ROCPRIM_400000_NS6detail17trampoline_kernelINS0_14default_configENS1_35adjacent_difference_config_selectorILb1EjEEZNS1_24adjacent_difference_implIS3_Lb1ELb0EPjN6thrust23THRUST_200600_302600_NS16discard_iteratorINS9_11use_defaultEEENS9_5minusIjEEEE10hipError_tPvRmT2_T3_mT4_P12ihipStream_tbEUlT_E_NS1_11comp_targetILNS1_3genE5ELNS1_11target_archE942ELNS1_3gpuE9ELNS1_3repE0EEENS1_30default_config_static_selectorELNS0_4arch9wavefront6targetE0EEEvT1_
	.p2align	8
	.type	_ZN7rocprim17ROCPRIM_400000_NS6detail17trampoline_kernelINS0_14default_configENS1_35adjacent_difference_config_selectorILb1EjEEZNS1_24adjacent_difference_implIS3_Lb1ELb0EPjN6thrust23THRUST_200600_302600_NS16discard_iteratorINS9_11use_defaultEEENS9_5minusIjEEEE10hipError_tPvRmT2_T3_mT4_P12ihipStream_tbEUlT_E_NS1_11comp_targetILNS1_3genE5ELNS1_11target_archE942ELNS1_3gpuE9ELNS1_3repE0EEENS1_30default_config_static_selectorELNS0_4arch9wavefront6targetE0EEEvT1_,@function
_ZN7rocprim17ROCPRIM_400000_NS6detail17trampoline_kernelINS0_14default_configENS1_35adjacent_difference_config_selectorILb1EjEEZNS1_24adjacent_difference_implIS3_Lb1ELb0EPjN6thrust23THRUST_200600_302600_NS16discard_iteratorINS9_11use_defaultEEENS9_5minusIjEEEE10hipError_tPvRmT2_T3_mT4_P12ihipStream_tbEUlT_E_NS1_11comp_targetILNS1_3genE5ELNS1_11target_archE942ELNS1_3gpuE9ELNS1_3repE0EEENS1_30default_config_static_selectorELNS0_4arch9wavefront6targetE0EEEvT1_: ; @_ZN7rocprim17ROCPRIM_400000_NS6detail17trampoline_kernelINS0_14default_configENS1_35adjacent_difference_config_selectorILb1EjEEZNS1_24adjacent_difference_implIS3_Lb1ELb0EPjN6thrust23THRUST_200600_302600_NS16discard_iteratorINS9_11use_defaultEEENS9_5minusIjEEEE10hipError_tPvRmT2_T3_mT4_P12ihipStream_tbEUlT_E_NS1_11comp_targetILNS1_3genE5ELNS1_11target_archE942ELNS1_3gpuE9ELNS1_3repE0EEENS1_30default_config_static_selectorELNS0_4arch9wavefront6targetE0EEEvT1_
; %bb.0:
	.section	.rodata,"a",@progbits
	.p2align	6, 0x0
	.amdhsa_kernel _ZN7rocprim17ROCPRIM_400000_NS6detail17trampoline_kernelINS0_14default_configENS1_35adjacent_difference_config_selectorILb1EjEEZNS1_24adjacent_difference_implIS3_Lb1ELb0EPjN6thrust23THRUST_200600_302600_NS16discard_iteratorINS9_11use_defaultEEENS9_5minusIjEEEE10hipError_tPvRmT2_T3_mT4_P12ihipStream_tbEUlT_E_NS1_11comp_targetILNS1_3genE5ELNS1_11target_archE942ELNS1_3gpuE9ELNS1_3repE0EEENS1_30default_config_static_selectorELNS0_4arch9wavefront6targetE0EEEvT1_
		.amdhsa_group_segment_fixed_size 0
		.amdhsa_private_segment_fixed_size 0
		.amdhsa_kernarg_size 64
		.amdhsa_user_sgpr_count 15
		.amdhsa_user_sgpr_dispatch_ptr 0
		.amdhsa_user_sgpr_queue_ptr 0
		.amdhsa_user_sgpr_kernarg_segment_ptr 1
		.amdhsa_user_sgpr_dispatch_id 0
		.amdhsa_user_sgpr_private_segment_size 0
		.amdhsa_wavefront_size32 1
		.amdhsa_uses_dynamic_stack 0
		.amdhsa_enable_private_segment 0
		.amdhsa_system_sgpr_workgroup_id_x 1
		.amdhsa_system_sgpr_workgroup_id_y 0
		.amdhsa_system_sgpr_workgroup_id_z 0
		.amdhsa_system_sgpr_workgroup_info 0
		.amdhsa_system_vgpr_workitem_id 0
		.amdhsa_next_free_vgpr 1
		.amdhsa_next_free_sgpr 1
		.amdhsa_reserve_vcc 0
		.amdhsa_float_round_mode_32 0
		.amdhsa_float_round_mode_16_64 0
		.amdhsa_float_denorm_mode_32 3
		.amdhsa_float_denorm_mode_16_64 3
		.amdhsa_dx10_clamp 1
		.amdhsa_ieee_mode 1
		.amdhsa_fp16_overflow 0
		.amdhsa_workgroup_processor_mode 1
		.amdhsa_memory_ordered 1
		.amdhsa_forward_progress 0
		.amdhsa_shared_vgpr_count 0
		.amdhsa_exception_fp_ieee_invalid_op 0
		.amdhsa_exception_fp_denorm_src 0
		.amdhsa_exception_fp_ieee_div_zero 0
		.amdhsa_exception_fp_ieee_overflow 0
		.amdhsa_exception_fp_ieee_underflow 0
		.amdhsa_exception_fp_ieee_inexact 0
		.amdhsa_exception_int_div_zero 0
	.end_amdhsa_kernel
	.section	.text._ZN7rocprim17ROCPRIM_400000_NS6detail17trampoline_kernelINS0_14default_configENS1_35adjacent_difference_config_selectorILb1EjEEZNS1_24adjacent_difference_implIS3_Lb1ELb0EPjN6thrust23THRUST_200600_302600_NS16discard_iteratorINS9_11use_defaultEEENS9_5minusIjEEEE10hipError_tPvRmT2_T3_mT4_P12ihipStream_tbEUlT_E_NS1_11comp_targetILNS1_3genE5ELNS1_11target_archE942ELNS1_3gpuE9ELNS1_3repE0EEENS1_30default_config_static_selectorELNS0_4arch9wavefront6targetE0EEEvT1_,"axG",@progbits,_ZN7rocprim17ROCPRIM_400000_NS6detail17trampoline_kernelINS0_14default_configENS1_35adjacent_difference_config_selectorILb1EjEEZNS1_24adjacent_difference_implIS3_Lb1ELb0EPjN6thrust23THRUST_200600_302600_NS16discard_iteratorINS9_11use_defaultEEENS9_5minusIjEEEE10hipError_tPvRmT2_T3_mT4_P12ihipStream_tbEUlT_E_NS1_11comp_targetILNS1_3genE5ELNS1_11target_archE942ELNS1_3gpuE9ELNS1_3repE0EEENS1_30default_config_static_selectorELNS0_4arch9wavefront6targetE0EEEvT1_,comdat
.Lfunc_end835:
	.size	_ZN7rocprim17ROCPRIM_400000_NS6detail17trampoline_kernelINS0_14default_configENS1_35adjacent_difference_config_selectorILb1EjEEZNS1_24adjacent_difference_implIS3_Lb1ELb0EPjN6thrust23THRUST_200600_302600_NS16discard_iteratorINS9_11use_defaultEEENS9_5minusIjEEEE10hipError_tPvRmT2_T3_mT4_P12ihipStream_tbEUlT_E_NS1_11comp_targetILNS1_3genE5ELNS1_11target_archE942ELNS1_3gpuE9ELNS1_3repE0EEENS1_30default_config_static_selectorELNS0_4arch9wavefront6targetE0EEEvT1_, .Lfunc_end835-_ZN7rocprim17ROCPRIM_400000_NS6detail17trampoline_kernelINS0_14default_configENS1_35adjacent_difference_config_selectorILb1EjEEZNS1_24adjacent_difference_implIS3_Lb1ELb0EPjN6thrust23THRUST_200600_302600_NS16discard_iteratorINS9_11use_defaultEEENS9_5minusIjEEEE10hipError_tPvRmT2_T3_mT4_P12ihipStream_tbEUlT_E_NS1_11comp_targetILNS1_3genE5ELNS1_11target_archE942ELNS1_3gpuE9ELNS1_3repE0EEENS1_30default_config_static_selectorELNS0_4arch9wavefront6targetE0EEEvT1_
                                        ; -- End function
	.section	.AMDGPU.csdata,"",@progbits
; Kernel info:
; codeLenInByte = 0
; NumSgprs: 0
; NumVgprs: 0
; ScratchSize: 0
; MemoryBound: 0
; FloatMode: 240
; IeeeMode: 1
; LDSByteSize: 0 bytes/workgroup (compile time only)
; SGPRBlocks: 0
; VGPRBlocks: 0
; NumSGPRsForWavesPerEU: 1
; NumVGPRsForWavesPerEU: 1
; Occupancy: 16
; WaveLimiterHint : 0
; COMPUTE_PGM_RSRC2:SCRATCH_EN: 0
; COMPUTE_PGM_RSRC2:USER_SGPR: 15
; COMPUTE_PGM_RSRC2:TRAP_HANDLER: 0
; COMPUTE_PGM_RSRC2:TGID_X_EN: 1
; COMPUTE_PGM_RSRC2:TGID_Y_EN: 0
; COMPUTE_PGM_RSRC2:TGID_Z_EN: 0
; COMPUTE_PGM_RSRC2:TIDIG_COMP_CNT: 0
	.section	.text._ZN7rocprim17ROCPRIM_400000_NS6detail17trampoline_kernelINS0_14default_configENS1_35adjacent_difference_config_selectorILb1EjEEZNS1_24adjacent_difference_implIS3_Lb1ELb0EPjN6thrust23THRUST_200600_302600_NS16discard_iteratorINS9_11use_defaultEEENS9_5minusIjEEEE10hipError_tPvRmT2_T3_mT4_P12ihipStream_tbEUlT_E_NS1_11comp_targetILNS1_3genE4ELNS1_11target_archE910ELNS1_3gpuE8ELNS1_3repE0EEENS1_30default_config_static_selectorELNS0_4arch9wavefront6targetE0EEEvT1_,"axG",@progbits,_ZN7rocprim17ROCPRIM_400000_NS6detail17trampoline_kernelINS0_14default_configENS1_35adjacent_difference_config_selectorILb1EjEEZNS1_24adjacent_difference_implIS3_Lb1ELb0EPjN6thrust23THRUST_200600_302600_NS16discard_iteratorINS9_11use_defaultEEENS9_5minusIjEEEE10hipError_tPvRmT2_T3_mT4_P12ihipStream_tbEUlT_E_NS1_11comp_targetILNS1_3genE4ELNS1_11target_archE910ELNS1_3gpuE8ELNS1_3repE0EEENS1_30default_config_static_selectorELNS0_4arch9wavefront6targetE0EEEvT1_,comdat
	.protected	_ZN7rocprim17ROCPRIM_400000_NS6detail17trampoline_kernelINS0_14default_configENS1_35adjacent_difference_config_selectorILb1EjEEZNS1_24adjacent_difference_implIS3_Lb1ELb0EPjN6thrust23THRUST_200600_302600_NS16discard_iteratorINS9_11use_defaultEEENS9_5minusIjEEEE10hipError_tPvRmT2_T3_mT4_P12ihipStream_tbEUlT_E_NS1_11comp_targetILNS1_3genE4ELNS1_11target_archE910ELNS1_3gpuE8ELNS1_3repE0EEENS1_30default_config_static_selectorELNS0_4arch9wavefront6targetE0EEEvT1_ ; -- Begin function _ZN7rocprim17ROCPRIM_400000_NS6detail17trampoline_kernelINS0_14default_configENS1_35adjacent_difference_config_selectorILb1EjEEZNS1_24adjacent_difference_implIS3_Lb1ELb0EPjN6thrust23THRUST_200600_302600_NS16discard_iteratorINS9_11use_defaultEEENS9_5minusIjEEEE10hipError_tPvRmT2_T3_mT4_P12ihipStream_tbEUlT_E_NS1_11comp_targetILNS1_3genE4ELNS1_11target_archE910ELNS1_3gpuE8ELNS1_3repE0EEENS1_30default_config_static_selectorELNS0_4arch9wavefront6targetE0EEEvT1_
	.globl	_ZN7rocprim17ROCPRIM_400000_NS6detail17trampoline_kernelINS0_14default_configENS1_35adjacent_difference_config_selectorILb1EjEEZNS1_24adjacent_difference_implIS3_Lb1ELb0EPjN6thrust23THRUST_200600_302600_NS16discard_iteratorINS9_11use_defaultEEENS9_5minusIjEEEE10hipError_tPvRmT2_T3_mT4_P12ihipStream_tbEUlT_E_NS1_11comp_targetILNS1_3genE4ELNS1_11target_archE910ELNS1_3gpuE8ELNS1_3repE0EEENS1_30default_config_static_selectorELNS0_4arch9wavefront6targetE0EEEvT1_
	.p2align	8
	.type	_ZN7rocprim17ROCPRIM_400000_NS6detail17trampoline_kernelINS0_14default_configENS1_35adjacent_difference_config_selectorILb1EjEEZNS1_24adjacent_difference_implIS3_Lb1ELb0EPjN6thrust23THRUST_200600_302600_NS16discard_iteratorINS9_11use_defaultEEENS9_5minusIjEEEE10hipError_tPvRmT2_T3_mT4_P12ihipStream_tbEUlT_E_NS1_11comp_targetILNS1_3genE4ELNS1_11target_archE910ELNS1_3gpuE8ELNS1_3repE0EEENS1_30default_config_static_selectorELNS0_4arch9wavefront6targetE0EEEvT1_,@function
_ZN7rocprim17ROCPRIM_400000_NS6detail17trampoline_kernelINS0_14default_configENS1_35adjacent_difference_config_selectorILb1EjEEZNS1_24adjacent_difference_implIS3_Lb1ELb0EPjN6thrust23THRUST_200600_302600_NS16discard_iteratorINS9_11use_defaultEEENS9_5minusIjEEEE10hipError_tPvRmT2_T3_mT4_P12ihipStream_tbEUlT_E_NS1_11comp_targetILNS1_3genE4ELNS1_11target_archE910ELNS1_3gpuE8ELNS1_3repE0EEENS1_30default_config_static_selectorELNS0_4arch9wavefront6targetE0EEEvT1_: ; @_ZN7rocprim17ROCPRIM_400000_NS6detail17trampoline_kernelINS0_14default_configENS1_35adjacent_difference_config_selectorILb1EjEEZNS1_24adjacent_difference_implIS3_Lb1ELb0EPjN6thrust23THRUST_200600_302600_NS16discard_iteratorINS9_11use_defaultEEENS9_5minusIjEEEE10hipError_tPvRmT2_T3_mT4_P12ihipStream_tbEUlT_E_NS1_11comp_targetILNS1_3genE4ELNS1_11target_archE910ELNS1_3gpuE8ELNS1_3repE0EEENS1_30default_config_static_selectorELNS0_4arch9wavefront6targetE0EEEvT1_
; %bb.0:
	.section	.rodata,"a",@progbits
	.p2align	6, 0x0
	.amdhsa_kernel _ZN7rocprim17ROCPRIM_400000_NS6detail17trampoline_kernelINS0_14default_configENS1_35adjacent_difference_config_selectorILb1EjEEZNS1_24adjacent_difference_implIS3_Lb1ELb0EPjN6thrust23THRUST_200600_302600_NS16discard_iteratorINS9_11use_defaultEEENS9_5minusIjEEEE10hipError_tPvRmT2_T3_mT4_P12ihipStream_tbEUlT_E_NS1_11comp_targetILNS1_3genE4ELNS1_11target_archE910ELNS1_3gpuE8ELNS1_3repE0EEENS1_30default_config_static_selectorELNS0_4arch9wavefront6targetE0EEEvT1_
		.amdhsa_group_segment_fixed_size 0
		.amdhsa_private_segment_fixed_size 0
		.amdhsa_kernarg_size 64
		.amdhsa_user_sgpr_count 15
		.amdhsa_user_sgpr_dispatch_ptr 0
		.amdhsa_user_sgpr_queue_ptr 0
		.amdhsa_user_sgpr_kernarg_segment_ptr 1
		.amdhsa_user_sgpr_dispatch_id 0
		.amdhsa_user_sgpr_private_segment_size 0
		.amdhsa_wavefront_size32 1
		.amdhsa_uses_dynamic_stack 0
		.amdhsa_enable_private_segment 0
		.amdhsa_system_sgpr_workgroup_id_x 1
		.amdhsa_system_sgpr_workgroup_id_y 0
		.amdhsa_system_sgpr_workgroup_id_z 0
		.amdhsa_system_sgpr_workgroup_info 0
		.amdhsa_system_vgpr_workitem_id 0
		.amdhsa_next_free_vgpr 1
		.amdhsa_next_free_sgpr 1
		.amdhsa_reserve_vcc 0
		.amdhsa_float_round_mode_32 0
		.amdhsa_float_round_mode_16_64 0
		.amdhsa_float_denorm_mode_32 3
		.amdhsa_float_denorm_mode_16_64 3
		.amdhsa_dx10_clamp 1
		.amdhsa_ieee_mode 1
		.amdhsa_fp16_overflow 0
		.amdhsa_workgroup_processor_mode 1
		.amdhsa_memory_ordered 1
		.amdhsa_forward_progress 0
		.amdhsa_shared_vgpr_count 0
		.amdhsa_exception_fp_ieee_invalid_op 0
		.amdhsa_exception_fp_denorm_src 0
		.amdhsa_exception_fp_ieee_div_zero 0
		.amdhsa_exception_fp_ieee_overflow 0
		.amdhsa_exception_fp_ieee_underflow 0
		.amdhsa_exception_fp_ieee_inexact 0
		.amdhsa_exception_int_div_zero 0
	.end_amdhsa_kernel
	.section	.text._ZN7rocprim17ROCPRIM_400000_NS6detail17trampoline_kernelINS0_14default_configENS1_35adjacent_difference_config_selectorILb1EjEEZNS1_24adjacent_difference_implIS3_Lb1ELb0EPjN6thrust23THRUST_200600_302600_NS16discard_iteratorINS9_11use_defaultEEENS9_5minusIjEEEE10hipError_tPvRmT2_T3_mT4_P12ihipStream_tbEUlT_E_NS1_11comp_targetILNS1_3genE4ELNS1_11target_archE910ELNS1_3gpuE8ELNS1_3repE0EEENS1_30default_config_static_selectorELNS0_4arch9wavefront6targetE0EEEvT1_,"axG",@progbits,_ZN7rocprim17ROCPRIM_400000_NS6detail17trampoline_kernelINS0_14default_configENS1_35adjacent_difference_config_selectorILb1EjEEZNS1_24adjacent_difference_implIS3_Lb1ELb0EPjN6thrust23THRUST_200600_302600_NS16discard_iteratorINS9_11use_defaultEEENS9_5minusIjEEEE10hipError_tPvRmT2_T3_mT4_P12ihipStream_tbEUlT_E_NS1_11comp_targetILNS1_3genE4ELNS1_11target_archE910ELNS1_3gpuE8ELNS1_3repE0EEENS1_30default_config_static_selectorELNS0_4arch9wavefront6targetE0EEEvT1_,comdat
.Lfunc_end836:
	.size	_ZN7rocprim17ROCPRIM_400000_NS6detail17trampoline_kernelINS0_14default_configENS1_35adjacent_difference_config_selectorILb1EjEEZNS1_24adjacent_difference_implIS3_Lb1ELb0EPjN6thrust23THRUST_200600_302600_NS16discard_iteratorINS9_11use_defaultEEENS9_5minusIjEEEE10hipError_tPvRmT2_T3_mT4_P12ihipStream_tbEUlT_E_NS1_11comp_targetILNS1_3genE4ELNS1_11target_archE910ELNS1_3gpuE8ELNS1_3repE0EEENS1_30default_config_static_selectorELNS0_4arch9wavefront6targetE0EEEvT1_, .Lfunc_end836-_ZN7rocprim17ROCPRIM_400000_NS6detail17trampoline_kernelINS0_14default_configENS1_35adjacent_difference_config_selectorILb1EjEEZNS1_24adjacent_difference_implIS3_Lb1ELb0EPjN6thrust23THRUST_200600_302600_NS16discard_iteratorINS9_11use_defaultEEENS9_5minusIjEEEE10hipError_tPvRmT2_T3_mT4_P12ihipStream_tbEUlT_E_NS1_11comp_targetILNS1_3genE4ELNS1_11target_archE910ELNS1_3gpuE8ELNS1_3repE0EEENS1_30default_config_static_selectorELNS0_4arch9wavefront6targetE0EEEvT1_
                                        ; -- End function
	.section	.AMDGPU.csdata,"",@progbits
; Kernel info:
; codeLenInByte = 0
; NumSgprs: 0
; NumVgprs: 0
; ScratchSize: 0
; MemoryBound: 0
; FloatMode: 240
; IeeeMode: 1
; LDSByteSize: 0 bytes/workgroup (compile time only)
; SGPRBlocks: 0
; VGPRBlocks: 0
; NumSGPRsForWavesPerEU: 1
; NumVGPRsForWavesPerEU: 1
; Occupancy: 16
; WaveLimiterHint : 0
; COMPUTE_PGM_RSRC2:SCRATCH_EN: 0
; COMPUTE_PGM_RSRC2:USER_SGPR: 15
; COMPUTE_PGM_RSRC2:TRAP_HANDLER: 0
; COMPUTE_PGM_RSRC2:TGID_X_EN: 1
; COMPUTE_PGM_RSRC2:TGID_Y_EN: 0
; COMPUTE_PGM_RSRC2:TGID_Z_EN: 0
; COMPUTE_PGM_RSRC2:TIDIG_COMP_CNT: 0
	.section	.text._ZN7rocprim17ROCPRIM_400000_NS6detail17trampoline_kernelINS0_14default_configENS1_35adjacent_difference_config_selectorILb1EjEEZNS1_24adjacent_difference_implIS3_Lb1ELb0EPjN6thrust23THRUST_200600_302600_NS16discard_iteratorINS9_11use_defaultEEENS9_5minusIjEEEE10hipError_tPvRmT2_T3_mT4_P12ihipStream_tbEUlT_E_NS1_11comp_targetILNS1_3genE3ELNS1_11target_archE908ELNS1_3gpuE7ELNS1_3repE0EEENS1_30default_config_static_selectorELNS0_4arch9wavefront6targetE0EEEvT1_,"axG",@progbits,_ZN7rocprim17ROCPRIM_400000_NS6detail17trampoline_kernelINS0_14default_configENS1_35adjacent_difference_config_selectorILb1EjEEZNS1_24adjacent_difference_implIS3_Lb1ELb0EPjN6thrust23THRUST_200600_302600_NS16discard_iteratorINS9_11use_defaultEEENS9_5minusIjEEEE10hipError_tPvRmT2_T3_mT4_P12ihipStream_tbEUlT_E_NS1_11comp_targetILNS1_3genE3ELNS1_11target_archE908ELNS1_3gpuE7ELNS1_3repE0EEENS1_30default_config_static_selectorELNS0_4arch9wavefront6targetE0EEEvT1_,comdat
	.protected	_ZN7rocprim17ROCPRIM_400000_NS6detail17trampoline_kernelINS0_14default_configENS1_35adjacent_difference_config_selectorILb1EjEEZNS1_24adjacent_difference_implIS3_Lb1ELb0EPjN6thrust23THRUST_200600_302600_NS16discard_iteratorINS9_11use_defaultEEENS9_5minusIjEEEE10hipError_tPvRmT2_T3_mT4_P12ihipStream_tbEUlT_E_NS1_11comp_targetILNS1_3genE3ELNS1_11target_archE908ELNS1_3gpuE7ELNS1_3repE0EEENS1_30default_config_static_selectorELNS0_4arch9wavefront6targetE0EEEvT1_ ; -- Begin function _ZN7rocprim17ROCPRIM_400000_NS6detail17trampoline_kernelINS0_14default_configENS1_35adjacent_difference_config_selectorILb1EjEEZNS1_24adjacent_difference_implIS3_Lb1ELb0EPjN6thrust23THRUST_200600_302600_NS16discard_iteratorINS9_11use_defaultEEENS9_5minusIjEEEE10hipError_tPvRmT2_T3_mT4_P12ihipStream_tbEUlT_E_NS1_11comp_targetILNS1_3genE3ELNS1_11target_archE908ELNS1_3gpuE7ELNS1_3repE0EEENS1_30default_config_static_selectorELNS0_4arch9wavefront6targetE0EEEvT1_
	.globl	_ZN7rocprim17ROCPRIM_400000_NS6detail17trampoline_kernelINS0_14default_configENS1_35adjacent_difference_config_selectorILb1EjEEZNS1_24adjacent_difference_implIS3_Lb1ELb0EPjN6thrust23THRUST_200600_302600_NS16discard_iteratorINS9_11use_defaultEEENS9_5minusIjEEEE10hipError_tPvRmT2_T3_mT4_P12ihipStream_tbEUlT_E_NS1_11comp_targetILNS1_3genE3ELNS1_11target_archE908ELNS1_3gpuE7ELNS1_3repE0EEENS1_30default_config_static_selectorELNS0_4arch9wavefront6targetE0EEEvT1_
	.p2align	8
	.type	_ZN7rocprim17ROCPRIM_400000_NS6detail17trampoline_kernelINS0_14default_configENS1_35adjacent_difference_config_selectorILb1EjEEZNS1_24adjacent_difference_implIS3_Lb1ELb0EPjN6thrust23THRUST_200600_302600_NS16discard_iteratorINS9_11use_defaultEEENS9_5minusIjEEEE10hipError_tPvRmT2_T3_mT4_P12ihipStream_tbEUlT_E_NS1_11comp_targetILNS1_3genE3ELNS1_11target_archE908ELNS1_3gpuE7ELNS1_3repE0EEENS1_30default_config_static_selectorELNS0_4arch9wavefront6targetE0EEEvT1_,@function
_ZN7rocprim17ROCPRIM_400000_NS6detail17trampoline_kernelINS0_14default_configENS1_35adjacent_difference_config_selectorILb1EjEEZNS1_24adjacent_difference_implIS3_Lb1ELb0EPjN6thrust23THRUST_200600_302600_NS16discard_iteratorINS9_11use_defaultEEENS9_5minusIjEEEE10hipError_tPvRmT2_T3_mT4_P12ihipStream_tbEUlT_E_NS1_11comp_targetILNS1_3genE3ELNS1_11target_archE908ELNS1_3gpuE7ELNS1_3repE0EEENS1_30default_config_static_selectorELNS0_4arch9wavefront6targetE0EEEvT1_: ; @_ZN7rocprim17ROCPRIM_400000_NS6detail17trampoline_kernelINS0_14default_configENS1_35adjacent_difference_config_selectorILb1EjEEZNS1_24adjacent_difference_implIS3_Lb1ELb0EPjN6thrust23THRUST_200600_302600_NS16discard_iteratorINS9_11use_defaultEEENS9_5minusIjEEEE10hipError_tPvRmT2_T3_mT4_P12ihipStream_tbEUlT_E_NS1_11comp_targetILNS1_3genE3ELNS1_11target_archE908ELNS1_3gpuE7ELNS1_3repE0EEENS1_30default_config_static_selectorELNS0_4arch9wavefront6targetE0EEEvT1_
; %bb.0:
	.section	.rodata,"a",@progbits
	.p2align	6, 0x0
	.amdhsa_kernel _ZN7rocprim17ROCPRIM_400000_NS6detail17trampoline_kernelINS0_14default_configENS1_35adjacent_difference_config_selectorILb1EjEEZNS1_24adjacent_difference_implIS3_Lb1ELb0EPjN6thrust23THRUST_200600_302600_NS16discard_iteratorINS9_11use_defaultEEENS9_5minusIjEEEE10hipError_tPvRmT2_T3_mT4_P12ihipStream_tbEUlT_E_NS1_11comp_targetILNS1_3genE3ELNS1_11target_archE908ELNS1_3gpuE7ELNS1_3repE0EEENS1_30default_config_static_selectorELNS0_4arch9wavefront6targetE0EEEvT1_
		.amdhsa_group_segment_fixed_size 0
		.amdhsa_private_segment_fixed_size 0
		.amdhsa_kernarg_size 64
		.amdhsa_user_sgpr_count 15
		.amdhsa_user_sgpr_dispatch_ptr 0
		.amdhsa_user_sgpr_queue_ptr 0
		.amdhsa_user_sgpr_kernarg_segment_ptr 1
		.amdhsa_user_sgpr_dispatch_id 0
		.amdhsa_user_sgpr_private_segment_size 0
		.amdhsa_wavefront_size32 1
		.amdhsa_uses_dynamic_stack 0
		.amdhsa_enable_private_segment 0
		.amdhsa_system_sgpr_workgroup_id_x 1
		.amdhsa_system_sgpr_workgroup_id_y 0
		.amdhsa_system_sgpr_workgroup_id_z 0
		.amdhsa_system_sgpr_workgroup_info 0
		.amdhsa_system_vgpr_workitem_id 0
		.amdhsa_next_free_vgpr 1
		.amdhsa_next_free_sgpr 1
		.amdhsa_reserve_vcc 0
		.amdhsa_float_round_mode_32 0
		.amdhsa_float_round_mode_16_64 0
		.amdhsa_float_denorm_mode_32 3
		.amdhsa_float_denorm_mode_16_64 3
		.amdhsa_dx10_clamp 1
		.amdhsa_ieee_mode 1
		.amdhsa_fp16_overflow 0
		.amdhsa_workgroup_processor_mode 1
		.amdhsa_memory_ordered 1
		.amdhsa_forward_progress 0
		.amdhsa_shared_vgpr_count 0
		.amdhsa_exception_fp_ieee_invalid_op 0
		.amdhsa_exception_fp_denorm_src 0
		.amdhsa_exception_fp_ieee_div_zero 0
		.amdhsa_exception_fp_ieee_overflow 0
		.amdhsa_exception_fp_ieee_underflow 0
		.amdhsa_exception_fp_ieee_inexact 0
		.amdhsa_exception_int_div_zero 0
	.end_amdhsa_kernel
	.section	.text._ZN7rocprim17ROCPRIM_400000_NS6detail17trampoline_kernelINS0_14default_configENS1_35adjacent_difference_config_selectorILb1EjEEZNS1_24adjacent_difference_implIS3_Lb1ELb0EPjN6thrust23THRUST_200600_302600_NS16discard_iteratorINS9_11use_defaultEEENS9_5minusIjEEEE10hipError_tPvRmT2_T3_mT4_P12ihipStream_tbEUlT_E_NS1_11comp_targetILNS1_3genE3ELNS1_11target_archE908ELNS1_3gpuE7ELNS1_3repE0EEENS1_30default_config_static_selectorELNS0_4arch9wavefront6targetE0EEEvT1_,"axG",@progbits,_ZN7rocprim17ROCPRIM_400000_NS6detail17trampoline_kernelINS0_14default_configENS1_35adjacent_difference_config_selectorILb1EjEEZNS1_24adjacent_difference_implIS3_Lb1ELb0EPjN6thrust23THRUST_200600_302600_NS16discard_iteratorINS9_11use_defaultEEENS9_5minusIjEEEE10hipError_tPvRmT2_T3_mT4_P12ihipStream_tbEUlT_E_NS1_11comp_targetILNS1_3genE3ELNS1_11target_archE908ELNS1_3gpuE7ELNS1_3repE0EEENS1_30default_config_static_selectorELNS0_4arch9wavefront6targetE0EEEvT1_,comdat
.Lfunc_end837:
	.size	_ZN7rocprim17ROCPRIM_400000_NS6detail17trampoline_kernelINS0_14default_configENS1_35adjacent_difference_config_selectorILb1EjEEZNS1_24adjacent_difference_implIS3_Lb1ELb0EPjN6thrust23THRUST_200600_302600_NS16discard_iteratorINS9_11use_defaultEEENS9_5minusIjEEEE10hipError_tPvRmT2_T3_mT4_P12ihipStream_tbEUlT_E_NS1_11comp_targetILNS1_3genE3ELNS1_11target_archE908ELNS1_3gpuE7ELNS1_3repE0EEENS1_30default_config_static_selectorELNS0_4arch9wavefront6targetE0EEEvT1_, .Lfunc_end837-_ZN7rocprim17ROCPRIM_400000_NS6detail17trampoline_kernelINS0_14default_configENS1_35adjacent_difference_config_selectorILb1EjEEZNS1_24adjacent_difference_implIS3_Lb1ELb0EPjN6thrust23THRUST_200600_302600_NS16discard_iteratorINS9_11use_defaultEEENS9_5minusIjEEEE10hipError_tPvRmT2_T3_mT4_P12ihipStream_tbEUlT_E_NS1_11comp_targetILNS1_3genE3ELNS1_11target_archE908ELNS1_3gpuE7ELNS1_3repE0EEENS1_30default_config_static_selectorELNS0_4arch9wavefront6targetE0EEEvT1_
                                        ; -- End function
	.section	.AMDGPU.csdata,"",@progbits
; Kernel info:
; codeLenInByte = 0
; NumSgprs: 0
; NumVgprs: 0
; ScratchSize: 0
; MemoryBound: 0
; FloatMode: 240
; IeeeMode: 1
; LDSByteSize: 0 bytes/workgroup (compile time only)
; SGPRBlocks: 0
; VGPRBlocks: 0
; NumSGPRsForWavesPerEU: 1
; NumVGPRsForWavesPerEU: 1
; Occupancy: 16
; WaveLimiterHint : 0
; COMPUTE_PGM_RSRC2:SCRATCH_EN: 0
; COMPUTE_PGM_RSRC2:USER_SGPR: 15
; COMPUTE_PGM_RSRC2:TRAP_HANDLER: 0
; COMPUTE_PGM_RSRC2:TGID_X_EN: 1
; COMPUTE_PGM_RSRC2:TGID_Y_EN: 0
; COMPUTE_PGM_RSRC2:TGID_Z_EN: 0
; COMPUTE_PGM_RSRC2:TIDIG_COMP_CNT: 0
	.section	.text._ZN7rocprim17ROCPRIM_400000_NS6detail17trampoline_kernelINS0_14default_configENS1_35adjacent_difference_config_selectorILb1EjEEZNS1_24adjacent_difference_implIS3_Lb1ELb0EPjN6thrust23THRUST_200600_302600_NS16discard_iteratorINS9_11use_defaultEEENS9_5minusIjEEEE10hipError_tPvRmT2_T3_mT4_P12ihipStream_tbEUlT_E_NS1_11comp_targetILNS1_3genE2ELNS1_11target_archE906ELNS1_3gpuE6ELNS1_3repE0EEENS1_30default_config_static_selectorELNS0_4arch9wavefront6targetE0EEEvT1_,"axG",@progbits,_ZN7rocprim17ROCPRIM_400000_NS6detail17trampoline_kernelINS0_14default_configENS1_35adjacent_difference_config_selectorILb1EjEEZNS1_24adjacent_difference_implIS3_Lb1ELb0EPjN6thrust23THRUST_200600_302600_NS16discard_iteratorINS9_11use_defaultEEENS9_5minusIjEEEE10hipError_tPvRmT2_T3_mT4_P12ihipStream_tbEUlT_E_NS1_11comp_targetILNS1_3genE2ELNS1_11target_archE906ELNS1_3gpuE6ELNS1_3repE0EEENS1_30default_config_static_selectorELNS0_4arch9wavefront6targetE0EEEvT1_,comdat
	.protected	_ZN7rocprim17ROCPRIM_400000_NS6detail17trampoline_kernelINS0_14default_configENS1_35adjacent_difference_config_selectorILb1EjEEZNS1_24adjacent_difference_implIS3_Lb1ELb0EPjN6thrust23THRUST_200600_302600_NS16discard_iteratorINS9_11use_defaultEEENS9_5minusIjEEEE10hipError_tPvRmT2_T3_mT4_P12ihipStream_tbEUlT_E_NS1_11comp_targetILNS1_3genE2ELNS1_11target_archE906ELNS1_3gpuE6ELNS1_3repE0EEENS1_30default_config_static_selectorELNS0_4arch9wavefront6targetE0EEEvT1_ ; -- Begin function _ZN7rocprim17ROCPRIM_400000_NS6detail17trampoline_kernelINS0_14default_configENS1_35adjacent_difference_config_selectorILb1EjEEZNS1_24adjacent_difference_implIS3_Lb1ELb0EPjN6thrust23THRUST_200600_302600_NS16discard_iteratorINS9_11use_defaultEEENS9_5minusIjEEEE10hipError_tPvRmT2_T3_mT4_P12ihipStream_tbEUlT_E_NS1_11comp_targetILNS1_3genE2ELNS1_11target_archE906ELNS1_3gpuE6ELNS1_3repE0EEENS1_30default_config_static_selectorELNS0_4arch9wavefront6targetE0EEEvT1_
	.globl	_ZN7rocprim17ROCPRIM_400000_NS6detail17trampoline_kernelINS0_14default_configENS1_35adjacent_difference_config_selectorILb1EjEEZNS1_24adjacent_difference_implIS3_Lb1ELb0EPjN6thrust23THRUST_200600_302600_NS16discard_iteratorINS9_11use_defaultEEENS9_5minusIjEEEE10hipError_tPvRmT2_T3_mT4_P12ihipStream_tbEUlT_E_NS1_11comp_targetILNS1_3genE2ELNS1_11target_archE906ELNS1_3gpuE6ELNS1_3repE0EEENS1_30default_config_static_selectorELNS0_4arch9wavefront6targetE0EEEvT1_
	.p2align	8
	.type	_ZN7rocprim17ROCPRIM_400000_NS6detail17trampoline_kernelINS0_14default_configENS1_35adjacent_difference_config_selectorILb1EjEEZNS1_24adjacent_difference_implIS3_Lb1ELb0EPjN6thrust23THRUST_200600_302600_NS16discard_iteratorINS9_11use_defaultEEENS9_5minusIjEEEE10hipError_tPvRmT2_T3_mT4_P12ihipStream_tbEUlT_E_NS1_11comp_targetILNS1_3genE2ELNS1_11target_archE906ELNS1_3gpuE6ELNS1_3repE0EEENS1_30default_config_static_selectorELNS0_4arch9wavefront6targetE0EEEvT1_,@function
_ZN7rocprim17ROCPRIM_400000_NS6detail17trampoline_kernelINS0_14default_configENS1_35adjacent_difference_config_selectorILb1EjEEZNS1_24adjacent_difference_implIS3_Lb1ELb0EPjN6thrust23THRUST_200600_302600_NS16discard_iteratorINS9_11use_defaultEEENS9_5minusIjEEEE10hipError_tPvRmT2_T3_mT4_P12ihipStream_tbEUlT_E_NS1_11comp_targetILNS1_3genE2ELNS1_11target_archE906ELNS1_3gpuE6ELNS1_3repE0EEENS1_30default_config_static_selectorELNS0_4arch9wavefront6targetE0EEEvT1_: ; @_ZN7rocprim17ROCPRIM_400000_NS6detail17trampoline_kernelINS0_14default_configENS1_35adjacent_difference_config_selectorILb1EjEEZNS1_24adjacent_difference_implIS3_Lb1ELb0EPjN6thrust23THRUST_200600_302600_NS16discard_iteratorINS9_11use_defaultEEENS9_5minusIjEEEE10hipError_tPvRmT2_T3_mT4_P12ihipStream_tbEUlT_E_NS1_11comp_targetILNS1_3genE2ELNS1_11target_archE906ELNS1_3gpuE6ELNS1_3repE0EEENS1_30default_config_static_selectorELNS0_4arch9wavefront6targetE0EEEvT1_
; %bb.0:
	.section	.rodata,"a",@progbits
	.p2align	6, 0x0
	.amdhsa_kernel _ZN7rocprim17ROCPRIM_400000_NS6detail17trampoline_kernelINS0_14default_configENS1_35adjacent_difference_config_selectorILb1EjEEZNS1_24adjacent_difference_implIS3_Lb1ELb0EPjN6thrust23THRUST_200600_302600_NS16discard_iteratorINS9_11use_defaultEEENS9_5minusIjEEEE10hipError_tPvRmT2_T3_mT4_P12ihipStream_tbEUlT_E_NS1_11comp_targetILNS1_3genE2ELNS1_11target_archE906ELNS1_3gpuE6ELNS1_3repE0EEENS1_30default_config_static_selectorELNS0_4arch9wavefront6targetE0EEEvT1_
		.amdhsa_group_segment_fixed_size 0
		.amdhsa_private_segment_fixed_size 0
		.amdhsa_kernarg_size 64
		.amdhsa_user_sgpr_count 15
		.amdhsa_user_sgpr_dispatch_ptr 0
		.amdhsa_user_sgpr_queue_ptr 0
		.amdhsa_user_sgpr_kernarg_segment_ptr 1
		.amdhsa_user_sgpr_dispatch_id 0
		.amdhsa_user_sgpr_private_segment_size 0
		.amdhsa_wavefront_size32 1
		.amdhsa_uses_dynamic_stack 0
		.amdhsa_enable_private_segment 0
		.amdhsa_system_sgpr_workgroup_id_x 1
		.amdhsa_system_sgpr_workgroup_id_y 0
		.amdhsa_system_sgpr_workgroup_id_z 0
		.amdhsa_system_sgpr_workgroup_info 0
		.amdhsa_system_vgpr_workitem_id 0
		.amdhsa_next_free_vgpr 1
		.amdhsa_next_free_sgpr 1
		.amdhsa_reserve_vcc 0
		.amdhsa_float_round_mode_32 0
		.amdhsa_float_round_mode_16_64 0
		.amdhsa_float_denorm_mode_32 3
		.amdhsa_float_denorm_mode_16_64 3
		.amdhsa_dx10_clamp 1
		.amdhsa_ieee_mode 1
		.amdhsa_fp16_overflow 0
		.amdhsa_workgroup_processor_mode 1
		.amdhsa_memory_ordered 1
		.amdhsa_forward_progress 0
		.amdhsa_shared_vgpr_count 0
		.amdhsa_exception_fp_ieee_invalid_op 0
		.amdhsa_exception_fp_denorm_src 0
		.amdhsa_exception_fp_ieee_div_zero 0
		.amdhsa_exception_fp_ieee_overflow 0
		.amdhsa_exception_fp_ieee_underflow 0
		.amdhsa_exception_fp_ieee_inexact 0
		.amdhsa_exception_int_div_zero 0
	.end_amdhsa_kernel
	.section	.text._ZN7rocprim17ROCPRIM_400000_NS6detail17trampoline_kernelINS0_14default_configENS1_35adjacent_difference_config_selectorILb1EjEEZNS1_24adjacent_difference_implIS3_Lb1ELb0EPjN6thrust23THRUST_200600_302600_NS16discard_iteratorINS9_11use_defaultEEENS9_5minusIjEEEE10hipError_tPvRmT2_T3_mT4_P12ihipStream_tbEUlT_E_NS1_11comp_targetILNS1_3genE2ELNS1_11target_archE906ELNS1_3gpuE6ELNS1_3repE0EEENS1_30default_config_static_selectorELNS0_4arch9wavefront6targetE0EEEvT1_,"axG",@progbits,_ZN7rocprim17ROCPRIM_400000_NS6detail17trampoline_kernelINS0_14default_configENS1_35adjacent_difference_config_selectorILb1EjEEZNS1_24adjacent_difference_implIS3_Lb1ELb0EPjN6thrust23THRUST_200600_302600_NS16discard_iteratorINS9_11use_defaultEEENS9_5minusIjEEEE10hipError_tPvRmT2_T3_mT4_P12ihipStream_tbEUlT_E_NS1_11comp_targetILNS1_3genE2ELNS1_11target_archE906ELNS1_3gpuE6ELNS1_3repE0EEENS1_30default_config_static_selectorELNS0_4arch9wavefront6targetE0EEEvT1_,comdat
.Lfunc_end838:
	.size	_ZN7rocprim17ROCPRIM_400000_NS6detail17trampoline_kernelINS0_14default_configENS1_35adjacent_difference_config_selectorILb1EjEEZNS1_24adjacent_difference_implIS3_Lb1ELb0EPjN6thrust23THRUST_200600_302600_NS16discard_iteratorINS9_11use_defaultEEENS9_5minusIjEEEE10hipError_tPvRmT2_T3_mT4_P12ihipStream_tbEUlT_E_NS1_11comp_targetILNS1_3genE2ELNS1_11target_archE906ELNS1_3gpuE6ELNS1_3repE0EEENS1_30default_config_static_selectorELNS0_4arch9wavefront6targetE0EEEvT1_, .Lfunc_end838-_ZN7rocprim17ROCPRIM_400000_NS6detail17trampoline_kernelINS0_14default_configENS1_35adjacent_difference_config_selectorILb1EjEEZNS1_24adjacent_difference_implIS3_Lb1ELb0EPjN6thrust23THRUST_200600_302600_NS16discard_iteratorINS9_11use_defaultEEENS9_5minusIjEEEE10hipError_tPvRmT2_T3_mT4_P12ihipStream_tbEUlT_E_NS1_11comp_targetILNS1_3genE2ELNS1_11target_archE906ELNS1_3gpuE6ELNS1_3repE0EEENS1_30default_config_static_selectorELNS0_4arch9wavefront6targetE0EEEvT1_
                                        ; -- End function
	.section	.AMDGPU.csdata,"",@progbits
; Kernel info:
; codeLenInByte = 0
; NumSgprs: 0
; NumVgprs: 0
; ScratchSize: 0
; MemoryBound: 0
; FloatMode: 240
; IeeeMode: 1
; LDSByteSize: 0 bytes/workgroup (compile time only)
; SGPRBlocks: 0
; VGPRBlocks: 0
; NumSGPRsForWavesPerEU: 1
; NumVGPRsForWavesPerEU: 1
; Occupancy: 16
; WaveLimiterHint : 0
; COMPUTE_PGM_RSRC2:SCRATCH_EN: 0
; COMPUTE_PGM_RSRC2:USER_SGPR: 15
; COMPUTE_PGM_RSRC2:TRAP_HANDLER: 0
; COMPUTE_PGM_RSRC2:TGID_X_EN: 1
; COMPUTE_PGM_RSRC2:TGID_Y_EN: 0
; COMPUTE_PGM_RSRC2:TGID_Z_EN: 0
; COMPUTE_PGM_RSRC2:TIDIG_COMP_CNT: 0
	.section	.text._ZN7rocprim17ROCPRIM_400000_NS6detail17trampoline_kernelINS0_14default_configENS1_35adjacent_difference_config_selectorILb1EjEEZNS1_24adjacent_difference_implIS3_Lb1ELb0EPjN6thrust23THRUST_200600_302600_NS16discard_iteratorINS9_11use_defaultEEENS9_5minusIjEEEE10hipError_tPvRmT2_T3_mT4_P12ihipStream_tbEUlT_E_NS1_11comp_targetILNS1_3genE9ELNS1_11target_archE1100ELNS1_3gpuE3ELNS1_3repE0EEENS1_30default_config_static_selectorELNS0_4arch9wavefront6targetE0EEEvT1_,"axG",@progbits,_ZN7rocprim17ROCPRIM_400000_NS6detail17trampoline_kernelINS0_14default_configENS1_35adjacent_difference_config_selectorILb1EjEEZNS1_24adjacent_difference_implIS3_Lb1ELb0EPjN6thrust23THRUST_200600_302600_NS16discard_iteratorINS9_11use_defaultEEENS9_5minusIjEEEE10hipError_tPvRmT2_T3_mT4_P12ihipStream_tbEUlT_E_NS1_11comp_targetILNS1_3genE9ELNS1_11target_archE1100ELNS1_3gpuE3ELNS1_3repE0EEENS1_30default_config_static_selectorELNS0_4arch9wavefront6targetE0EEEvT1_,comdat
	.protected	_ZN7rocprim17ROCPRIM_400000_NS6detail17trampoline_kernelINS0_14default_configENS1_35adjacent_difference_config_selectorILb1EjEEZNS1_24adjacent_difference_implIS3_Lb1ELb0EPjN6thrust23THRUST_200600_302600_NS16discard_iteratorINS9_11use_defaultEEENS9_5minusIjEEEE10hipError_tPvRmT2_T3_mT4_P12ihipStream_tbEUlT_E_NS1_11comp_targetILNS1_3genE9ELNS1_11target_archE1100ELNS1_3gpuE3ELNS1_3repE0EEENS1_30default_config_static_selectorELNS0_4arch9wavefront6targetE0EEEvT1_ ; -- Begin function _ZN7rocprim17ROCPRIM_400000_NS6detail17trampoline_kernelINS0_14default_configENS1_35adjacent_difference_config_selectorILb1EjEEZNS1_24adjacent_difference_implIS3_Lb1ELb0EPjN6thrust23THRUST_200600_302600_NS16discard_iteratorINS9_11use_defaultEEENS9_5minusIjEEEE10hipError_tPvRmT2_T3_mT4_P12ihipStream_tbEUlT_E_NS1_11comp_targetILNS1_3genE9ELNS1_11target_archE1100ELNS1_3gpuE3ELNS1_3repE0EEENS1_30default_config_static_selectorELNS0_4arch9wavefront6targetE0EEEvT1_
	.globl	_ZN7rocprim17ROCPRIM_400000_NS6detail17trampoline_kernelINS0_14default_configENS1_35adjacent_difference_config_selectorILb1EjEEZNS1_24adjacent_difference_implIS3_Lb1ELb0EPjN6thrust23THRUST_200600_302600_NS16discard_iteratorINS9_11use_defaultEEENS9_5minusIjEEEE10hipError_tPvRmT2_T3_mT4_P12ihipStream_tbEUlT_E_NS1_11comp_targetILNS1_3genE9ELNS1_11target_archE1100ELNS1_3gpuE3ELNS1_3repE0EEENS1_30default_config_static_selectorELNS0_4arch9wavefront6targetE0EEEvT1_
	.p2align	8
	.type	_ZN7rocprim17ROCPRIM_400000_NS6detail17trampoline_kernelINS0_14default_configENS1_35adjacent_difference_config_selectorILb1EjEEZNS1_24adjacent_difference_implIS3_Lb1ELb0EPjN6thrust23THRUST_200600_302600_NS16discard_iteratorINS9_11use_defaultEEENS9_5minusIjEEEE10hipError_tPvRmT2_T3_mT4_P12ihipStream_tbEUlT_E_NS1_11comp_targetILNS1_3genE9ELNS1_11target_archE1100ELNS1_3gpuE3ELNS1_3repE0EEENS1_30default_config_static_selectorELNS0_4arch9wavefront6targetE0EEEvT1_,@function
_ZN7rocprim17ROCPRIM_400000_NS6detail17trampoline_kernelINS0_14default_configENS1_35adjacent_difference_config_selectorILb1EjEEZNS1_24adjacent_difference_implIS3_Lb1ELb0EPjN6thrust23THRUST_200600_302600_NS16discard_iteratorINS9_11use_defaultEEENS9_5minusIjEEEE10hipError_tPvRmT2_T3_mT4_P12ihipStream_tbEUlT_E_NS1_11comp_targetILNS1_3genE9ELNS1_11target_archE1100ELNS1_3gpuE3ELNS1_3repE0EEENS1_30default_config_static_selectorELNS0_4arch9wavefront6targetE0EEEvT1_: ; @_ZN7rocprim17ROCPRIM_400000_NS6detail17trampoline_kernelINS0_14default_configENS1_35adjacent_difference_config_selectorILb1EjEEZNS1_24adjacent_difference_implIS3_Lb1ELb0EPjN6thrust23THRUST_200600_302600_NS16discard_iteratorINS9_11use_defaultEEENS9_5minusIjEEEE10hipError_tPvRmT2_T3_mT4_P12ihipStream_tbEUlT_E_NS1_11comp_targetILNS1_3genE9ELNS1_11target_archE1100ELNS1_3gpuE3ELNS1_3repE0EEENS1_30default_config_static_selectorELNS0_4arch9wavefront6targetE0EEEvT1_
; %bb.0:
	s_clause 0x1
	s_load_b128 s[4:7], s[0:1], 0x0
	s_load_b64 s[30:31], s[0:1], 0x20
	s_mov_b32 s8, s15
	s_waitcnt lgkmcnt(0)
	s_lshl_b64 s[2:3], s[6:7], 2
	s_mov_b32 s6, 0x411a7a30
	s_add_u32 s14, s4, s2
	s_addc_u32 s15, s5, s3
	s_add_u32 s2, 0x76, s6
	s_addc_u32 s3, 0, 0
	v_add_co_u32 v1, s2, 0x20000000, s2
	s_delay_alu instid0(VALU_DEP_1) | instskip(SKIP_1) | instid1(VALU_DEP_1)
	s_cmp_lg_u32 s2, 0
	s_addc_u32 s3, s3, 0x11a7b9
	v_readfirstlane_b32 s2, v1
	s_mul_i32 s4, s3, 0xfffff180
	s_delay_alu instid0(VALU_DEP_1)
	s_mul_hi_u32 s5, s2, 0xfffff180
	s_mul_i32 s6, s2, 0xfffff180
	s_sub_i32 s5, s5, s2
	s_mul_hi_u32 s7, s2, s6
	s_add_i32 s5, s5, s4
	s_mul_hi_u32 s9, s3, s6
	s_mul_i32 s4, s3, s6
	s_mul_hi_u32 s6, s2, s5
	s_mul_i32 s2, s2, s5
	s_mul_hi_u32 s10, s3, s5
	s_add_u32 s2, s7, s2
	s_addc_u32 s6, 0, s6
	s_add_u32 s2, s2, s4
	s_mul_i32 s5, s3, s5
	s_addc_u32 s2, s6, s9
	s_addc_u32 s4, s10, 0
	s_add_u32 s2, s2, s5
	s_addc_u32 s4, 0, s4
	v_add_co_u32 v1, s2, v1, s2
	s_delay_alu instid0(VALU_DEP_1) | instskip(SKIP_1) | instid1(VALU_DEP_1)
	s_cmp_lg_u32 s2, 0
	s_addc_u32 s2, s3, s4
	v_readfirstlane_b32 s3, v1
	s_mul_i32 s5, s30, s2
	s_mul_hi_u32 s4, s30, s2
	s_mul_hi_u32 s6, s31, s2
	s_mul_i32 s2, s31, s2
	s_mul_hi_u32 s7, s30, s3
	s_mul_hi_u32 s9, s31, s3
	s_mul_i32 s3, s31, s3
	s_add_u32 s5, s7, s5
	s_addc_u32 s4, 0, s4
	s_add_u32 s3, s5, s3
	s_addc_u32 s3, s4, s9
	s_addc_u32 s4, s6, 0
	s_add_u32 s2, s3, s2
	s_addc_u32 s3, 0, s4
	s_mul_i32 s5, s2, 0xe80
	s_add_u32 s4, s2, 1
	v_sub_co_u32 v1, s5, s30, s5
	s_mul_hi_u32 s6, s2, 0xe80
	s_addc_u32 s7, s3, 0
	s_mul_i32 s9, s3, 0xe80
	s_delay_alu instid0(VALU_DEP_1)
	v_subrev_co_u32 v2, s10, 0xe80, v1
	s_add_u32 s11, s2, 2
	s_addc_u32 s12, s3, 0
	s_add_i32 s6, s6, s9
	s_cmp_lg_u32 s5, 0
	v_readfirstlane_b32 s5, v2
	s_subb_u32 s6, s31, s6
	s_cmp_lg_u32 s10, 0
	s_subb_u32 s9, s6, 0
	s_delay_alu instid0(VALU_DEP_1) | instskip(SKIP_4) | instid1(SALU_CYCLE_1)
	s_cmpk_gt_u32 s5, 0xe7f
	s_cselect_b32 s5, -1, 0
	s_cmp_eq_u32 s9, 0
	v_readfirstlane_b32 s9, v1
	s_cselect_b32 s5, s5, -1
	s_cmp_lg_u32 s5, 0
	s_cselect_b32 s10, s11, s4
	s_cselect_b32 s11, s12, s7
	s_cmpk_gt_u32 s9, 0xe7f
	s_cselect_b32 s4, -1, 0
	s_cmp_eq_u32 s6, 0
	s_cselect_b32 s4, s4, -1
	s_delay_alu instid0(SALU_CYCLE_1)
	s_cmp_lg_u32 s4, 0
	s_load_b128 s[4:7], s[0:1], 0x30
	s_cselect_b32 s3, s11, s3
	s_cselect_b32 s2, s10, s2
	s_mul_i32 s0, s3, 0xe80
	s_mul_hi_u32 s1, s2, 0xe80
	s_mul_i32 s9, s2, 0xe80
	s_add_i32 s1, s1, s0
	s_sub_u32 s0, s30, s9
	s_subb_u32 s1, s31, s1
	s_mul_i32 s10, s8, 0xe80
	s_cmp_lg_u64 s[0:1], 0
	s_mov_b32 s9, 0
	s_cselect_b32 s0, -1, 0
	s_mov_b32 s1, -1
	v_cndmask_b32_e64 v1, 0, 1, s0
	s_delay_alu instid0(VALU_DEP_1) | instskip(NEXT) | instid1(VALU_DEP_1)
	v_add_co_u32 v1, s0, s2, v1
	v_add_co_ci_u32_e64 v2, null, s3, 0, s0
	s_waitcnt lgkmcnt(0)
	s_add_u32 s2, s6, s8
	s_delay_alu instid0(VALU_DEP_2) | instskip(NEXT) | instid1(VALU_DEP_2)
	v_add_co_u32 v31, vcc_lo, v1, -1
	v_add_co_ci_u32_e32 v32, vcc_lo, -1, v2, vcc_lo
	s_addc_u32 s3, s7, 0
	s_delay_alu instid0(VALU_DEP_1) | instid1(SALU_CYCLE_1)
	v_cmp_ge_u64_e64 s0, s[2:3], v[31:32]
	s_delay_alu instid0(VALU_DEP_1)
	s_and_b32 vcc_lo, exec_lo, s0
	s_cbranch_vccz .LBB839_60
; %bb.1:
	v_mul_lo_u32 v3, 0xfffff180, v31
	s_mov_b32 s11, s9
	s_mov_b32 s1, exec_lo
	s_lshl_b64 s[12:13], s[10:11], 2
	s_delay_alu instid0(SALU_CYCLE_1) | instskip(SKIP_1) | instid1(VALU_DEP_1)
	s_add_u32 s12, s14, s12
	s_addc_u32 s13, s15, s13
	v_add_nc_u32_e32 v4, s30, v3
                                        ; implicit-def: $vgpr3
	s_delay_alu instid0(VALU_DEP_1)
	v_cmpx_lt_u32_e64 v0, v4
	s_cbranch_execz .LBB839_3
; %bb.2:
	v_lshlrev_b32_e32 v3, 2, v0
	global_load_b32 v3, v3, s[12:13]
.LBB839_3:
	s_or_b32 exec_lo, exec_lo, s1
	v_or_b32_e32 v5, 0x80, v0
	s_delay_alu instid0(VALU_DEP_1)
	v_cmp_lt_u32_e32 vcc_lo, v5, v4
                                        ; implicit-def: $vgpr5
	s_and_saveexec_b32 s1, vcc_lo
	s_cbranch_execz .LBB839_5
; %bb.4:
	v_lshlrev_b32_e32 v5, 2, v0
	global_load_b32 v5, v5, s[12:13] offset:512
.LBB839_5:
	s_or_b32 exec_lo, exec_lo, s1
	v_or_b32_e32 v6, 0x100, v0
	s_delay_alu instid0(VALU_DEP_1)
	v_cmp_lt_u32_e32 vcc_lo, v6, v4
                                        ; implicit-def: $vgpr6
	s_and_saveexec_b32 s1, vcc_lo
	s_cbranch_execz .LBB839_7
; %bb.6:
	v_lshlrev_b32_e32 v6, 2, v0
	global_load_b32 v6, v6, s[12:13] offset:1024
.LBB839_7:
	s_or_b32 exec_lo, exec_lo, s1
	v_or_b32_e32 v7, 0x180, v0
	s_delay_alu instid0(VALU_DEP_1)
	v_cmp_lt_u32_e32 vcc_lo, v7, v4
                                        ; implicit-def: $vgpr7
	s_and_saveexec_b32 s1, vcc_lo
	s_cbranch_execz .LBB839_9
; %bb.8:
	v_lshlrev_b32_e32 v7, 2, v0
	global_load_b32 v7, v7, s[12:13] offset:1536
.LBB839_9:
	s_or_b32 exec_lo, exec_lo, s1
	v_or_b32_e32 v8, 0x200, v0
	s_delay_alu instid0(VALU_DEP_1)
	v_cmp_lt_u32_e32 vcc_lo, v8, v4
                                        ; implicit-def: $vgpr8
	s_and_saveexec_b32 s1, vcc_lo
	s_cbranch_execz .LBB839_11
; %bb.10:
	v_lshlrev_b32_e32 v8, 2, v0
	global_load_b32 v8, v8, s[12:13] offset:2048
.LBB839_11:
	s_or_b32 exec_lo, exec_lo, s1
	v_or_b32_e32 v9, 0x280, v0
	s_delay_alu instid0(VALU_DEP_1)
	v_cmp_lt_u32_e32 vcc_lo, v9, v4
                                        ; implicit-def: $vgpr9
	s_and_saveexec_b32 s1, vcc_lo
	s_cbranch_execz .LBB839_13
; %bb.12:
	v_lshlrev_b32_e32 v9, 2, v0
	global_load_b32 v9, v9, s[12:13] offset:2560
.LBB839_13:
	s_or_b32 exec_lo, exec_lo, s1
	v_or_b32_e32 v10, 0x300, v0
	s_delay_alu instid0(VALU_DEP_1)
	v_cmp_lt_u32_e32 vcc_lo, v10, v4
                                        ; implicit-def: $vgpr10
	s_and_saveexec_b32 s1, vcc_lo
	s_cbranch_execz .LBB839_15
; %bb.14:
	v_lshlrev_b32_e32 v10, 2, v0
	global_load_b32 v10, v10, s[12:13] offset:3072
.LBB839_15:
	s_or_b32 exec_lo, exec_lo, s1
	v_or_b32_e32 v11, 0x380, v0
	s_delay_alu instid0(VALU_DEP_1)
	v_cmp_lt_u32_e32 vcc_lo, v11, v4
                                        ; implicit-def: $vgpr11
	s_and_saveexec_b32 s1, vcc_lo
	s_cbranch_execz .LBB839_17
; %bb.16:
	v_lshlrev_b32_e32 v11, 2, v0
	global_load_b32 v11, v11, s[12:13] offset:3584
.LBB839_17:
	s_or_b32 exec_lo, exec_lo, s1
	v_or_b32_e32 v13, 0x400, v0
	s_mov_b32 s1, exec_lo
                                        ; implicit-def: $vgpr12
	s_delay_alu instid0(VALU_DEP_1)
	v_cmpx_lt_u32_e64 v13, v4
	s_cbranch_execz .LBB839_19
; %bb.18:
	v_lshlrev_b32_e32 v12, 2, v13
	global_load_b32 v12, v12, s[12:13]
.LBB839_19:
	s_or_b32 exec_lo, exec_lo, s1
	v_or_b32_e32 v14, 0x480, v0
	s_mov_b32 s1, exec_lo
                                        ; implicit-def: $vgpr13
	s_delay_alu instid0(VALU_DEP_1)
	v_cmpx_lt_u32_e64 v14, v4
	s_cbranch_execz .LBB839_21
; %bb.20:
	v_lshlrev_b32_e32 v13, 2, v14
	global_load_b32 v13, v13, s[12:13]
.LBB839_21:
	s_or_b32 exec_lo, exec_lo, s1
	v_or_b32_e32 v15, 0x500, v0
	s_mov_b32 s1, exec_lo
                                        ; implicit-def: $vgpr14
	s_delay_alu instid0(VALU_DEP_1)
	v_cmpx_lt_u32_e64 v15, v4
	s_cbranch_execz .LBB839_23
; %bb.22:
	v_lshlrev_b32_e32 v14, 2, v15
	global_load_b32 v14, v14, s[12:13]
.LBB839_23:
	s_or_b32 exec_lo, exec_lo, s1
	v_or_b32_e32 v16, 0x580, v0
	s_mov_b32 s1, exec_lo
                                        ; implicit-def: $vgpr15
	s_delay_alu instid0(VALU_DEP_1)
	v_cmpx_lt_u32_e64 v16, v4
	s_cbranch_execz .LBB839_25
; %bb.24:
	v_lshlrev_b32_e32 v15, 2, v16
	global_load_b32 v15, v15, s[12:13]
.LBB839_25:
	s_or_b32 exec_lo, exec_lo, s1
	v_or_b32_e32 v17, 0x600, v0
	s_mov_b32 s1, exec_lo
                                        ; implicit-def: $vgpr16
	s_delay_alu instid0(VALU_DEP_1)
	v_cmpx_lt_u32_e64 v17, v4
	s_cbranch_execz .LBB839_27
; %bb.26:
	v_lshlrev_b32_e32 v16, 2, v17
	global_load_b32 v16, v16, s[12:13]
.LBB839_27:
	s_or_b32 exec_lo, exec_lo, s1
	v_or_b32_e32 v18, 0x680, v0
	s_mov_b32 s1, exec_lo
                                        ; implicit-def: $vgpr17
	s_delay_alu instid0(VALU_DEP_1)
	v_cmpx_lt_u32_e64 v18, v4
	s_cbranch_execz .LBB839_29
; %bb.28:
	v_lshlrev_b32_e32 v17, 2, v18
	global_load_b32 v17, v17, s[12:13]
.LBB839_29:
	s_or_b32 exec_lo, exec_lo, s1
	v_or_b32_e32 v19, 0x700, v0
	s_mov_b32 s1, exec_lo
                                        ; implicit-def: $vgpr18
	s_delay_alu instid0(VALU_DEP_1)
	v_cmpx_lt_u32_e64 v19, v4
	s_cbranch_execz .LBB839_31
; %bb.30:
	v_lshlrev_b32_e32 v18, 2, v19
	global_load_b32 v18, v18, s[12:13]
.LBB839_31:
	s_or_b32 exec_lo, exec_lo, s1
	v_or_b32_e32 v20, 0x780, v0
	s_mov_b32 s1, exec_lo
                                        ; implicit-def: $vgpr19
	s_delay_alu instid0(VALU_DEP_1)
	v_cmpx_lt_u32_e64 v20, v4
	s_cbranch_execz .LBB839_33
; %bb.32:
	v_lshlrev_b32_e32 v19, 2, v20
	global_load_b32 v19, v19, s[12:13]
.LBB839_33:
	s_or_b32 exec_lo, exec_lo, s1
	v_or_b32_e32 v21, 0x800, v0
	s_mov_b32 s1, exec_lo
                                        ; implicit-def: $vgpr20
	s_delay_alu instid0(VALU_DEP_1)
	v_cmpx_lt_u32_e64 v21, v4
	s_cbranch_execz .LBB839_35
; %bb.34:
	v_lshlrev_b32_e32 v20, 2, v21
	global_load_b32 v20, v20, s[12:13]
.LBB839_35:
	s_or_b32 exec_lo, exec_lo, s1
	v_or_b32_e32 v22, 0x880, v0
	s_mov_b32 s1, exec_lo
                                        ; implicit-def: $vgpr21
	s_delay_alu instid0(VALU_DEP_1)
	v_cmpx_lt_u32_e64 v22, v4
	s_cbranch_execz .LBB839_37
; %bb.36:
	v_lshlrev_b32_e32 v21, 2, v22
	global_load_b32 v21, v21, s[12:13]
.LBB839_37:
	s_or_b32 exec_lo, exec_lo, s1
	v_or_b32_e32 v23, 0x900, v0
	s_mov_b32 s1, exec_lo
                                        ; implicit-def: $vgpr22
	s_delay_alu instid0(VALU_DEP_1)
	v_cmpx_lt_u32_e64 v23, v4
	s_cbranch_execz .LBB839_39
; %bb.38:
	v_lshlrev_b32_e32 v22, 2, v23
	global_load_b32 v22, v22, s[12:13]
.LBB839_39:
	s_or_b32 exec_lo, exec_lo, s1
	v_or_b32_e32 v24, 0x980, v0
	s_mov_b32 s1, exec_lo
                                        ; implicit-def: $vgpr23
	s_delay_alu instid0(VALU_DEP_1)
	v_cmpx_lt_u32_e64 v24, v4
	s_cbranch_execz .LBB839_41
; %bb.40:
	v_lshlrev_b32_e32 v23, 2, v24
	global_load_b32 v23, v23, s[12:13]
.LBB839_41:
	s_or_b32 exec_lo, exec_lo, s1
	v_or_b32_e32 v25, 0xa00, v0
	s_mov_b32 s1, exec_lo
                                        ; implicit-def: $vgpr24
	s_delay_alu instid0(VALU_DEP_1)
	v_cmpx_lt_u32_e64 v25, v4
	s_cbranch_execz .LBB839_43
; %bb.42:
	v_lshlrev_b32_e32 v24, 2, v25
	global_load_b32 v24, v24, s[12:13]
.LBB839_43:
	s_or_b32 exec_lo, exec_lo, s1
	v_or_b32_e32 v26, 0xa80, v0
	s_mov_b32 s1, exec_lo
                                        ; implicit-def: $vgpr25
	s_delay_alu instid0(VALU_DEP_1)
	v_cmpx_lt_u32_e64 v26, v4
	s_cbranch_execz .LBB839_45
; %bb.44:
	v_lshlrev_b32_e32 v25, 2, v26
	global_load_b32 v25, v25, s[12:13]
.LBB839_45:
	s_or_b32 exec_lo, exec_lo, s1
	v_or_b32_e32 v27, 0xb00, v0
	s_mov_b32 s1, exec_lo
                                        ; implicit-def: $vgpr26
	s_delay_alu instid0(VALU_DEP_1)
	v_cmpx_lt_u32_e64 v27, v4
	s_cbranch_execz .LBB839_47
; %bb.46:
	v_lshlrev_b32_e32 v26, 2, v27
	global_load_b32 v26, v26, s[12:13]
.LBB839_47:
	s_or_b32 exec_lo, exec_lo, s1
	v_or_b32_e32 v28, 0xb80, v0
	s_mov_b32 s1, exec_lo
                                        ; implicit-def: $vgpr27
	s_delay_alu instid0(VALU_DEP_1)
	v_cmpx_lt_u32_e64 v28, v4
	s_cbranch_execz .LBB839_49
; %bb.48:
	v_lshlrev_b32_e32 v27, 2, v28
	global_load_b32 v27, v27, s[12:13]
.LBB839_49:
	s_or_b32 exec_lo, exec_lo, s1
	v_or_b32_e32 v29, 0xc00, v0
	s_mov_b32 s1, exec_lo
                                        ; implicit-def: $vgpr28
	s_delay_alu instid0(VALU_DEP_1)
	v_cmpx_lt_u32_e64 v29, v4
	s_cbranch_execz .LBB839_51
; %bb.50:
	v_lshlrev_b32_e32 v28, 2, v29
	global_load_b32 v28, v28, s[12:13]
.LBB839_51:
	s_or_b32 exec_lo, exec_lo, s1
	v_or_b32_e32 v30, 0xc80, v0
	s_mov_b32 s1, exec_lo
                                        ; implicit-def: $vgpr29
	s_delay_alu instid0(VALU_DEP_1)
	v_cmpx_lt_u32_e64 v30, v4
	s_cbranch_execz .LBB839_53
; %bb.52:
	v_lshlrev_b32_e32 v29, 2, v30
	global_load_b32 v29, v29, s[12:13]
.LBB839_53:
	s_or_b32 exec_lo, exec_lo, s1
	v_or_b32_e32 v33, 0xd00, v0
	s_mov_b32 s1, exec_lo
                                        ; implicit-def: $vgpr30
	s_delay_alu instid0(VALU_DEP_1)
	v_cmpx_lt_u32_e64 v33, v4
	s_cbranch_execz .LBB839_55
; %bb.54:
	v_lshlrev_b32_e32 v30, 2, v33
	global_load_b32 v30, v30, s[12:13]
.LBB839_55:
	s_or_b32 exec_lo, exec_lo, s1
	v_or_b32_e32 v34, 0xd80, v0
	s_mov_b32 s1, exec_lo
                                        ; implicit-def: $vgpr33
	s_delay_alu instid0(VALU_DEP_1)
	v_cmpx_lt_u32_e64 v34, v4
	s_cbranch_execz .LBB839_57
; %bb.56:
	v_lshlrev_b32_e32 v33, 2, v34
	global_load_b32 v33, v33, s[12:13]
.LBB839_57:
	s_or_b32 exec_lo, exec_lo, s1
	v_or_b32_e32 v34, 0xe00, v0
	s_delay_alu instid0(VALU_DEP_1)
	v_cmp_lt_u32_e32 vcc_lo, v34, v4
                                        ; implicit-def: $vgpr4
	s_and_saveexec_b32 s1, vcc_lo
	s_cbranch_execz .LBB839_59
; %bb.58:
	v_lshlrev_b32_e32 v4, 2, v34
	global_load_b32 v4, v4, s[12:13]
.LBB839_59:
	s_or_b32 exec_lo, exec_lo, s1
	v_lshlrev_b32_e32 v34, 2, v0
	s_mov_b32 s1, 0
	s_waitcnt vmcnt(0)
	ds_store_2addr_stride64_b32 v34, v3, v5 offset1:2
	ds_store_2addr_stride64_b32 v34, v6, v7 offset0:4 offset1:6
	ds_store_2addr_stride64_b32 v34, v8, v9 offset0:8 offset1:10
	;; [unrolled: 1-line block ×13, first 2 shown]
	ds_store_b32 v34, v4 offset:14336
	s_waitcnt lgkmcnt(0)
	s_barrier
.LBB839_60:
	v_lshlrev_b32_e32 v34, 2, v0
	s_and_b32 vcc_lo, exec_lo, s1
	s_cbranch_vccz .LBB839_62
; %bb.61:
	s_mov_b32 s11, 0
	s_delay_alu instid0(SALU_CYCLE_1) | instskip(NEXT) | instid1(SALU_CYCLE_1)
	s_lshl_b64 s[10:11], s[10:11], 2
	s_add_u32 s10, s14, s10
	s_addc_u32 s11, s15, s11
	v_add_co_u32 v9, s1, s10, v34
	s_delay_alu instid0(VALU_DEP_1)
	v_add_co_ci_u32_e64 v10, null, s11, 0, s1
	s_clause 0x6
	global_load_b32 v11, v34, s[10:11] offset:512
	global_load_b32 v12, v34, s[10:11] offset:1024
	;; [unrolled: 1-line block ×7, first 2 shown]
	v_add_co_u32 v3, vcc_lo, v9, 0x2000
	v_add_co_ci_u32_e32 v4, vcc_lo, 0, v10, vcc_lo
	v_add_co_u32 v5, vcc_lo, 0x1000, v9
	v_add_co_ci_u32_e32 v6, vcc_lo, 0, v10, vcc_lo
	;; [unrolled: 2-line block ×3, first 2 shown]
	s_clause 0xa
	global_load_b32 v18, v[3:4], off offset:-4096
	global_load_b32 v19, v34, s[10:11]
	global_load_b32 v20, v[3:4], off
	global_load_b32 v21, v[5:6], off offset:512
	global_load_b32 v22, v[5:6], off offset:1024
	;; [unrolled: 1-line block ×8, first 2 shown]
	v_add_co_u32 v3, vcc_lo, 0x3000, v9
	v_add_co_ci_u32_e32 v4, vcc_lo, 0, v10, vcc_lo
	s_clause 0xa
	global_load_b32 v9, v[7:8], off offset:1024
	global_load_b32 v10, v[7:8], off offset:1536
	;; [unrolled: 1-line block ×6, first 2 shown]
	global_load_b32 v8, v[3:4], off
	global_load_b32 v30, v[3:4], off offset:512
	global_load_b32 v33, v[3:4], off offset:1024
	;; [unrolled: 1-line block ×4, first 2 shown]
	s_waitcnt vmcnt(20)
	ds_store_2addr_stride64_b32 v34, v19, v11 offset1:2
	ds_store_2addr_stride64_b32 v34, v12, v13 offset0:4 offset1:6
	ds_store_2addr_stride64_b32 v34, v14, v15 offset0:8 offset1:10
	;; [unrolled: 1-line block ×3, first 2 shown]
	s_waitcnt vmcnt(18)
	ds_store_2addr_stride64_b32 v34, v18, v21 offset0:16 offset1:18
	s_waitcnt vmcnt(16)
	ds_store_2addr_stride64_b32 v34, v22, v23 offset0:20 offset1:22
	;; [unrolled: 2-line block ×10, first 2 shown]
	s_waitcnt vmcnt(0)
	ds_store_b32 v34, v3 offset:14336
	s_waitcnt lgkmcnt(0)
	s_barrier
.LBB839_62:
	v_mul_u32_u24_e32 v3, 29, v0
	buffer_gl0_inv
	s_cmp_eq_u64 s[2:3], 0
	v_lshlrev_b32_e32 v29, 2, v3
	ds_load_b32 v33, v29 offset:112
	ds_load_2addr_b32 v[3:4], v29 offset0:26 offset1:27
	ds_load_2addr_b32 v[5:6], v29 offset0:24 offset1:25
	ds_load_2addr_b32 v[7:8], v29 offset1:1
	ds_load_2addr_b32 v[9:10], v29 offset0:2 offset1:3
	ds_load_2addr_b32 v[11:12], v29 offset0:4 offset1:5
	;; [unrolled: 1-line block ×11, first 2 shown]
	s_waitcnt lgkmcnt(0)
	s_barrier
	buffer_gl0_inv
	s_cbranch_scc1 .LBB839_67
; %bb.63:
	s_lshl_b64 s[6:7], s[6:7], 2
	v_cmp_eq_u64_e32 vcc_lo, s[2:3], v[31:32]
	s_add_u32 s1, s4, s6
	s_addc_u32 s6, s5, s7
	s_lshl_b64 s[4:5], s[8:9], 2
	s_delay_alu instid0(SALU_CYCLE_1)
	s_add_u32 s1, s1, s4
	s_addc_u32 s5, s6, s5
	s_add_u32 s4, s1, -4
	s_addc_u32 s5, s5, -1
	s_load_b32 s1, s[4:5], 0x0
	s_cbranch_vccnz .LBB839_68
; %bb.64:
	s_waitcnt lgkmcnt(0)
	v_mov_b32_e32 v31, s1
	s_mov_b32 s3, 0
	s_mov_b32 s4, exec_lo
	ds_store_b32 v34, v33
	s_waitcnt lgkmcnt(0)
	s_barrier
	buffer_gl0_inv
	v_cmpx_ne_u32_e32 0, v0
	s_cbranch_execz .LBB839_66
; %bb.65:
	v_add_nc_u32_e32 v31, -4, v34
	ds_load_b32 v31, v31
.LBB839_66:
	s_or_b32 exec_lo, exec_lo, s4
	s_waitcnt lgkmcnt(0)
	v_sub_nc_u32_e32 v31, v7, v31
	s_branch .LBB839_69
.LBB839_67:
                                        ; implicit-def: $vgpr31
                                        ; implicit-def: $vgpr61
                                        ; implicit-def: $vgpr60
                                        ; implicit-def: $vgpr59
                                        ; implicit-def: $vgpr58
                                        ; implicit-def: $vgpr57
                                        ; implicit-def: $vgpr56
                                        ; implicit-def: $vgpr55
                                        ; implicit-def: $vgpr54
                                        ; implicit-def: $vgpr53
                                        ; implicit-def: $vgpr52
                                        ; implicit-def: $vgpr51
                                        ; implicit-def: $vgpr50
                                        ; implicit-def: $vgpr49
                                        ; implicit-def: $vgpr48
                                        ; implicit-def: $vgpr47
                                        ; implicit-def: $vgpr46
                                        ; implicit-def: $vgpr45
                                        ; implicit-def: $vgpr44
                                        ; implicit-def: $vgpr43
                                        ; implicit-def: $vgpr42
                                        ; implicit-def: $vgpr41
                                        ; implicit-def: $vgpr40
                                        ; implicit-def: $vgpr39
                                        ; implicit-def: $vgpr38
                                        ; implicit-def: $vgpr37
                                        ; implicit-def: $vgpr36
                                        ; implicit-def: $vgpr35
                                        ; implicit-def: $vgpr32
	s_branch .LBB839_74
.LBB839_68:
	s_mov_b32 s3, -1
                                        ; implicit-def: $vgpr31
.LBB839_69:
	v_dual_mov_b32 v61, v7 :: v_dual_mov_b32 v60, v8
	v_dual_mov_b32 v59, v9 :: v_dual_mov_b32 v58, v10
	;; [unrolled: 1-line block ×14, first 2 shown]
	s_and_b32 vcc_lo, exec_lo, s3
	s_cbranch_vccz .LBB839_73
; %bb.70:
	v_mul_u32_u24_e32 v31, 29, v0
	s_waitcnt lgkmcnt(0)
	v_mov_b32_e32 v60, s1
	s_mov_b32 s1, exec_lo
	ds_store_b32 v34, v33
	s_waitcnt lgkmcnt(0)
	s_barrier
	buffer_gl0_inv
	v_cmpx_ne_u32_e32 0, v0
	s_cbranch_execz .LBB839_72
; %bb.71:
	v_add_nc_u32_e32 v32, -4, v34
	ds_load_b32 v60, v32
.LBB839_72:
	s_or_b32 exec_lo, exec_lo, s1
	v_add_nc_u32_e32 v32, 28, v31
	s_mul_i32 s1, s2, 0xfffff180
	v_add_nc_u32_e32 v36, 26, v31
	s_add_i32 s1, s1, s30
	v_add_nc_u32_e32 v37, 25, v31
	v_cmp_gt_u32_e32 vcc_lo, s1, v32
	v_add_nc_u32_e32 v35, 27, v31
	v_add_nc_u32_e32 v38, 24, v31
	v_add_nc_u32_e32 v39, 23, v31
	v_add_nc_u32_e32 v40, 22, v31
	v_cndmask_b32_e32 v32, 0, v4, vcc_lo
	v_cmp_gt_u32_e32 vcc_lo, s1, v35
	v_add_nc_u32_e32 v41, 21, v31
	v_add_nc_u32_e32 v42, 20, v31
	v_add_nc_u32_e32 v43, 19, v31
	v_add_nc_u32_e32 v44, 18, v31
	v_cndmask_b32_e32 v35, 0, v3, vcc_lo
	;; [unrolled: 6-line block ×3, first 2 shown]
	v_cmp_gt_u32_e32 vcc_lo, s1, v37
	v_add_nc_u32_e32 v49, 13, v31
	v_add_nc_u32_e32 v50, 12, v31
	;; [unrolled: 1-line block ×3, first 2 shown]
	v_dual_cndmask_b32 v37, 0, v5 :: v_dual_add_nc_u32 v52, 10, v31
	v_cmp_gt_u32_e32 vcc_lo, s1, v38
	v_add_nc_u32_e32 v53, 9, v31
	v_add_nc_u32_e32 v54, 8, v31
	v_add_nc_u32_e32 v55, 7, v31
	v_add_nc_u32_e32 v56, 6, v31
	v_cndmask_b32_e32 v38, 0, v30, vcc_lo
	v_cmp_gt_u32_e32 vcc_lo, s1, v39
	v_add_nc_u32_e32 v57, 5, v31
	v_add_nc_u32_e32 v58, 4, v31
	;; [unrolled: 1-line block ×4, first 2 shown]
	v_cndmask_b32_e32 v39, 0, v29, vcc_lo
	v_cmp_gt_u32_e32 vcc_lo, s1, v40
	v_add_nc_u32_e32 v62, 1, v31
	v_cndmask_b32_e32 v40, 0, v28, vcc_lo
	v_cmp_gt_u32_e32 vcc_lo, s1, v41
	v_cndmask_b32_e32 v41, 0, v27, vcc_lo
	v_cmp_gt_u32_e32 vcc_lo, s1, v42
	;; [unrolled: 2-line block ×20, first 2 shown]
	s_waitcnt lgkmcnt(0)
	v_cndmask_b32_e32 v31, 0, v60, vcc_lo
	v_cmp_gt_u32_e32 vcc_lo, s1, v61
	s_delay_alu instid0(VALU_DEP_2)
	v_sub_nc_u32_e32 v31, v7, v31
	v_cndmask_b32_e32 v60, 0, v8, vcc_lo
	v_cmp_gt_u32_e32 vcc_lo, s1, v62
	v_cndmask_b32_e32 v61, 0, v7, vcc_lo
.LBB839_73:
	s_waitcnt lgkmcnt(0)
	s_cbranch_execnz .LBB839_84
.LBB839_74:
	v_cmp_eq_u64_e32 vcc_lo, 1, v[1:2]
	v_cmp_ne_u32_e64 s1, 0, v0
	s_cbranch_vccnz .LBB839_78
; %bb.75:
	v_mov_b32_e32 v1, 0
	v_mov_b32_e32 v31, v7
	s_mov_b32 s2, 0
	ds_store_b32 v34, v33
	s_waitcnt lgkmcnt(0)
	s_barrier
	buffer_gl0_inv
	s_and_saveexec_b32 s3, s1
	s_cbranch_execz .LBB839_77
; %bb.76:
	v_add_nc_u32_e32 v1, -4, v34
	ds_load_b32 v1, v1
	s_waitcnt lgkmcnt(0)
	v_sub_nc_u32_e32 v31, v7, v1
	v_mov_b32_e32 v1, v0
.LBB839_77:
	s_or_b32 exec_lo, exec_lo, s3
	s_branch .LBB839_79
.LBB839_78:
	s_mov_b32 s2, -1
                                        ; implicit-def: $vgpr31
                                        ; implicit-def: $vgpr1
.LBB839_79:
	v_dual_mov_b32 v60, v8 :: v_dual_mov_b32 v59, v9
	v_dual_mov_b32 v58, v10 :: v_dual_mov_b32 v57, v11
	;; [unrolled: 1-line block ×13, first 2 shown]
	v_mov_b32_e32 v32, v4
	s_and_not1_b32 vcc_lo, exec_lo, s2
	s_cbranch_vccnz .LBB839_83
; %bb.80:
	v_mad_u32_u24 v1, v0, 29, 28
	v_mad_u32_u24 v2, v0, 29, 27
	;; [unrolled: 1-line block ×4, first 2 shown]
	v_mul_u32_u24_e32 v31, 29, v0
	v_cmp_gt_u32_e32 vcc_lo, s30, v1
	v_mad_u32_u24 v1, v0, 29, 25
	v_cmp_gt_u32_e64 s1, s30, v2
	v_mad_u32_u24 v2, v0, 29, 24
	v_cmp_gt_u32_e64 s2, s30, v32
	;; [unrolled: 2-line block ×5, first 2 shown]
	v_cmp_gt_u32_e64 s6, s30, v35
	v_cmp_gt_u32_e64 s7, s30, v1
	v_mad_u32_u24 v1, v0, 29, 18
	v_cmp_gt_u32_e64 s8, s30, v2
	v_mad_u32_u24 v2, v0, 29, 16
	v_mad_u32_u24 v32, v0, 29, 19
	;; [unrolled: 1-line block ×3, first 2 shown]
	v_cmp_gt_u32_e64 s10, s30, v1
	v_mad_u32_u24 v1, v0, 29, 15
	v_cmp_gt_u32_e64 s12, s30, v2
	v_mad_u32_u24 v2, v0, 29, 13
	v_cmp_gt_u32_e64 s9, s30, v32
	v_cmp_gt_u32_e64 s11, s30, v35
	;; [unrolled: 1-line block ×3, first 2 shown]
	v_mad_u32_u24 v1, v0, 29, 11
	v_mad_u32_u24 v32, v0, 29, 14
	;; [unrolled: 1-line block ×3, first 2 shown]
	v_cmp_gt_u32_e64 s15, s30, v2
	v_mad_u32_u24 v2, v0, 29, 10
	v_cmp_gt_u32_e64 s17, s30, v1
	v_mad_u32_u24 v1, v0, 29, 8
	v_cmp_gt_u32_e64 s14, s30, v32
	v_cmp_gt_u32_e64 s16, s30, v35
	v_mad_u32_u24 v32, v0, 29, 9
	v_mad_u32_u24 v35, v0, 29, 7
	v_cmp_gt_u32_e64 s18, s30, v2
	v_mad_u32_u24 v2, v0, 29, 6
	v_cmp_gt_u32_e64 s20, s30, v1
	v_mad_u32_u24 v1, v0, 29, 5
	v_cmp_gt_u32_e64 s19, s30, v32
	v_cmp_gt_u32_e64 s21, s30, v35
	v_mad_u32_u24 v32, v0, 29, 4
	v_cmp_gt_u32_e64 s22, s30, v2
	v_mad_u32_u24 v2, v0, 29, 3
	v_mad_u32_u24 v35, v0, 29, 2
	v_cmp_gt_u32_e64 s23, s30, v1
	v_mad_u32_u24 v1, v0, 29, 1
	v_cmp_ne_u32_e64 s28, 0, v0
	v_cmp_gt_u32_e64 s29, s30, v31
	v_cmp_gt_u32_e64 s24, s30, v32
	;; [unrolled: 1-line block ×5, first 2 shown]
	v_mov_b32_e32 v31, v7
	s_and_b32 s29, s28, s29
	ds_store_b32 v34, v33
	s_waitcnt lgkmcnt(0)
	s_barrier
	buffer_gl0_inv
	s_and_saveexec_b32 s28, s29
	s_cbranch_execz .LBB839_82
; %bb.81:
	v_add_nc_u32_e32 v1, -4, v34
	ds_load_b32 v1, v1
	s_waitcnt lgkmcnt(0)
	v_sub_nc_u32_e32 v31, v7, v1
.LBB839_82:
	s_or_b32 exec_lo, exec_lo, s28
	v_dual_cndmask_b32 v32, 0, v4 :: v_dual_mov_b32 v1, v0
	v_cndmask_b32_e64 v35, 0, v3, s1
	v_cndmask_b32_e64 v36, 0, v6, s2
	v_cndmask_b32_e64 v37, 0, v5, s3
	v_cndmask_b32_e64 v38, 0, v30, s4
	v_cndmask_b32_e64 v39, 0, v29, s5
	v_cndmask_b32_e64 v40, 0, v28, s6
	v_cndmask_b32_e64 v41, 0, v27, s7
	v_cndmask_b32_e64 v42, 0, v26, s8
	v_cndmask_b32_e64 v43, 0, v25, s9
	v_cndmask_b32_e64 v44, 0, v24, s10
	v_cndmask_b32_e64 v45, 0, v23, s11
	v_cndmask_b32_e64 v46, 0, v22, s12
	v_cndmask_b32_e64 v47, 0, v21, s13
	v_cndmask_b32_e64 v48, 0, v20, s14
	v_cndmask_b32_e64 v49, 0, v19, s15
	v_cndmask_b32_e64 v50, 0, v18, s16
	v_cndmask_b32_e64 v51, 0, v17, s17
	v_cndmask_b32_e64 v52, 0, v16, s18
	v_cndmask_b32_e64 v53, 0, v15, s19
	v_cndmask_b32_e64 v54, 0, v14, s20
	v_cndmask_b32_e64 v55, 0, v13, s21
	v_cndmask_b32_e64 v56, 0, v12, s22
	v_cndmask_b32_e64 v57, 0, v11, s23
	v_cndmask_b32_e64 v58, 0, v10, s24
	v_cndmask_b32_e64 v59, 0, v9, s25
	v_cndmask_b32_e64 v60, 0, v8, s26
	v_cndmask_b32_e64 v7, 0, v7, s27
.LBB839_83:
	s_delay_alu instid0(VALU_DEP_1)
	v_dual_mov_b32 v0, v1 :: v_dual_mov_b32 v61, v7
.LBB839_84:
	s_delay_alu instid0(VALU_DEP_1) | instskip(NEXT) | instid1(VALU_DEP_2)
	v_sub_nc_u32_e32 v1, v8, v61
	v_mul_u32_u24_e32 v0, 0x74, v0
	v_sub_nc_u32_e32 v2, v9, v60
	v_sub_nc_u32_e32 v7, v10, v59
	;; [unrolled: 1-line block ×6, first 2 shown]
	s_and_b32 vcc_lo, exec_lo, s0
	s_mov_b32 s0, -1
	v_sub_nc_u32_e32 v12, v15, v54
	v_sub_nc_u32_e32 v13, v16, v53
	v_sub_nc_u32_e32 v14, v17, v52
	v_sub_nc_u32_e32 v15, v18, v51
	v_sub_nc_u32_e32 v16, v19, v50
	v_sub_nc_u32_e32 v17, v20, v49
	v_sub_nc_u32_e32 v18, v21, v48
	v_sub_nc_u32_e32 v19, v22, v47
	v_sub_nc_u32_e32 v20, v23, v46
	v_sub_nc_u32_e32 v21, v24, v45
	v_sub_nc_u32_e32 v22, v25, v44
	v_sub_nc_u32_e32 v23, v26, v43
	v_sub_nc_u32_e32 v24, v27, v42
	v_sub_nc_u32_e32 v25, v28, v41
	v_sub_nc_u32_e32 v26, v29, v40
	v_sub_nc_u32_e32 v27, v30, v39
	v_sub_nc_u32_e32 v5, v5, v38
	v_sub_nc_u32_e32 v6, v6, v37
	v_sub_nc_u32_e32 v3, v3, v36
	v_sub_nc_u32_e32 v4, v4, v35
	v_sub_nc_u32_e32 v28, v33, v32
	s_barrier
	buffer_gl0_inv
	ds_store_2addr_b32 v0, v31, v1 offset1:1
	ds_store_2addr_b32 v0, v2, v7 offset0:2 offset1:3
	ds_store_2addr_b32 v0, v8, v9 offset0:4 offset1:5
	;; [unrolled: 1-line block ×13, first 2 shown]
	ds_store_b32 v0, v28 offset:112
	s_waitcnt lgkmcnt(0)
	s_cbranch_vccnz .LBB839_87
; %bb.85:
	s_and_not1_b32 vcc_lo, exec_lo, s0
	s_cbranch_vccz .LBB839_88
.LBB839_86:
	buffer_gl0_inv
	s_endpgm
.LBB839_87:
	s_barrier
	s_cbranch_execnz .LBB839_86
.LBB839_88:
	s_barrier
	buffer_gl0_inv
	s_endpgm
	.section	.rodata,"a",@progbits
	.p2align	6, 0x0
	.amdhsa_kernel _ZN7rocprim17ROCPRIM_400000_NS6detail17trampoline_kernelINS0_14default_configENS1_35adjacent_difference_config_selectorILb1EjEEZNS1_24adjacent_difference_implIS3_Lb1ELb0EPjN6thrust23THRUST_200600_302600_NS16discard_iteratorINS9_11use_defaultEEENS9_5minusIjEEEE10hipError_tPvRmT2_T3_mT4_P12ihipStream_tbEUlT_E_NS1_11comp_targetILNS1_3genE9ELNS1_11target_archE1100ELNS1_3gpuE3ELNS1_3repE0EEENS1_30default_config_static_selectorELNS0_4arch9wavefront6targetE0EEEvT1_
		.amdhsa_group_segment_fixed_size 14848
		.amdhsa_private_segment_fixed_size 0
		.amdhsa_kernarg_size 64
		.amdhsa_user_sgpr_count 15
		.amdhsa_user_sgpr_dispatch_ptr 0
		.amdhsa_user_sgpr_queue_ptr 0
		.amdhsa_user_sgpr_kernarg_segment_ptr 1
		.amdhsa_user_sgpr_dispatch_id 0
		.amdhsa_user_sgpr_private_segment_size 0
		.amdhsa_wavefront_size32 1
		.amdhsa_uses_dynamic_stack 0
		.amdhsa_enable_private_segment 0
		.amdhsa_system_sgpr_workgroup_id_x 1
		.amdhsa_system_sgpr_workgroup_id_y 0
		.amdhsa_system_sgpr_workgroup_id_z 0
		.amdhsa_system_sgpr_workgroup_info 0
		.amdhsa_system_vgpr_workitem_id 0
		.amdhsa_next_free_vgpr 63
		.amdhsa_next_free_sgpr 32
		.amdhsa_reserve_vcc 1
		.amdhsa_float_round_mode_32 0
		.amdhsa_float_round_mode_16_64 0
		.amdhsa_float_denorm_mode_32 3
		.amdhsa_float_denorm_mode_16_64 3
		.amdhsa_dx10_clamp 1
		.amdhsa_ieee_mode 1
		.amdhsa_fp16_overflow 0
		.amdhsa_workgroup_processor_mode 1
		.amdhsa_memory_ordered 1
		.amdhsa_forward_progress 0
		.amdhsa_shared_vgpr_count 0
		.amdhsa_exception_fp_ieee_invalid_op 0
		.amdhsa_exception_fp_denorm_src 0
		.amdhsa_exception_fp_ieee_div_zero 0
		.amdhsa_exception_fp_ieee_overflow 0
		.amdhsa_exception_fp_ieee_underflow 0
		.amdhsa_exception_fp_ieee_inexact 0
		.amdhsa_exception_int_div_zero 0
	.end_amdhsa_kernel
	.section	.text._ZN7rocprim17ROCPRIM_400000_NS6detail17trampoline_kernelINS0_14default_configENS1_35adjacent_difference_config_selectorILb1EjEEZNS1_24adjacent_difference_implIS3_Lb1ELb0EPjN6thrust23THRUST_200600_302600_NS16discard_iteratorINS9_11use_defaultEEENS9_5minusIjEEEE10hipError_tPvRmT2_T3_mT4_P12ihipStream_tbEUlT_E_NS1_11comp_targetILNS1_3genE9ELNS1_11target_archE1100ELNS1_3gpuE3ELNS1_3repE0EEENS1_30default_config_static_selectorELNS0_4arch9wavefront6targetE0EEEvT1_,"axG",@progbits,_ZN7rocprim17ROCPRIM_400000_NS6detail17trampoline_kernelINS0_14default_configENS1_35adjacent_difference_config_selectorILb1EjEEZNS1_24adjacent_difference_implIS3_Lb1ELb0EPjN6thrust23THRUST_200600_302600_NS16discard_iteratorINS9_11use_defaultEEENS9_5minusIjEEEE10hipError_tPvRmT2_T3_mT4_P12ihipStream_tbEUlT_E_NS1_11comp_targetILNS1_3genE9ELNS1_11target_archE1100ELNS1_3gpuE3ELNS1_3repE0EEENS1_30default_config_static_selectorELNS0_4arch9wavefront6targetE0EEEvT1_,comdat
.Lfunc_end839:
	.size	_ZN7rocprim17ROCPRIM_400000_NS6detail17trampoline_kernelINS0_14default_configENS1_35adjacent_difference_config_selectorILb1EjEEZNS1_24adjacent_difference_implIS3_Lb1ELb0EPjN6thrust23THRUST_200600_302600_NS16discard_iteratorINS9_11use_defaultEEENS9_5minusIjEEEE10hipError_tPvRmT2_T3_mT4_P12ihipStream_tbEUlT_E_NS1_11comp_targetILNS1_3genE9ELNS1_11target_archE1100ELNS1_3gpuE3ELNS1_3repE0EEENS1_30default_config_static_selectorELNS0_4arch9wavefront6targetE0EEEvT1_, .Lfunc_end839-_ZN7rocprim17ROCPRIM_400000_NS6detail17trampoline_kernelINS0_14default_configENS1_35adjacent_difference_config_selectorILb1EjEEZNS1_24adjacent_difference_implIS3_Lb1ELb0EPjN6thrust23THRUST_200600_302600_NS16discard_iteratorINS9_11use_defaultEEENS9_5minusIjEEEE10hipError_tPvRmT2_T3_mT4_P12ihipStream_tbEUlT_E_NS1_11comp_targetILNS1_3genE9ELNS1_11target_archE1100ELNS1_3gpuE3ELNS1_3repE0EEENS1_30default_config_static_selectorELNS0_4arch9wavefront6targetE0EEEvT1_
                                        ; -- End function
	.section	.AMDGPU.csdata,"",@progbits
; Kernel info:
; codeLenInByte = 4664
; NumSgprs: 34
; NumVgprs: 63
; ScratchSize: 0
; MemoryBound: 0
; FloatMode: 240
; IeeeMode: 1
; LDSByteSize: 14848 bytes/workgroup (compile time only)
; SGPRBlocks: 4
; VGPRBlocks: 7
; NumSGPRsForWavesPerEU: 34
; NumVGPRsForWavesPerEU: 63
; Occupancy: 8
; WaveLimiterHint : 1
; COMPUTE_PGM_RSRC2:SCRATCH_EN: 0
; COMPUTE_PGM_RSRC2:USER_SGPR: 15
; COMPUTE_PGM_RSRC2:TRAP_HANDLER: 0
; COMPUTE_PGM_RSRC2:TGID_X_EN: 1
; COMPUTE_PGM_RSRC2:TGID_Y_EN: 0
; COMPUTE_PGM_RSRC2:TGID_Z_EN: 0
; COMPUTE_PGM_RSRC2:TIDIG_COMP_CNT: 0
	.section	.text._ZN7rocprim17ROCPRIM_400000_NS6detail17trampoline_kernelINS0_14default_configENS1_35adjacent_difference_config_selectorILb1EjEEZNS1_24adjacent_difference_implIS3_Lb1ELb0EPjN6thrust23THRUST_200600_302600_NS16discard_iteratorINS9_11use_defaultEEENS9_5minusIjEEEE10hipError_tPvRmT2_T3_mT4_P12ihipStream_tbEUlT_E_NS1_11comp_targetILNS1_3genE8ELNS1_11target_archE1030ELNS1_3gpuE2ELNS1_3repE0EEENS1_30default_config_static_selectorELNS0_4arch9wavefront6targetE0EEEvT1_,"axG",@progbits,_ZN7rocprim17ROCPRIM_400000_NS6detail17trampoline_kernelINS0_14default_configENS1_35adjacent_difference_config_selectorILb1EjEEZNS1_24adjacent_difference_implIS3_Lb1ELb0EPjN6thrust23THRUST_200600_302600_NS16discard_iteratorINS9_11use_defaultEEENS9_5minusIjEEEE10hipError_tPvRmT2_T3_mT4_P12ihipStream_tbEUlT_E_NS1_11comp_targetILNS1_3genE8ELNS1_11target_archE1030ELNS1_3gpuE2ELNS1_3repE0EEENS1_30default_config_static_selectorELNS0_4arch9wavefront6targetE0EEEvT1_,comdat
	.protected	_ZN7rocprim17ROCPRIM_400000_NS6detail17trampoline_kernelINS0_14default_configENS1_35adjacent_difference_config_selectorILb1EjEEZNS1_24adjacent_difference_implIS3_Lb1ELb0EPjN6thrust23THRUST_200600_302600_NS16discard_iteratorINS9_11use_defaultEEENS9_5minusIjEEEE10hipError_tPvRmT2_T3_mT4_P12ihipStream_tbEUlT_E_NS1_11comp_targetILNS1_3genE8ELNS1_11target_archE1030ELNS1_3gpuE2ELNS1_3repE0EEENS1_30default_config_static_selectorELNS0_4arch9wavefront6targetE0EEEvT1_ ; -- Begin function _ZN7rocprim17ROCPRIM_400000_NS6detail17trampoline_kernelINS0_14default_configENS1_35adjacent_difference_config_selectorILb1EjEEZNS1_24adjacent_difference_implIS3_Lb1ELb0EPjN6thrust23THRUST_200600_302600_NS16discard_iteratorINS9_11use_defaultEEENS9_5minusIjEEEE10hipError_tPvRmT2_T3_mT4_P12ihipStream_tbEUlT_E_NS1_11comp_targetILNS1_3genE8ELNS1_11target_archE1030ELNS1_3gpuE2ELNS1_3repE0EEENS1_30default_config_static_selectorELNS0_4arch9wavefront6targetE0EEEvT1_
	.globl	_ZN7rocprim17ROCPRIM_400000_NS6detail17trampoline_kernelINS0_14default_configENS1_35adjacent_difference_config_selectorILb1EjEEZNS1_24adjacent_difference_implIS3_Lb1ELb0EPjN6thrust23THRUST_200600_302600_NS16discard_iteratorINS9_11use_defaultEEENS9_5minusIjEEEE10hipError_tPvRmT2_T3_mT4_P12ihipStream_tbEUlT_E_NS1_11comp_targetILNS1_3genE8ELNS1_11target_archE1030ELNS1_3gpuE2ELNS1_3repE0EEENS1_30default_config_static_selectorELNS0_4arch9wavefront6targetE0EEEvT1_
	.p2align	8
	.type	_ZN7rocprim17ROCPRIM_400000_NS6detail17trampoline_kernelINS0_14default_configENS1_35adjacent_difference_config_selectorILb1EjEEZNS1_24adjacent_difference_implIS3_Lb1ELb0EPjN6thrust23THRUST_200600_302600_NS16discard_iteratorINS9_11use_defaultEEENS9_5minusIjEEEE10hipError_tPvRmT2_T3_mT4_P12ihipStream_tbEUlT_E_NS1_11comp_targetILNS1_3genE8ELNS1_11target_archE1030ELNS1_3gpuE2ELNS1_3repE0EEENS1_30default_config_static_selectorELNS0_4arch9wavefront6targetE0EEEvT1_,@function
_ZN7rocprim17ROCPRIM_400000_NS6detail17trampoline_kernelINS0_14default_configENS1_35adjacent_difference_config_selectorILb1EjEEZNS1_24adjacent_difference_implIS3_Lb1ELb0EPjN6thrust23THRUST_200600_302600_NS16discard_iteratorINS9_11use_defaultEEENS9_5minusIjEEEE10hipError_tPvRmT2_T3_mT4_P12ihipStream_tbEUlT_E_NS1_11comp_targetILNS1_3genE8ELNS1_11target_archE1030ELNS1_3gpuE2ELNS1_3repE0EEENS1_30default_config_static_selectorELNS0_4arch9wavefront6targetE0EEEvT1_: ; @_ZN7rocprim17ROCPRIM_400000_NS6detail17trampoline_kernelINS0_14default_configENS1_35adjacent_difference_config_selectorILb1EjEEZNS1_24adjacent_difference_implIS3_Lb1ELb0EPjN6thrust23THRUST_200600_302600_NS16discard_iteratorINS9_11use_defaultEEENS9_5minusIjEEEE10hipError_tPvRmT2_T3_mT4_P12ihipStream_tbEUlT_E_NS1_11comp_targetILNS1_3genE8ELNS1_11target_archE1030ELNS1_3gpuE2ELNS1_3repE0EEENS1_30default_config_static_selectorELNS0_4arch9wavefront6targetE0EEEvT1_
; %bb.0:
	.section	.rodata,"a",@progbits
	.p2align	6, 0x0
	.amdhsa_kernel _ZN7rocprim17ROCPRIM_400000_NS6detail17trampoline_kernelINS0_14default_configENS1_35adjacent_difference_config_selectorILb1EjEEZNS1_24adjacent_difference_implIS3_Lb1ELb0EPjN6thrust23THRUST_200600_302600_NS16discard_iteratorINS9_11use_defaultEEENS9_5minusIjEEEE10hipError_tPvRmT2_T3_mT4_P12ihipStream_tbEUlT_E_NS1_11comp_targetILNS1_3genE8ELNS1_11target_archE1030ELNS1_3gpuE2ELNS1_3repE0EEENS1_30default_config_static_selectorELNS0_4arch9wavefront6targetE0EEEvT1_
		.amdhsa_group_segment_fixed_size 0
		.amdhsa_private_segment_fixed_size 0
		.amdhsa_kernarg_size 64
		.amdhsa_user_sgpr_count 15
		.amdhsa_user_sgpr_dispatch_ptr 0
		.amdhsa_user_sgpr_queue_ptr 0
		.amdhsa_user_sgpr_kernarg_segment_ptr 1
		.amdhsa_user_sgpr_dispatch_id 0
		.amdhsa_user_sgpr_private_segment_size 0
		.amdhsa_wavefront_size32 1
		.amdhsa_uses_dynamic_stack 0
		.amdhsa_enable_private_segment 0
		.amdhsa_system_sgpr_workgroup_id_x 1
		.amdhsa_system_sgpr_workgroup_id_y 0
		.amdhsa_system_sgpr_workgroup_id_z 0
		.amdhsa_system_sgpr_workgroup_info 0
		.amdhsa_system_vgpr_workitem_id 0
		.amdhsa_next_free_vgpr 1
		.amdhsa_next_free_sgpr 1
		.amdhsa_reserve_vcc 0
		.amdhsa_float_round_mode_32 0
		.amdhsa_float_round_mode_16_64 0
		.amdhsa_float_denorm_mode_32 3
		.amdhsa_float_denorm_mode_16_64 3
		.amdhsa_dx10_clamp 1
		.amdhsa_ieee_mode 1
		.amdhsa_fp16_overflow 0
		.amdhsa_workgroup_processor_mode 1
		.amdhsa_memory_ordered 1
		.amdhsa_forward_progress 0
		.amdhsa_shared_vgpr_count 0
		.amdhsa_exception_fp_ieee_invalid_op 0
		.amdhsa_exception_fp_denorm_src 0
		.amdhsa_exception_fp_ieee_div_zero 0
		.amdhsa_exception_fp_ieee_overflow 0
		.amdhsa_exception_fp_ieee_underflow 0
		.amdhsa_exception_fp_ieee_inexact 0
		.amdhsa_exception_int_div_zero 0
	.end_amdhsa_kernel
	.section	.text._ZN7rocprim17ROCPRIM_400000_NS6detail17trampoline_kernelINS0_14default_configENS1_35adjacent_difference_config_selectorILb1EjEEZNS1_24adjacent_difference_implIS3_Lb1ELb0EPjN6thrust23THRUST_200600_302600_NS16discard_iteratorINS9_11use_defaultEEENS9_5minusIjEEEE10hipError_tPvRmT2_T3_mT4_P12ihipStream_tbEUlT_E_NS1_11comp_targetILNS1_3genE8ELNS1_11target_archE1030ELNS1_3gpuE2ELNS1_3repE0EEENS1_30default_config_static_selectorELNS0_4arch9wavefront6targetE0EEEvT1_,"axG",@progbits,_ZN7rocprim17ROCPRIM_400000_NS6detail17trampoline_kernelINS0_14default_configENS1_35adjacent_difference_config_selectorILb1EjEEZNS1_24adjacent_difference_implIS3_Lb1ELb0EPjN6thrust23THRUST_200600_302600_NS16discard_iteratorINS9_11use_defaultEEENS9_5minusIjEEEE10hipError_tPvRmT2_T3_mT4_P12ihipStream_tbEUlT_E_NS1_11comp_targetILNS1_3genE8ELNS1_11target_archE1030ELNS1_3gpuE2ELNS1_3repE0EEENS1_30default_config_static_selectorELNS0_4arch9wavefront6targetE0EEEvT1_,comdat
.Lfunc_end840:
	.size	_ZN7rocprim17ROCPRIM_400000_NS6detail17trampoline_kernelINS0_14default_configENS1_35adjacent_difference_config_selectorILb1EjEEZNS1_24adjacent_difference_implIS3_Lb1ELb0EPjN6thrust23THRUST_200600_302600_NS16discard_iteratorINS9_11use_defaultEEENS9_5minusIjEEEE10hipError_tPvRmT2_T3_mT4_P12ihipStream_tbEUlT_E_NS1_11comp_targetILNS1_3genE8ELNS1_11target_archE1030ELNS1_3gpuE2ELNS1_3repE0EEENS1_30default_config_static_selectorELNS0_4arch9wavefront6targetE0EEEvT1_, .Lfunc_end840-_ZN7rocprim17ROCPRIM_400000_NS6detail17trampoline_kernelINS0_14default_configENS1_35adjacent_difference_config_selectorILb1EjEEZNS1_24adjacent_difference_implIS3_Lb1ELb0EPjN6thrust23THRUST_200600_302600_NS16discard_iteratorINS9_11use_defaultEEENS9_5minusIjEEEE10hipError_tPvRmT2_T3_mT4_P12ihipStream_tbEUlT_E_NS1_11comp_targetILNS1_3genE8ELNS1_11target_archE1030ELNS1_3gpuE2ELNS1_3repE0EEENS1_30default_config_static_selectorELNS0_4arch9wavefront6targetE0EEEvT1_
                                        ; -- End function
	.section	.AMDGPU.csdata,"",@progbits
; Kernel info:
; codeLenInByte = 0
; NumSgprs: 0
; NumVgprs: 0
; ScratchSize: 0
; MemoryBound: 0
; FloatMode: 240
; IeeeMode: 1
; LDSByteSize: 0 bytes/workgroup (compile time only)
; SGPRBlocks: 0
; VGPRBlocks: 0
; NumSGPRsForWavesPerEU: 1
; NumVGPRsForWavesPerEU: 1
; Occupancy: 16
; WaveLimiterHint : 0
; COMPUTE_PGM_RSRC2:SCRATCH_EN: 0
; COMPUTE_PGM_RSRC2:USER_SGPR: 15
; COMPUTE_PGM_RSRC2:TRAP_HANDLER: 0
; COMPUTE_PGM_RSRC2:TGID_X_EN: 1
; COMPUTE_PGM_RSRC2:TGID_Y_EN: 0
; COMPUTE_PGM_RSRC2:TGID_Z_EN: 0
; COMPUTE_PGM_RSRC2:TIDIG_COMP_CNT: 0
	.section	.text._ZN7rocprim17ROCPRIM_400000_NS6detail17trampoline_kernelINS0_14default_configENS1_25transform_config_selectorItLb0EEEZNS1_14transform_implILb0ES3_S5_NS0_18transform_iteratorINS0_17counting_iteratorImlEEZNS1_24adjacent_difference_implIS3_Lb1ELb0EPtN6thrust23THRUST_200600_302600_NS16discard_iteratorINSD_11use_defaultEEENSD_5minusItEEEE10hipError_tPvRmT2_T3_mT4_P12ihipStream_tbEUlmE_tEESB_NS0_8identityIvEEEESJ_SM_SN_mSO_SQ_bEUlT_E_NS1_11comp_targetILNS1_3genE0ELNS1_11target_archE4294967295ELNS1_3gpuE0ELNS1_3repE0EEENS1_30default_config_static_selectorELNS0_4arch9wavefront6targetE0EEEvT1_,"axG",@progbits,_ZN7rocprim17ROCPRIM_400000_NS6detail17trampoline_kernelINS0_14default_configENS1_25transform_config_selectorItLb0EEEZNS1_14transform_implILb0ES3_S5_NS0_18transform_iteratorINS0_17counting_iteratorImlEEZNS1_24adjacent_difference_implIS3_Lb1ELb0EPtN6thrust23THRUST_200600_302600_NS16discard_iteratorINSD_11use_defaultEEENSD_5minusItEEEE10hipError_tPvRmT2_T3_mT4_P12ihipStream_tbEUlmE_tEESB_NS0_8identityIvEEEESJ_SM_SN_mSO_SQ_bEUlT_E_NS1_11comp_targetILNS1_3genE0ELNS1_11target_archE4294967295ELNS1_3gpuE0ELNS1_3repE0EEENS1_30default_config_static_selectorELNS0_4arch9wavefront6targetE0EEEvT1_,comdat
	.protected	_ZN7rocprim17ROCPRIM_400000_NS6detail17trampoline_kernelINS0_14default_configENS1_25transform_config_selectorItLb0EEEZNS1_14transform_implILb0ES3_S5_NS0_18transform_iteratorINS0_17counting_iteratorImlEEZNS1_24adjacent_difference_implIS3_Lb1ELb0EPtN6thrust23THRUST_200600_302600_NS16discard_iteratorINSD_11use_defaultEEENSD_5minusItEEEE10hipError_tPvRmT2_T3_mT4_P12ihipStream_tbEUlmE_tEESB_NS0_8identityIvEEEESJ_SM_SN_mSO_SQ_bEUlT_E_NS1_11comp_targetILNS1_3genE0ELNS1_11target_archE4294967295ELNS1_3gpuE0ELNS1_3repE0EEENS1_30default_config_static_selectorELNS0_4arch9wavefront6targetE0EEEvT1_ ; -- Begin function _ZN7rocprim17ROCPRIM_400000_NS6detail17trampoline_kernelINS0_14default_configENS1_25transform_config_selectorItLb0EEEZNS1_14transform_implILb0ES3_S5_NS0_18transform_iteratorINS0_17counting_iteratorImlEEZNS1_24adjacent_difference_implIS3_Lb1ELb0EPtN6thrust23THRUST_200600_302600_NS16discard_iteratorINSD_11use_defaultEEENSD_5minusItEEEE10hipError_tPvRmT2_T3_mT4_P12ihipStream_tbEUlmE_tEESB_NS0_8identityIvEEEESJ_SM_SN_mSO_SQ_bEUlT_E_NS1_11comp_targetILNS1_3genE0ELNS1_11target_archE4294967295ELNS1_3gpuE0ELNS1_3repE0EEENS1_30default_config_static_selectorELNS0_4arch9wavefront6targetE0EEEvT1_
	.globl	_ZN7rocprim17ROCPRIM_400000_NS6detail17trampoline_kernelINS0_14default_configENS1_25transform_config_selectorItLb0EEEZNS1_14transform_implILb0ES3_S5_NS0_18transform_iteratorINS0_17counting_iteratorImlEEZNS1_24adjacent_difference_implIS3_Lb1ELb0EPtN6thrust23THRUST_200600_302600_NS16discard_iteratorINSD_11use_defaultEEENSD_5minusItEEEE10hipError_tPvRmT2_T3_mT4_P12ihipStream_tbEUlmE_tEESB_NS0_8identityIvEEEESJ_SM_SN_mSO_SQ_bEUlT_E_NS1_11comp_targetILNS1_3genE0ELNS1_11target_archE4294967295ELNS1_3gpuE0ELNS1_3repE0EEENS1_30default_config_static_selectorELNS0_4arch9wavefront6targetE0EEEvT1_
	.p2align	8
	.type	_ZN7rocprim17ROCPRIM_400000_NS6detail17trampoline_kernelINS0_14default_configENS1_25transform_config_selectorItLb0EEEZNS1_14transform_implILb0ES3_S5_NS0_18transform_iteratorINS0_17counting_iteratorImlEEZNS1_24adjacent_difference_implIS3_Lb1ELb0EPtN6thrust23THRUST_200600_302600_NS16discard_iteratorINSD_11use_defaultEEENSD_5minusItEEEE10hipError_tPvRmT2_T3_mT4_P12ihipStream_tbEUlmE_tEESB_NS0_8identityIvEEEESJ_SM_SN_mSO_SQ_bEUlT_E_NS1_11comp_targetILNS1_3genE0ELNS1_11target_archE4294967295ELNS1_3gpuE0ELNS1_3repE0EEENS1_30default_config_static_selectorELNS0_4arch9wavefront6targetE0EEEvT1_,@function
_ZN7rocprim17ROCPRIM_400000_NS6detail17trampoline_kernelINS0_14default_configENS1_25transform_config_selectorItLb0EEEZNS1_14transform_implILb0ES3_S5_NS0_18transform_iteratorINS0_17counting_iteratorImlEEZNS1_24adjacent_difference_implIS3_Lb1ELb0EPtN6thrust23THRUST_200600_302600_NS16discard_iteratorINSD_11use_defaultEEENSD_5minusItEEEE10hipError_tPvRmT2_T3_mT4_P12ihipStream_tbEUlmE_tEESB_NS0_8identityIvEEEESJ_SM_SN_mSO_SQ_bEUlT_E_NS1_11comp_targetILNS1_3genE0ELNS1_11target_archE4294967295ELNS1_3gpuE0ELNS1_3repE0EEENS1_30default_config_static_selectorELNS0_4arch9wavefront6targetE0EEEvT1_: ; @_ZN7rocprim17ROCPRIM_400000_NS6detail17trampoline_kernelINS0_14default_configENS1_25transform_config_selectorItLb0EEEZNS1_14transform_implILb0ES3_S5_NS0_18transform_iteratorINS0_17counting_iteratorImlEEZNS1_24adjacent_difference_implIS3_Lb1ELb0EPtN6thrust23THRUST_200600_302600_NS16discard_iteratorINSD_11use_defaultEEENSD_5minusItEEEE10hipError_tPvRmT2_T3_mT4_P12ihipStream_tbEUlmE_tEESB_NS0_8identityIvEEEESJ_SM_SN_mSO_SQ_bEUlT_E_NS1_11comp_targetILNS1_3genE0ELNS1_11target_archE4294967295ELNS1_3gpuE0ELNS1_3repE0EEENS1_30default_config_static_selectorELNS0_4arch9wavefront6targetE0EEEvT1_
; %bb.0:
	.section	.rodata,"a",@progbits
	.p2align	6, 0x0
	.amdhsa_kernel _ZN7rocprim17ROCPRIM_400000_NS6detail17trampoline_kernelINS0_14default_configENS1_25transform_config_selectorItLb0EEEZNS1_14transform_implILb0ES3_S5_NS0_18transform_iteratorINS0_17counting_iteratorImlEEZNS1_24adjacent_difference_implIS3_Lb1ELb0EPtN6thrust23THRUST_200600_302600_NS16discard_iteratorINSD_11use_defaultEEENSD_5minusItEEEE10hipError_tPvRmT2_T3_mT4_P12ihipStream_tbEUlmE_tEESB_NS0_8identityIvEEEESJ_SM_SN_mSO_SQ_bEUlT_E_NS1_11comp_targetILNS1_3genE0ELNS1_11target_archE4294967295ELNS1_3gpuE0ELNS1_3repE0EEENS1_30default_config_static_selectorELNS0_4arch9wavefront6targetE0EEEvT1_
		.amdhsa_group_segment_fixed_size 0
		.amdhsa_private_segment_fixed_size 0
		.amdhsa_kernarg_size 56
		.amdhsa_user_sgpr_count 15
		.amdhsa_user_sgpr_dispatch_ptr 0
		.amdhsa_user_sgpr_queue_ptr 0
		.amdhsa_user_sgpr_kernarg_segment_ptr 1
		.amdhsa_user_sgpr_dispatch_id 0
		.amdhsa_user_sgpr_private_segment_size 0
		.amdhsa_wavefront_size32 1
		.amdhsa_uses_dynamic_stack 0
		.amdhsa_enable_private_segment 0
		.amdhsa_system_sgpr_workgroup_id_x 1
		.amdhsa_system_sgpr_workgroup_id_y 0
		.amdhsa_system_sgpr_workgroup_id_z 0
		.amdhsa_system_sgpr_workgroup_info 0
		.amdhsa_system_vgpr_workitem_id 0
		.amdhsa_next_free_vgpr 1
		.amdhsa_next_free_sgpr 1
		.amdhsa_reserve_vcc 0
		.amdhsa_float_round_mode_32 0
		.amdhsa_float_round_mode_16_64 0
		.amdhsa_float_denorm_mode_32 3
		.amdhsa_float_denorm_mode_16_64 3
		.amdhsa_dx10_clamp 1
		.amdhsa_ieee_mode 1
		.amdhsa_fp16_overflow 0
		.amdhsa_workgroup_processor_mode 1
		.amdhsa_memory_ordered 1
		.amdhsa_forward_progress 0
		.amdhsa_shared_vgpr_count 0
		.amdhsa_exception_fp_ieee_invalid_op 0
		.amdhsa_exception_fp_denorm_src 0
		.amdhsa_exception_fp_ieee_div_zero 0
		.amdhsa_exception_fp_ieee_overflow 0
		.amdhsa_exception_fp_ieee_underflow 0
		.amdhsa_exception_fp_ieee_inexact 0
		.amdhsa_exception_int_div_zero 0
	.end_amdhsa_kernel
	.section	.text._ZN7rocprim17ROCPRIM_400000_NS6detail17trampoline_kernelINS0_14default_configENS1_25transform_config_selectorItLb0EEEZNS1_14transform_implILb0ES3_S5_NS0_18transform_iteratorINS0_17counting_iteratorImlEEZNS1_24adjacent_difference_implIS3_Lb1ELb0EPtN6thrust23THRUST_200600_302600_NS16discard_iteratorINSD_11use_defaultEEENSD_5minusItEEEE10hipError_tPvRmT2_T3_mT4_P12ihipStream_tbEUlmE_tEESB_NS0_8identityIvEEEESJ_SM_SN_mSO_SQ_bEUlT_E_NS1_11comp_targetILNS1_3genE0ELNS1_11target_archE4294967295ELNS1_3gpuE0ELNS1_3repE0EEENS1_30default_config_static_selectorELNS0_4arch9wavefront6targetE0EEEvT1_,"axG",@progbits,_ZN7rocprim17ROCPRIM_400000_NS6detail17trampoline_kernelINS0_14default_configENS1_25transform_config_selectorItLb0EEEZNS1_14transform_implILb0ES3_S5_NS0_18transform_iteratorINS0_17counting_iteratorImlEEZNS1_24adjacent_difference_implIS3_Lb1ELb0EPtN6thrust23THRUST_200600_302600_NS16discard_iteratorINSD_11use_defaultEEENSD_5minusItEEEE10hipError_tPvRmT2_T3_mT4_P12ihipStream_tbEUlmE_tEESB_NS0_8identityIvEEEESJ_SM_SN_mSO_SQ_bEUlT_E_NS1_11comp_targetILNS1_3genE0ELNS1_11target_archE4294967295ELNS1_3gpuE0ELNS1_3repE0EEENS1_30default_config_static_selectorELNS0_4arch9wavefront6targetE0EEEvT1_,comdat
.Lfunc_end841:
	.size	_ZN7rocprim17ROCPRIM_400000_NS6detail17trampoline_kernelINS0_14default_configENS1_25transform_config_selectorItLb0EEEZNS1_14transform_implILb0ES3_S5_NS0_18transform_iteratorINS0_17counting_iteratorImlEEZNS1_24adjacent_difference_implIS3_Lb1ELb0EPtN6thrust23THRUST_200600_302600_NS16discard_iteratorINSD_11use_defaultEEENSD_5minusItEEEE10hipError_tPvRmT2_T3_mT4_P12ihipStream_tbEUlmE_tEESB_NS0_8identityIvEEEESJ_SM_SN_mSO_SQ_bEUlT_E_NS1_11comp_targetILNS1_3genE0ELNS1_11target_archE4294967295ELNS1_3gpuE0ELNS1_3repE0EEENS1_30default_config_static_selectorELNS0_4arch9wavefront6targetE0EEEvT1_, .Lfunc_end841-_ZN7rocprim17ROCPRIM_400000_NS6detail17trampoline_kernelINS0_14default_configENS1_25transform_config_selectorItLb0EEEZNS1_14transform_implILb0ES3_S5_NS0_18transform_iteratorINS0_17counting_iteratorImlEEZNS1_24adjacent_difference_implIS3_Lb1ELb0EPtN6thrust23THRUST_200600_302600_NS16discard_iteratorINSD_11use_defaultEEENSD_5minusItEEEE10hipError_tPvRmT2_T3_mT4_P12ihipStream_tbEUlmE_tEESB_NS0_8identityIvEEEESJ_SM_SN_mSO_SQ_bEUlT_E_NS1_11comp_targetILNS1_3genE0ELNS1_11target_archE4294967295ELNS1_3gpuE0ELNS1_3repE0EEENS1_30default_config_static_selectorELNS0_4arch9wavefront6targetE0EEEvT1_
                                        ; -- End function
	.section	.AMDGPU.csdata,"",@progbits
; Kernel info:
; codeLenInByte = 0
; NumSgprs: 0
; NumVgprs: 0
; ScratchSize: 0
; MemoryBound: 0
; FloatMode: 240
; IeeeMode: 1
; LDSByteSize: 0 bytes/workgroup (compile time only)
; SGPRBlocks: 0
; VGPRBlocks: 0
; NumSGPRsForWavesPerEU: 1
; NumVGPRsForWavesPerEU: 1
; Occupancy: 16
; WaveLimiterHint : 0
; COMPUTE_PGM_RSRC2:SCRATCH_EN: 0
; COMPUTE_PGM_RSRC2:USER_SGPR: 15
; COMPUTE_PGM_RSRC2:TRAP_HANDLER: 0
; COMPUTE_PGM_RSRC2:TGID_X_EN: 1
; COMPUTE_PGM_RSRC2:TGID_Y_EN: 0
; COMPUTE_PGM_RSRC2:TGID_Z_EN: 0
; COMPUTE_PGM_RSRC2:TIDIG_COMP_CNT: 0
	.section	.text._ZN7rocprim17ROCPRIM_400000_NS6detail17trampoline_kernelINS0_14default_configENS1_25transform_config_selectorItLb0EEEZNS1_14transform_implILb0ES3_S5_NS0_18transform_iteratorINS0_17counting_iteratorImlEEZNS1_24adjacent_difference_implIS3_Lb1ELb0EPtN6thrust23THRUST_200600_302600_NS16discard_iteratorINSD_11use_defaultEEENSD_5minusItEEEE10hipError_tPvRmT2_T3_mT4_P12ihipStream_tbEUlmE_tEESB_NS0_8identityIvEEEESJ_SM_SN_mSO_SQ_bEUlT_E_NS1_11comp_targetILNS1_3genE5ELNS1_11target_archE942ELNS1_3gpuE9ELNS1_3repE0EEENS1_30default_config_static_selectorELNS0_4arch9wavefront6targetE0EEEvT1_,"axG",@progbits,_ZN7rocprim17ROCPRIM_400000_NS6detail17trampoline_kernelINS0_14default_configENS1_25transform_config_selectorItLb0EEEZNS1_14transform_implILb0ES3_S5_NS0_18transform_iteratorINS0_17counting_iteratorImlEEZNS1_24adjacent_difference_implIS3_Lb1ELb0EPtN6thrust23THRUST_200600_302600_NS16discard_iteratorINSD_11use_defaultEEENSD_5minusItEEEE10hipError_tPvRmT2_T3_mT4_P12ihipStream_tbEUlmE_tEESB_NS0_8identityIvEEEESJ_SM_SN_mSO_SQ_bEUlT_E_NS1_11comp_targetILNS1_3genE5ELNS1_11target_archE942ELNS1_3gpuE9ELNS1_3repE0EEENS1_30default_config_static_selectorELNS0_4arch9wavefront6targetE0EEEvT1_,comdat
	.protected	_ZN7rocprim17ROCPRIM_400000_NS6detail17trampoline_kernelINS0_14default_configENS1_25transform_config_selectorItLb0EEEZNS1_14transform_implILb0ES3_S5_NS0_18transform_iteratorINS0_17counting_iteratorImlEEZNS1_24adjacent_difference_implIS3_Lb1ELb0EPtN6thrust23THRUST_200600_302600_NS16discard_iteratorINSD_11use_defaultEEENSD_5minusItEEEE10hipError_tPvRmT2_T3_mT4_P12ihipStream_tbEUlmE_tEESB_NS0_8identityIvEEEESJ_SM_SN_mSO_SQ_bEUlT_E_NS1_11comp_targetILNS1_3genE5ELNS1_11target_archE942ELNS1_3gpuE9ELNS1_3repE0EEENS1_30default_config_static_selectorELNS0_4arch9wavefront6targetE0EEEvT1_ ; -- Begin function _ZN7rocprim17ROCPRIM_400000_NS6detail17trampoline_kernelINS0_14default_configENS1_25transform_config_selectorItLb0EEEZNS1_14transform_implILb0ES3_S5_NS0_18transform_iteratorINS0_17counting_iteratorImlEEZNS1_24adjacent_difference_implIS3_Lb1ELb0EPtN6thrust23THRUST_200600_302600_NS16discard_iteratorINSD_11use_defaultEEENSD_5minusItEEEE10hipError_tPvRmT2_T3_mT4_P12ihipStream_tbEUlmE_tEESB_NS0_8identityIvEEEESJ_SM_SN_mSO_SQ_bEUlT_E_NS1_11comp_targetILNS1_3genE5ELNS1_11target_archE942ELNS1_3gpuE9ELNS1_3repE0EEENS1_30default_config_static_selectorELNS0_4arch9wavefront6targetE0EEEvT1_
	.globl	_ZN7rocprim17ROCPRIM_400000_NS6detail17trampoline_kernelINS0_14default_configENS1_25transform_config_selectorItLb0EEEZNS1_14transform_implILb0ES3_S5_NS0_18transform_iteratorINS0_17counting_iteratorImlEEZNS1_24adjacent_difference_implIS3_Lb1ELb0EPtN6thrust23THRUST_200600_302600_NS16discard_iteratorINSD_11use_defaultEEENSD_5minusItEEEE10hipError_tPvRmT2_T3_mT4_P12ihipStream_tbEUlmE_tEESB_NS0_8identityIvEEEESJ_SM_SN_mSO_SQ_bEUlT_E_NS1_11comp_targetILNS1_3genE5ELNS1_11target_archE942ELNS1_3gpuE9ELNS1_3repE0EEENS1_30default_config_static_selectorELNS0_4arch9wavefront6targetE0EEEvT1_
	.p2align	8
	.type	_ZN7rocprim17ROCPRIM_400000_NS6detail17trampoline_kernelINS0_14default_configENS1_25transform_config_selectorItLb0EEEZNS1_14transform_implILb0ES3_S5_NS0_18transform_iteratorINS0_17counting_iteratorImlEEZNS1_24adjacent_difference_implIS3_Lb1ELb0EPtN6thrust23THRUST_200600_302600_NS16discard_iteratorINSD_11use_defaultEEENSD_5minusItEEEE10hipError_tPvRmT2_T3_mT4_P12ihipStream_tbEUlmE_tEESB_NS0_8identityIvEEEESJ_SM_SN_mSO_SQ_bEUlT_E_NS1_11comp_targetILNS1_3genE5ELNS1_11target_archE942ELNS1_3gpuE9ELNS1_3repE0EEENS1_30default_config_static_selectorELNS0_4arch9wavefront6targetE0EEEvT1_,@function
_ZN7rocprim17ROCPRIM_400000_NS6detail17trampoline_kernelINS0_14default_configENS1_25transform_config_selectorItLb0EEEZNS1_14transform_implILb0ES3_S5_NS0_18transform_iteratorINS0_17counting_iteratorImlEEZNS1_24adjacent_difference_implIS3_Lb1ELb0EPtN6thrust23THRUST_200600_302600_NS16discard_iteratorINSD_11use_defaultEEENSD_5minusItEEEE10hipError_tPvRmT2_T3_mT4_P12ihipStream_tbEUlmE_tEESB_NS0_8identityIvEEEESJ_SM_SN_mSO_SQ_bEUlT_E_NS1_11comp_targetILNS1_3genE5ELNS1_11target_archE942ELNS1_3gpuE9ELNS1_3repE0EEENS1_30default_config_static_selectorELNS0_4arch9wavefront6targetE0EEEvT1_: ; @_ZN7rocprim17ROCPRIM_400000_NS6detail17trampoline_kernelINS0_14default_configENS1_25transform_config_selectorItLb0EEEZNS1_14transform_implILb0ES3_S5_NS0_18transform_iteratorINS0_17counting_iteratorImlEEZNS1_24adjacent_difference_implIS3_Lb1ELb0EPtN6thrust23THRUST_200600_302600_NS16discard_iteratorINSD_11use_defaultEEENSD_5minusItEEEE10hipError_tPvRmT2_T3_mT4_P12ihipStream_tbEUlmE_tEESB_NS0_8identityIvEEEESJ_SM_SN_mSO_SQ_bEUlT_E_NS1_11comp_targetILNS1_3genE5ELNS1_11target_archE942ELNS1_3gpuE9ELNS1_3repE0EEENS1_30default_config_static_selectorELNS0_4arch9wavefront6targetE0EEEvT1_
; %bb.0:
	.section	.rodata,"a",@progbits
	.p2align	6, 0x0
	.amdhsa_kernel _ZN7rocprim17ROCPRIM_400000_NS6detail17trampoline_kernelINS0_14default_configENS1_25transform_config_selectorItLb0EEEZNS1_14transform_implILb0ES3_S5_NS0_18transform_iteratorINS0_17counting_iteratorImlEEZNS1_24adjacent_difference_implIS3_Lb1ELb0EPtN6thrust23THRUST_200600_302600_NS16discard_iteratorINSD_11use_defaultEEENSD_5minusItEEEE10hipError_tPvRmT2_T3_mT4_P12ihipStream_tbEUlmE_tEESB_NS0_8identityIvEEEESJ_SM_SN_mSO_SQ_bEUlT_E_NS1_11comp_targetILNS1_3genE5ELNS1_11target_archE942ELNS1_3gpuE9ELNS1_3repE0EEENS1_30default_config_static_selectorELNS0_4arch9wavefront6targetE0EEEvT1_
		.amdhsa_group_segment_fixed_size 0
		.amdhsa_private_segment_fixed_size 0
		.amdhsa_kernarg_size 56
		.amdhsa_user_sgpr_count 15
		.amdhsa_user_sgpr_dispatch_ptr 0
		.amdhsa_user_sgpr_queue_ptr 0
		.amdhsa_user_sgpr_kernarg_segment_ptr 1
		.amdhsa_user_sgpr_dispatch_id 0
		.amdhsa_user_sgpr_private_segment_size 0
		.amdhsa_wavefront_size32 1
		.amdhsa_uses_dynamic_stack 0
		.amdhsa_enable_private_segment 0
		.amdhsa_system_sgpr_workgroup_id_x 1
		.amdhsa_system_sgpr_workgroup_id_y 0
		.amdhsa_system_sgpr_workgroup_id_z 0
		.amdhsa_system_sgpr_workgroup_info 0
		.amdhsa_system_vgpr_workitem_id 0
		.amdhsa_next_free_vgpr 1
		.amdhsa_next_free_sgpr 1
		.amdhsa_reserve_vcc 0
		.amdhsa_float_round_mode_32 0
		.amdhsa_float_round_mode_16_64 0
		.amdhsa_float_denorm_mode_32 3
		.amdhsa_float_denorm_mode_16_64 3
		.amdhsa_dx10_clamp 1
		.amdhsa_ieee_mode 1
		.amdhsa_fp16_overflow 0
		.amdhsa_workgroup_processor_mode 1
		.amdhsa_memory_ordered 1
		.amdhsa_forward_progress 0
		.amdhsa_shared_vgpr_count 0
		.amdhsa_exception_fp_ieee_invalid_op 0
		.amdhsa_exception_fp_denorm_src 0
		.amdhsa_exception_fp_ieee_div_zero 0
		.amdhsa_exception_fp_ieee_overflow 0
		.amdhsa_exception_fp_ieee_underflow 0
		.amdhsa_exception_fp_ieee_inexact 0
		.amdhsa_exception_int_div_zero 0
	.end_amdhsa_kernel
	.section	.text._ZN7rocprim17ROCPRIM_400000_NS6detail17trampoline_kernelINS0_14default_configENS1_25transform_config_selectorItLb0EEEZNS1_14transform_implILb0ES3_S5_NS0_18transform_iteratorINS0_17counting_iteratorImlEEZNS1_24adjacent_difference_implIS3_Lb1ELb0EPtN6thrust23THRUST_200600_302600_NS16discard_iteratorINSD_11use_defaultEEENSD_5minusItEEEE10hipError_tPvRmT2_T3_mT4_P12ihipStream_tbEUlmE_tEESB_NS0_8identityIvEEEESJ_SM_SN_mSO_SQ_bEUlT_E_NS1_11comp_targetILNS1_3genE5ELNS1_11target_archE942ELNS1_3gpuE9ELNS1_3repE0EEENS1_30default_config_static_selectorELNS0_4arch9wavefront6targetE0EEEvT1_,"axG",@progbits,_ZN7rocprim17ROCPRIM_400000_NS6detail17trampoline_kernelINS0_14default_configENS1_25transform_config_selectorItLb0EEEZNS1_14transform_implILb0ES3_S5_NS0_18transform_iteratorINS0_17counting_iteratorImlEEZNS1_24adjacent_difference_implIS3_Lb1ELb0EPtN6thrust23THRUST_200600_302600_NS16discard_iteratorINSD_11use_defaultEEENSD_5minusItEEEE10hipError_tPvRmT2_T3_mT4_P12ihipStream_tbEUlmE_tEESB_NS0_8identityIvEEEESJ_SM_SN_mSO_SQ_bEUlT_E_NS1_11comp_targetILNS1_3genE5ELNS1_11target_archE942ELNS1_3gpuE9ELNS1_3repE0EEENS1_30default_config_static_selectorELNS0_4arch9wavefront6targetE0EEEvT1_,comdat
.Lfunc_end842:
	.size	_ZN7rocprim17ROCPRIM_400000_NS6detail17trampoline_kernelINS0_14default_configENS1_25transform_config_selectorItLb0EEEZNS1_14transform_implILb0ES3_S5_NS0_18transform_iteratorINS0_17counting_iteratorImlEEZNS1_24adjacent_difference_implIS3_Lb1ELb0EPtN6thrust23THRUST_200600_302600_NS16discard_iteratorINSD_11use_defaultEEENSD_5minusItEEEE10hipError_tPvRmT2_T3_mT4_P12ihipStream_tbEUlmE_tEESB_NS0_8identityIvEEEESJ_SM_SN_mSO_SQ_bEUlT_E_NS1_11comp_targetILNS1_3genE5ELNS1_11target_archE942ELNS1_3gpuE9ELNS1_3repE0EEENS1_30default_config_static_selectorELNS0_4arch9wavefront6targetE0EEEvT1_, .Lfunc_end842-_ZN7rocprim17ROCPRIM_400000_NS6detail17trampoline_kernelINS0_14default_configENS1_25transform_config_selectorItLb0EEEZNS1_14transform_implILb0ES3_S5_NS0_18transform_iteratorINS0_17counting_iteratorImlEEZNS1_24adjacent_difference_implIS3_Lb1ELb0EPtN6thrust23THRUST_200600_302600_NS16discard_iteratorINSD_11use_defaultEEENSD_5minusItEEEE10hipError_tPvRmT2_T3_mT4_P12ihipStream_tbEUlmE_tEESB_NS0_8identityIvEEEESJ_SM_SN_mSO_SQ_bEUlT_E_NS1_11comp_targetILNS1_3genE5ELNS1_11target_archE942ELNS1_3gpuE9ELNS1_3repE0EEENS1_30default_config_static_selectorELNS0_4arch9wavefront6targetE0EEEvT1_
                                        ; -- End function
	.section	.AMDGPU.csdata,"",@progbits
; Kernel info:
; codeLenInByte = 0
; NumSgprs: 0
; NumVgprs: 0
; ScratchSize: 0
; MemoryBound: 0
; FloatMode: 240
; IeeeMode: 1
; LDSByteSize: 0 bytes/workgroup (compile time only)
; SGPRBlocks: 0
; VGPRBlocks: 0
; NumSGPRsForWavesPerEU: 1
; NumVGPRsForWavesPerEU: 1
; Occupancy: 16
; WaveLimiterHint : 0
; COMPUTE_PGM_RSRC2:SCRATCH_EN: 0
; COMPUTE_PGM_RSRC2:USER_SGPR: 15
; COMPUTE_PGM_RSRC2:TRAP_HANDLER: 0
; COMPUTE_PGM_RSRC2:TGID_X_EN: 1
; COMPUTE_PGM_RSRC2:TGID_Y_EN: 0
; COMPUTE_PGM_RSRC2:TGID_Z_EN: 0
; COMPUTE_PGM_RSRC2:TIDIG_COMP_CNT: 0
	.section	.text._ZN7rocprim17ROCPRIM_400000_NS6detail17trampoline_kernelINS0_14default_configENS1_25transform_config_selectorItLb0EEEZNS1_14transform_implILb0ES3_S5_NS0_18transform_iteratorINS0_17counting_iteratorImlEEZNS1_24adjacent_difference_implIS3_Lb1ELb0EPtN6thrust23THRUST_200600_302600_NS16discard_iteratorINSD_11use_defaultEEENSD_5minusItEEEE10hipError_tPvRmT2_T3_mT4_P12ihipStream_tbEUlmE_tEESB_NS0_8identityIvEEEESJ_SM_SN_mSO_SQ_bEUlT_E_NS1_11comp_targetILNS1_3genE4ELNS1_11target_archE910ELNS1_3gpuE8ELNS1_3repE0EEENS1_30default_config_static_selectorELNS0_4arch9wavefront6targetE0EEEvT1_,"axG",@progbits,_ZN7rocprim17ROCPRIM_400000_NS6detail17trampoline_kernelINS0_14default_configENS1_25transform_config_selectorItLb0EEEZNS1_14transform_implILb0ES3_S5_NS0_18transform_iteratorINS0_17counting_iteratorImlEEZNS1_24adjacent_difference_implIS3_Lb1ELb0EPtN6thrust23THRUST_200600_302600_NS16discard_iteratorINSD_11use_defaultEEENSD_5minusItEEEE10hipError_tPvRmT2_T3_mT4_P12ihipStream_tbEUlmE_tEESB_NS0_8identityIvEEEESJ_SM_SN_mSO_SQ_bEUlT_E_NS1_11comp_targetILNS1_3genE4ELNS1_11target_archE910ELNS1_3gpuE8ELNS1_3repE0EEENS1_30default_config_static_selectorELNS0_4arch9wavefront6targetE0EEEvT1_,comdat
	.protected	_ZN7rocprim17ROCPRIM_400000_NS6detail17trampoline_kernelINS0_14default_configENS1_25transform_config_selectorItLb0EEEZNS1_14transform_implILb0ES3_S5_NS0_18transform_iteratorINS0_17counting_iteratorImlEEZNS1_24adjacent_difference_implIS3_Lb1ELb0EPtN6thrust23THRUST_200600_302600_NS16discard_iteratorINSD_11use_defaultEEENSD_5minusItEEEE10hipError_tPvRmT2_T3_mT4_P12ihipStream_tbEUlmE_tEESB_NS0_8identityIvEEEESJ_SM_SN_mSO_SQ_bEUlT_E_NS1_11comp_targetILNS1_3genE4ELNS1_11target_archE910ELNS1_3gpuE8ELNS1_3repE0EEENS1_30default_config_static_selectorELNS0_4arch9wavefront6targetE0EEEvT1_ ; -- Begin function _ZN7rocprim17ROCPRIM_400000_NS6detail17trampoline_kernelINS0_14default_configENS1_25transform_config_selectorItLb0EEEZNS1_14transform_implILb0ES3_S5_NS0_18transform_iteratorINS0_17counting_iteratorImlEEZNS1_24adjacent_difference_implIS3_Lb1ELb0EPtN6thrust23THRUST_200600_302600_NS16discard_iteratorINSD_11use_defaultEEENSD_5minusItEEEE10hipError_tPvRmT2_T3_mT4_P12ihipStream_tbEUlmE_tEESB_NS0_8identityIvEEEESJ_SM_SN_mSO_SQ_bEUlT_E_NS1_11comp_targetILNS1_3genE4ELNS1_11target_archE910ELNS1_3gpuE8ELNS1_3repE0EEENS1_30default_config_static_selectorELNS0_4arch9wavefront6targetE0EEEvT1_
	.globl	_ZN7rocprim17ROCPRIM_400000_NS6detail17trampoline_kernelINS0_14default_configENS1_25transform_config_selectorItLb0EEEZNS1_14transform_implILb0ES3_S5_NS0_18transform_iteratorINS0_17counting_iteratorImlEEZNS1_24adjacent_difference_implIS3_Lb1ELb0EPtN6thrust23THRUST_200600_302600_NS16discard_iteratorINSD_11use_defaultEEENSD_5minusItEEEE10hipError_tPvRmT2_T3_mT4_P12ihipStream_tbEUlmE_tEESB_NS0_8identityIvEEEESJ_SM_SN_mSO_SQ_bEUlT_E_NS1_11comp_targetILNS1_3genE4ELNS1_11target_archE910ELNS1_3gpuE8ELNS1_3repE0EEENS1_30default_config_static_selectorELNS0_4arch9wavefront6targetE0EEEvT1_
	.p2align	8
	.type	_ZN7rocprim17ROCPRIM_400000_NS6detail17trampoline_kernelINS0_14default_configENS1_25transform_config_selectorItLb0EEEZNS1_14transform_implILb0ES3_S5_NS0_18transform_iteratorINS0_17counting_iteratorImlEEZNS1_24adjacent_difference_implIS3_Lb1ELb0EPtN6thrust23THRUST_200600_302600_NS16discard_iteratorINSD_11use_defaultEEENSD_5minusItEEEE10hipError_tPvRmT2_T3_mT4_P12ihipStream_tbEUlmE_tEESB_NS0_8identityIvEEEESJ_SM_SN_mSO_SQ_bEUlT_E_NS1_11comp_targetILNS1_3genE4ELNS1_11target_archE910ELNS1_3gpuE8ELNS1_3repE0EEENS1_30default_config_static_selectorELNS0_4arch9wavefront6targetE0EEEvT1_,@function
_ZN7rocprim17ROCPRIM_400000_NS6detail17trampoline_kernelINS0_14default_configENS1_25transform_config_selectorItLb0EEEZNS1_14transform_implILb0ES3_S5_NS0_18transform_iteratorINS0_17counting_iteratorImlEEZNS1_24adjacent_difference_implIS3_Lb1ELb0EPtN6thrust23THRUST_200600_302600_NS16discard_iteratorINSD_11use_defaultEEENSD_5minusItEEEE10hipError_tPvRmT2_T3_mT4_P12ihipStream_tbEUlmE_tEESB_NS0_8identityIvEEEESJ_SM_SN_mSO_SQ_bEUlT_E_NS1_11comp_targetILNS1_3genE4ELNS1_11target_archE910ELNS1_3gpuE8ELNS1_3repE0EEENS1_30default_config_static_selectorELNS0_4arch9wavefront6targetE0EEEvT1_: ; @_ZN7rocprim17ROCPRIM_400000_NS6detail17trampoline_kernelINS0_14default_configENS1_25transform_config_selectorItLb0EEEZNS1_14transform_implILb0ES3_S5_NS0_18transform_iteratorINS0_17counting_iteratorImlEEZNS1_24adjacent_difference_implIS3_Lb1ELb0EPtN6thrust23THRUST_200600_302600_NS16discard_iteratorINSD_11use_defaultEEENSD_5minusItEEEE10hipError_tPvRmT2_T3_mT4_P12ihipStream_tbEUlmE_tEESB_NS0_8identityIvEEEESJ_SM_SN_mSO_SQ_bEUlT_E_NS1_11comp_targetILNS1_3genE4ELNS1_11target_archE910ELNS1_3gpuE8ELNS1_3repE0EEENS1_30default_config_static_selectorELNS0_4arch9wavefront6targetE0EEEvT1_
; %bb.0:
	.section	.rodata,"a",@progbits
	.p2align	6, 0x0
	.amdhsa_kernel _ZN7rocprim17ROCPRIM_400000_NS6detail17trampoline_kernelINS0_14default_configENS1_25transform_config_selectorItLb0EEEZNS1_14transform_implILb0ES3_S5_NS0_18transform_iteratorINS0_17counting_iteratorImlEEZNS1_24adjacent_difference_implIS3_Lb1ELb0EPtN6thrust23THRUST_200600_302600_NS16discard_iteratorINSD_11use_defaultEEENSD_5minusItEEEE10hipError_tPvRmT2_T3_mT4_P12ihipStream_tbEUlmE_tEESB_NS0_8identityIvEEEESJ_SM_SN_mSO_SQ_bEUlT_E_NS1_11comp_targetILNS1_3genE4ELNS1_11target_archE910ELNS1_3gpuE8ELNS1_3repE0EEENS1_30default_config_static_selectorELNS0_4arch9wavefront6targetE0EEEvT1_
		.amdhsa_group_segment_fixed_size 0
		.amdhsa_private_segment_fixed_size 0
		.amdhsa_kernarg_size 56
		.amdhsa_user_sgpr_count 15
		.amdhsa_user_sgpr_dispatch_ptr 0
		.amdhsa_user_sgpr_queue_ptr 0
		.amdhsa_user_sgpr_kernarg_segment_ptr 1
		.amdhsa_user_sgpr_dispatch_id 0
		.amdhsa_user_sgpr_private_segment_size 0
		.amdhsa_wavefront_size32 1
		.amdhsa_uses_dynamic_stack 0
		.amdhsa_enable_private_segment 0
		.amdhsa_system_sgpr_workgroup_id_x 1
		.amdhsa_system_sgpr_workgroup_id_y 0
		.amdhsa_system_sgpr_workgroup_id_z 0
		.amdhsa_system_sgpr_workgroup_info 0
		.amdhsa_system_vgpr_workitem_id 0
		.amdhsa_next_free_vgpr 1
		.amdhsa_next_free_sgpr 1
		.amdhsa_reserve_vcc 0
		.amdhsa_float_round_mode_32 0
		.amdhsa_float_round_mode_16_64 0
		.amdhsa_float_denorm_mode_32 3
		.amdhsa_float_denorm_mode_16_64 3
		.amdhsa_dx10_clamp 1
		.amdhsa_ieee_mode 1
		.amdhsa_fp16_overflow 0
		.amdhsa_workgroup_processor_mode 1
		.amdhsa_memory_ordered 1
		.amdhsa_forward_progress 0
		.amdhsa_shared_vgpr_count 0
		.amdhsa_exception_fp_ieee_invalid_op 0
		.amdhsa_exception_fp_denorm_src 0
		.amdhsa_exception_fp_ieee_div_zero 0
		.amdhsa_exception_fp_ieee_overflow 0
		.amdhsa_exception_fp_ieee_underflow 0
		.amdhsa_exception_fp_ieee_inexact 0
		.amdhsa_exception_int_div_zero 0
	.end_amdhsa_kernel
	.section	.text._ZN7rocprim17ROCPRIM_400000_NS6detail17trampoline_kernelINS0_14default_configENS1_25transform_config_selectorItLb0EEEZNS1_14transform_implILb0ES3_S5_NS0_18transform_iteratorINS0_17counting_iteratorImlEEZNS1_24adjacent_difference_implIS3_Lb1ELb0EPtN6thrust23THRUST_200600_302600_NS16discard_iteratorINSD_11use_defaultEEENSD_5minusItEEEE10hipError_tPvRmT2_T3_mT4_P12ihipStream_tbEUlmE_tEESB_NS0_8identityIvEEEESJ_SM_SN_mSO_SQ_bEUlT_E_NS1_11comp_targetILNS1_3genE4ELNS1_11target_archE910ELNS1_3gpuE8ELNS1_3repE0EEENS1_30default_config_static_selectorELNS0_4arch9wavefront6targetE0EEEvT1_,"axG",@progbits,_ZN7rocprim17ROCPRIM_400000_NS6detail17trampoline_kernelINS0_14default_configENS1_25transform_config_selectorItLb0EEEZNS1_14transform_implILb0ES3_S5_NS0_18transform_iteratorINS0_17counting_iteratorImlEEZNS1_24adjacent_difference_implIS3_Lb1ELb0EPtN6thrust23THRUST_200600_302600_NS16discard_iteratorINSD_11use_defaultEEENSD_5minusItEEEE10hipError_tPvRmT2_T3_mT4_P12ihipStream_tbEUlmE_tEESB_NS0_8identityIvEEEESJ_SM_SN_mSO_SQ_bEUlT_E_NS1_11comp_targetILNS1_3genE4ELNS1_11target_archE910ELNS1_3gpuE8ELNS1_3repE0EEENS1_30default_config_static_selectorELNS0_4arch9wavefront6targetE0EEEvT1_,comdat
.Lfunc_end843:
	.size	_ZN7rocprim17ROCPRIM_400000_NS6detail17trampoline_kernelINS0_14default_configENS1_25transform_config_selectorItLb0EEEZNS1_14transform_implILb0ES3_S5_NS0_18transform_iteratorINS0_17counting_iteratorImlEEZNS1_24adjacent_difference_implIS3_Lb1ELb0EPtN6thrust23THRUST_200600_302600_NS16discard_iteratorINSD_11use_defaultEEENSD_5minusItEEEE10hipError_tPvRmT2_T3_mT4_P12ihipStream_tbEUlmE_tEESB_NS0_8identityIvEEEESJ_SM_SN_mSO_SQ_bEUlT_E_NS1_11comp_targetILNS1_3genE4ELNS1_11target_archE910ELNS1_3gpuE8ELNS1_3repE0EEENS1_30default_config_static_selectorELNS0_4arch9wavefront6targetE0EEEvT1_, .Lfunc_end843-_ZN7rocprim17ROCPRIM_400000_NS6detail17trampoline_kernelINS0_14default_configENS1_25transform_config_selectorItLb0EEEZNS1_14transform_implILb0ES3_S5_NS0_18transform_iteratorINS0_17counting_iteratorImlEEZNS1_24adjacent_difference_implIS3_Lb1ELb0EPtN6thrust23THRUST_200600_302600_NS16discard_iteratorINSD_11use_defaultEEENSD_5minusItEEEE10hipError_tPvRmT2_T3_mT4_P12ihipStream_tbEUlmE_tEESB_NS0_8identityIvEEEESJ_SM_SN_mSO_SQ_bEUlT_E_NS1_11comp_targetILNS1_3genE4ELNS1_11target_archE910ELNS1_3gpuE8ELNS1_3repE0EEENS1_30default_config_static_selectorELNS0_4arch9wavefront6targetE0EEEvT1_
                                        ; -- End function
	.section	.AMDGPU.csdata,"",@progbits
; Kernel info:
; codeLenInByte = 0
; NumSgprs: 0
; NumVgprs: 0
; ScratchSize: 0
; MemoryBound: 0
; FloatMode: 240
; IeeeMode: 1
; LDSByteSize: 0 bytes/workgroup (compile time only)
; SGPRBlocks: 0
; VGPRBlocks: 0
; NumSGPRsForWavesPerEU: 1
; NumVGPRsForWavesPerEU: 1
; Occupancy: 16
; WaveLimiterHint : 0
; COMPUTE_PGM_RSRC2:SCRATCH_EN: 0
; COMPUTE_PGM_RSRC2:USER_SGPR: 15
; COMPUTE_PGM_RSRC2:TRAP_HANDLER: 0
; COMPUTE_PGM_RSRC2:TGID_X_EN: 1
; COMPUTE_PGM_RSRC2:TGID_Y_EN: 0
; COMPUTE_PGM_RSRC2:TGID_Z_EN: 0
; COMPUTE_PGM_RSRC2:TIDIG_COMP_CNT: 0
	.section	.text._ZN7rocprim17ROCPRIM_400000_NS6detail17trampoline_kernelINS0_14default_configENS1_25transform_config_selectorItLb0EEEZNS1_14transform_implILb0ES3_S5_NS0_18transform_iteratorINS0_17counting_iteratorImlEEZNS1_24adjacent_difference_implIS3_Lb1ELb0EPtN6thrust23THRUST_200600_302600_NS16discard_iteratorINSD_11use_defaultEEENSD_5minusItEEEE10hipError_tPvRmT2_T3_mT4_P12ihipStream_tbEUlmE_tEESB_NS0_8identityIvEEEESJ_SM_SN_mSO_SQ_bEUlT_E_NS1_11comp_targetILNS1_3genE3ELNS1_11target_archE908ELNS1_3gpuE7ELNS1_3repE0EEENS1_30default_config_static_selectorELNS0_4arch9wavefront6targetE0EEEvT1_,"axG",@progbits,_ZN7rocprim17ROCPRIM_400000_NS6detail17trampoline_kernelINS0_14default_configENS1_25transform_config_selectorItLb0EEEZNS1_14transform_implILb0ES3_S5_NS0_18transform_iteratorINS0_17counting_iteratorImlEEZNS1_24adjacent_difference_implIS3_Lb1ELb0EPtN6thrust23THRUST_200600_302600_NS16discard_iteratorINSD_11use_defaultEEENSD_5minusItEEEE10hipError_tPvRmT2_T3_mT4_P12ihipStream_tbEUlmE_tEESB_NS0_8identityIvEEEESJ_SM_SN_mSO_SQ_bEUlT_E_NS1_11comp_targetILNS1_3genE3ELNS1_11target_archE908ELNS1_3gpuE7ELNS1_3repE0EEENS1_30default_config_static_selectorELNS0_4arch9wavefront6targetE0EEEvT1_,comdat
	.protected	_ZN7rocprim17ROCPRIM_400000_NS6detail17trampoline_kernelINS0_14default_configENS1_25transform_config_selectorItLb0EEEZNS1_14transform_implILb0ES3_S5_NS0_18transform_iteratorINS0_17counting_iteratorImlEEZNS1_24adjacent_difference_implIS3_Lb1ELb0EPtN6thrust23THRUST_200600_302600_NS16discard_iteratorINSD_11use_defaultEEENSD_5minusItEEEE10hipError_tPvRmT2_T3_mT4_P12ihipStream_tbEUlmE_tEESB_NS0_8identityIvEEEESJ_SM_SN_mSO_SQ_bEUlT_E_NS1_11comp_targetILNS1_3genE3ELNS1_11target_archE908ELNS1_3gpuE7ELNS1_3repE0EEENS1_30default_config_static_selectorELNS0_4arch9wavefront6targetE0EEEvT1_ ; -- Begin function _ZN7rocprim17ROCPRIM_400000_NS6detail17trampoline_kernelINS0_14default_configENS1_25transform_config_selectorItLb0EEEZNS1_14transform_implILb0ES3_S5_NS0_18transform_iteratorINS0_17counting_iteratorImlEEZNS1_24adjacent_difference_implIS3_Lb1ELb0EPtN6thrust23THRUST_200600_302600_NS16discard_iteratorINSD_11use_defaultEEENSD_5minusItEEEE10hipError_tPvRmT2_T3_mT4_P12ihipStream_tbEUlmE_tEESB_NS0_8identityIvEEEESJ_SM_SN_mSO_SQ_bEUlT_E_NS1_11comp_targetILNS1_3genE3ELNS1_11target_archE908ELNS1_3gpuE7ELNS1_3repE0EEENS1_30default_config_static_selectorELNS0_4arch9wavefront6targetE0EEEvT1_
	.globl	_ZN7rocprim17ROCPRIM_400000_NS6detail17trampoline_kernelINS0_14default_configENS1_25transform_config_selectorItLb0EEEZNS1_14transform_implILb0ES3_S5_NS0_18transform_iteratorINS0_17counting_iteratorImlEEZNS1_24adjacent_difference_implIS3_Lb1ELb0EPtN6thrust23THRUST_200600_302600_NS16discard_iteratorINSD_11use_defaultEEENSD_5minusItEEEE10hipError_tPvRmT2_T3_mT4_P12ihipStream_tbEUlmE_tEESB_NS0_8identityIvEEEESJ_SM_SN_mSO_SQ_bEUlT_E_NS1_11comp_targetILNS1_3genE3ELNS1_11target_archE908ELNS1_3gpuE7ELNS1_3repE0EEENS1_30default_config_static_selectorELNS0_4arch9wavefront6targetE0EEEvT1_
	.p2align	8
	.type	_ZN7rocprim17ROCPRIM_400000_NS6detail17trampoline_kernelINS0_14default_configENS1_25transform_config_selectorItLb0EEEZNS1_14transform_implILb0ES3_S5_NS0_18transform_iteratorINS0_17counting_iteratorImlEEZNS1_24adjacent_difference_implIS3_Lb1ELb0EPtN6thrust23THRUST_200600_302600_NS16discard_iteratorINSD_11use_defaultEEENSD_5minusItEEEE10hipError_tPvRmT2_T3_mT4_P12ihipStream_tbEUlmE_tEESB_NS0_8identityIvEEEESJ_SM_SN_mSO_SQ_bEUlT_E_NS1_11comp_targetILNS1_3genE3ELNS1_11target_archE908ELNS1_3gpuE7ELNS1_3repE0EEENS1_30default_config_static_selectorELNS0_4arch9wavefront6targetE0EEEvT1_,@function
_ZN7rocprim17ROCPRIM_400000_NS6detail17trampoline_kernelINS0_14default_configENS1_25transform_config_selectorItLb0EEEZNS1_14transform_implILb0ES3_S5_NS0_18transform_iteratorINS0_17counting_iteratorImlEEZNS1_24adjacent_difference_implIS3_Lb1ELb0EPtN6thrust23THRUST_200600_302600_NS16discard_iteratorINSD_11use_defaultEEENSD_5minusItEEEE10hipError_tPvRmT2_T3_mT4_P12ihipStream_tbEUlmE_tEESB_NS0_8identityIvEEEESJ_SM_SN_mSO_SQ_bEUlT_E_NS1_11comp_targetILNS1_3genE3ELNS1_11target_archE908ELNS1_3gpuE7ELNS1_3repE0EEENS1_30default_config_static_selectorELNS0_4arch9wavefront6targetE0EEEvT1_: ; @_ZN7rocprim17ROCPRIM_400000_NS6detail17trampoline_kernelINS0_14default_configENS1_25transform_config_selectorItLb0EEEZNS1_14transform_implILb0ES3_S5_NS0_18transform_iteratorINS0_17counting_iteratorImlEEZNS1_24adjacent_difference_implIS3_Lb1ELb0EPtN6thrust23THRUST_200600_302600_NS16discard_iteratorINSD_11use_defaultEEENSD_5minusItEEEE10hipError_tPvRmT2_T3_mT4_P12ihipStream_tbEUlmE_tEESB_NS0_8identityIvEEEESJ_SM_SN_mSO_SQ_bEUlT_E_NS1_11comp_targetILNS1_3genE3ELNS1_11target_archE908ELNS1_3gpuE7ELNS1_3repE0EEENS1_30default_config_static_selectorELNS0_4arch9wavefront6targetE0EEEvT1_
; %bb.0:
	.section	.rodata,"a",@progbits
	.p2align	6, 0x0
	.amdhsa_kernel _ZN7rocprim17ROCPRIM_400000_NS6detail17trampoline_kernelINS0_14default_configENS1_25transform_config_selectorItLb0EEEZNS1_14transform_implILb0ES3_S5_NS0_18transform_iteratorINS0_17counting_iteratorImlEEZNS1_24adjacent_difference_implIS3_Lb1ELb0EPtN6thrust23THRUST_200600_302600_NS16discard_iteratorINSD_11use_defaultEEENSD_5minusItEEEE10hipError_tPvRmT2_T3_mT4_P12ihipStream_tbEUlmE_tEESB_NS0_8identityIvEEEESJ_SM_SN_mSO_SQ_bEUlT_E_NS1_11comp_targetILNS1_3genE3ELNS1_11target_archE908ELNS1_3gpuE7ELNS1_3repE0EEENS1_30default_config_static_selectorELNS0_4arch9wavefront6targetE0EEEvT1_
		.amdhsa_group_segment_fixed_size 0
		.amdhsa_private_segment_fixed_size 0
		.amdhsa_kernarg_size 56
		.amdhsa_user_sgpr_count 15
		.amdhsa_user_sgpr_dispatch_ptr 0
		.amdhsa_user_sgpr_queue_ptr 0
		.amdhsa_user_sgpr_kernarg_segment_ptr 1
		.amdhsa_user_sgpr_dispatch_id 0
		.amdhsa_user_sgpr_private_segment_size 0
		.amdhsa_wavefront_size32 1
		.amdhsa_uses_dynamic_stack 0
		.amdhsa_enable_private_segment 0
		.amdhsa_system_sgpr_workgroup_id_x 1
		.amdhsa_system_sgpr_workgroup_id_y 0
		.amdhsa_system_sgpr_workgroup_id_z 0
		.amdhsa_system_sgpr_workgroup_info 0
		.amdhsa_system_vgpr_workitem_id 0
		.amdhsa_next_free_vgpr 1
		.amdhsa_next_free_sgpr 1
		.amdhsa_reserve_vcc 0
		.amdhsa_float_round_mode_32 0
		.amdhsa_float_round_mode_16_64 0
		.amdhsa_float_denorm_mode_32 3
		.amdhsa_float_denorm_mode_16_64 3
		.amdhsa_dx10_clamp 1
		.amdhsa_ieee_mode 1
		.amdhsa_fp16_overflow 0
		.amdhsa_workgroup_processor_mode 1
		.amdhsa_memory_ordered 1
		.amdhsa_forward_progress 0
		.amdhsa_shared_vgpr_count 0
		.amdhsa_exception_fp_ieee_invalid_op 0
		.amdhsa_exception_fp_denorm_src 0
		.amdhsa_exception_fp_ieee_div_zero 0
		.amdhsa_exception_fp_ieee_overflow 0
		.amdhsa_exception_fp_ieee_underflow 0
		.amdhsa_exception_fp_ieee_inexact 0
		.amdhsa_exception_int_div_zero 0
	.end_amdhsa_kernel
	.section	.text._ZN7rocprim17ROCPRIM_400000_NS6detail17trampoline_kernelINS0_14default_configENS1_25transform_config_selectorItLb0EEEZNS1_14transform_implILb0ES3_S5_NS0_18transform_iteratorINS0_17counting_iteratorImlEEZNS1_24adjacent_difference_implIS3_Lb1ELb0EPtN6thrust23THRUST_200600_302600_NS16discard_iteratorINSD_11use_defaultEEENSD_5minusItEEEE10hipError_tPvRmT2_T3_mT4_P12ihipStream_tbEUlmE_tEESB_NS0_8identityIvEEEESJ_SM_SN_mSO_SQ_bEUlT_E_NS1_11comp_targetILNS1_3genE3ELNS1_11target_archE908ELNS1_3gpuE7ELNS1_3repE0EEENS1_30default_config_static_selectorELNS0_4arch9wavefront6targetE0EEEvT1_,"axG",@progbits,_ZN7rocprim17ROCPRIM_400000_NS6detail17trampoline_kernelINS0_14default_configENS1_25transform_config_selectorItLb0EEEZNS1_14transform_implILb0ES3_S5_NS0_18transform_iteratorINS0_17counting_iteratorImlEEZNS1_24adjacent_difference_implIS3_Lb1ELb0EPtN6thrust23THRUST_200600_302600_NS16discard_iteratorINSD_11use_defaultEEENSD_5minusItEEEE10hipError_tPvRmT2_T3_mT4_P12ihipStream_tbEUlmE_tEESB_NS0_8identityIvEEEESJ_SM_SN_mSO_SQ_bEUlT_E_NS1_11comp_targetILNS1_3genE3ELNS1_11target_archE908ELNS1_3gpuE7ELNS1_3repE0EEENS1_30default_config_static_selectorELNS0_4arch9wavefront6targetE0EEEvT1_,comdat
.Lfunc_end844:
	.size	_ZN7rocprim17ROCPRIM_400000_NS6detail17trampoline_kernelINS0_14default_configENS1_25transform_config_selectorItLb0EEEZNS1_14transform_implILb0ES3_S5_NS0_18transform_iteratorINS0_17counting_iteratorImlEEZNS1_24adjacent_difference_implIS3_Lb1ELb0EPtN6thrust23THRUST_200600_302600_NS16discard_iteratorINSD_11use_defaultEEENSD_5minusItEEEE10hipError_tPvRmT2_T3_mT4_P12ihipStream_tbEUlmE_tEESB_NS0_8identityIvEEEESJ_SM_SN_mSO_SQ_bEUlT_E_NS1_11comp_targetILNS1_3genE3ELNS1_11target_archE908ELNS1_3gpuE7ELNS1_3repE0EEENS1_30default_config_static_selectorELNS0_4arch9wavefront6targetE0EEEvT1_, .Lfunc_end844-_ZN7rocprim17ROCPRIM_400000_NS6detail17trampoline_kernelINS0_14default_configENS1_25transform_config_selectorItLb0EEEZNS1_14transform_implILb0ES3_S5_NS0_18transform_iteratorINS0_17counting_iteratorImlEEZNS1_24adjacent_difference_implIS3_Lb1ELb0EPtN6thrust23THRUST_200600_302600_NS16discard_iteratorINSD_11use_defaultEEENSD_5minusItEEEE10hipError_tPvRmT2_T3_mT4_P12ihipStream_tbEUlmE_tEESB_NS0_8identityIvEEEESJ_SM_SN_mSO_SQ_bEUlT_E_NS1_11comp_targetILNS1_3genE3ELNS1_11target_archE908ELNS1_3gpuE7ELNS1_3repE0EEENS1_30default_config_static_selectorELNS0_4arch9wavefront6targetE0EEEvT1_
                                        ; -- End function
	.section	.AMDGPU.csdata,"",@progbits
; Kernel info:
; codeLenInByte = 0
; NumSgprs: 0
; NumVgprs: 0
; ScratchSize: 0
; MemoryBound: 0
; FloatMode: 240
; IeeeMode: 1
; LDSByteSize: 0 bytes/workgroup (compile time only)
; SGPRBlocks: 0
; VGPRBlocks: 0
; NumSGPRsForWavesPerEU: 1
; NumVGPRsForWavesPerEU: 1
; Occupancy: 16
; WaveLimiterHint : 0
; COMPUTE_PGM_RSRC2:SCRATCH_EN: 0
; COMPUTE_PGM_RSRC2:USER_SGPR: 15
; COMPUTE_PGM_RSRC2:TRAP_HANDLER: 0
; COMPUTE_PGM_RSRC2:TGID_X_EN: 1
; COMPUTE_PGM_RSRC2:TGID_Y_EN: 0
; COMPUTE_PGM_RSRC2:TGID_Z_EN: 0
; COMPUTE_PGM_RSRC2:TIDIG_COMP_CNT: 0
	.section	.text._ZN7rocprim17ROCPRIM_400000_NS6detail17trampoline_kernelINS0_14default_configENS1_25transform_config_selectorItLb0EEEZNS1_14transform_implILb0ES3_S5_NS0_18transform_iteratorINS0_17counting_iteratorImlEEZNS1_24adjacent_difference_implIS3_Lb1ELb0EPtN6thrust23THRUST_200600_302600_NS16discard_iteratorINSD_11use_defaultEEENSD_5minusItEEEE10hipError_tPvRmT2_T3_mT4_P12ihipStream_tbEUlmE_tEESB_NS0_8identityIvEEEESJ_SM_SN_mSO_SQ_bEUlT_E_NS1_11comp_targetILNS1_3genE2ELNS1_11target_archE906ELNS1_3gpuE6ELNS1_3repE0EEENS1_30default_config_static_selectorELNS0_4arch9wavefront6targetE0EEEvT1_,"axG",@progbits,_ZN7rocprim17ROCPRIM_400000_NS6detail17trampoline_kernelINS0_14default_configENS1_25transform_config_selectorItLb0EEEZNS1_14transform_implILb0ES3_S5_NS0_18transform_iteratorINS0_17counting_iteratorImlEEZNS1_24adjacent_difference_implIS3_Lb1ELb0EPtN6thrust23THRUST_200600_302600_NS16discard_iteratorINSD_11use_defaultEEENSD_5minusItEEEE10hipError_tPvRmT2_T3_mT4_P12ihipStream_tbEUlmE_tEESB_NS0_8identityIvEEEESJ_SM_SN_mSO_SQ_bEUlT_E_NS1_11comp_targetILNS1_3genE2ELNS1_11target_archE906ELNS1_3gpuE6ELNS1_3repE0EEENS1_30default_config_static_selectorELNS0_4arch9wavefront6targetE0EEEvT1_,comdat
	.protected	_ZN7rocprim17ROCPRIM_400000_NS6detail17trampoline_kernelINS0_14default_configENS1_25transform_config_selectorItLb0EEEZNS1_14transform_implILb0ES3_S5_NS0_18transform_iteratorINS0_17counting_iteratorImlEEZNS1_24adjacent_difference_implIS3_Lb1ELb0EPtN6thrust23THRUST_200600_302600_NS16discard_iteratorINSD_11use_defaultEEENSD_5minusItEEEE10hipError_tPvRmT2_T3_mT4_P12ihipStream_tbEUlmE_tEESB_NS0_8identityIvEEEESJ_SM_SN_mSO_SQ_bEUlT_E_NS1_11comp_targetILNS1_3genE2ELNS1_11target_archE906ELNS1_3gpuE6ELNS1_3repE0EEENS1_30default_config_static_selectorELNS0_4arch9wavefront6targetE0EEEvT1_ ; -- Begin function _ZN7rocprim17ROCPRIM_400000_NS6detail17trampoline_kernelINS0_14default_configENS1_25transform_config_selectorItLb0EEEZNS1_14transform_implILb0ES3_S5_NS0_18transform_iteratorINS0_17counting_iteratorImlEEZNS1_24adjacent_difference_implIS3_Lb1ELb0EPtN6thrust23THRUST_200600_302600_NS16discard_iteratorINSD_11use_defaultEEENSD_5minusItEEEE10hipError_tPvRmT2_T3_mT4_P12ihipStream_tbEUlmE_tEESB_NS0_8identityIvEEEESJ_SM_SN_mSO_SQ_bEUlT_E_NS1_11comp_targetILNS1_3genE2ELNS1_11target_archE906ELNS1_3gpuE6ELNS1_3repE0EEENS1_30default_config_static_selectorELNS0_4arch9wavefront6targetE0EEEvT1_
	.globl	_ZN7rocprim17ROCPRIM_400000_NS6detail17trampoline_kernelINS0_14default_configENS1_25transform_config_selectorItLb0EEEZNS1_14transform_implILb0ES3_S5_NS0_18transform_iteratorINS0_17counting_iteratorImlEEZNS1_24adjacent_difference_implIS3_Lb1ELb0EPtN6thrust23THRUST_200600_302600_NS16discard_iteratorINSD_11use_defaultEEENSD_5minusItEEEE10hipError_tPvRmT2_T3_mT4_P12ihipStream_tbEUlmE_tEESB_NS0_8identityIvEEEESJ_SM_SN_mSO_SQ_bEUlT_E_NS1_11comp_targetILNS1_3genE2ELNS1_11target_archE906ELNS1_3gpuE6ELNS1_3repE0EEENS1_30default_config_static_selectorELNS0_4arch9wavefront6targetE0EEEvT1_
	.p2align	8
	.type	_ZN7rocprim17ROCPRIM_400000_NS6detail17trampoline_kernelINS0_14default_configENS1_25transform_config_selectorItLb0EEEZNS1_14transform_implILb0ES3_S5_NS0_18transform_iteratorINS0_17counting_iteratorImlEEZNS1_24adjacent_difference_implIS3_Lb1ELb0EPtN6thrust23THRUST_200600_302600_NS16discard_iteratorINSD_11use_defaultEEENSD_5minusItEEEE10hipError_tPvRmT2_T3_mT4_P12ihipStream_tbEUlmE_tEESB_NS0_8identityIvEEEESJ_SM_SN_mSO_SQ_bEUlT_E_NS1_11comp_targetILNS1_3genE2ELNS1_11target_archE906ELNS1_3gpuE6ELNS1_3repE0EEENS1_30default_config_static_selectorELNS0_4arch9wavefront6targetE0EEEvT1_,@function
_ZN7rocprim17ROCPRIM_400000_NS6detail17trampoline_kernelINS0_14default_configENS1_25transform_config_selectorItLb0EEEZNS1_14transform_implILb0ES3_S5_NS0_18transform_iteratorINS0_17counting_iteratorImlEEZNS1_24adjacent_difference_implIS3_Lb1ELb0EPtN6thrust23THRUST_200600_302600_NS16discard_iteratorINSD_11use_defaultEEENSD_5minusItEEEE10hipError_tPvRmT2_T3_mT4_P12ihipStream_tbEUlmE_tEESB_NS0_8identityIvEEEESJ_SM_SN_mSO_SQ_bEUlT_E_NS1_11comp_targetILNS1_3genE2ELNS1_11target_archE906ELNS1_3gpuE6ELNS1_3repE0EEENS1_30default_config_static_selectorELNS0_4arch9wavefront6targetE0EEEvT1_: ; @_ZN7rocprim17ROCPRIM_400000_NS6detail17trampoline_kernelINS0_14default_configENS1_25transform_config_selectorItLb0EEEZNS1_14transform_implILb0ES3_S5_NS0_18transform_iteratorINS0_17counting_iteratorImlEEZNS1_24adjacent_difference_implIS3_Lb1ELb0EPtN6thrust23THRUST_200600_302600_NS16discard_iteratorINSD_11use_defaultEEENSD_5minusItEEEE10hipError_tPvRmT2_T3_mT4_P12ihipStream_tbEUlmE_tEESB_NS0_8identityIvEEEESJ_SM_SN_mSO_SQ_bEUlT_E_NS1_11comp_targetILNS1_3genE2ELNS1_11target_archE906ELNS1_3gpuE6ELNS1_3repE0EEENS1_30default_config_static_selectorELNS0_4arch9wavefront6targetE0EEEvT1_
; %bb.0:
	.section	.rodata,"a",@progbits
	.p2align	6, 0x0
	.amdhsa_kernel _ZN7rocprim17ROCPRIM_400000_NS6detail17trampoline_kernelINS0_14default_configENS1_25transform_config_selectorItLb0EEEZNS1_14transform_implILb0ES3_S5_NS0_18transform_iteratorINS0_17counting_iteratorImlEEZNS1_24adjacent_difference_implIS3_Lb1ELb0EPtN6thrust23THRUST_200600_302600_NS16discard_iteratorINSD_11use_defaultEEENSD_5minusItEEEE10hipError_tPvRmT2_T3_mT4_P12ihipStream_tbEUlmE_tEESB_NS0_8identityIvEEEESJ_SM_SN_mSO_SQ_bEUlT_E_NS1_11comp_targetILNS1_3genE2ELNS1_11target_archE906ELNS1_3gpuE6ELNS1_3repE0EEENS1_30default_config_static_selectorELNS0_4arch9wavefront6targetE0EEEvT1_
		.amdhsa_group_segment_fixed_size 0
		.amdhsa_private_segment_fixed_size 0
		.amdhsa_kernarg_size 56
		.amdhsa_user_sgpr_count 15
		.amdhsa_user_sgpr_dispatch_ptr 0
		.amdhsa_user_sgpr_queue_ptr 0
		.amdhsa_user_sgpr_kernarg_segment_ptr 1
		.amdhsa_user_sgpr_dispatch_id 0
		.amdhsa_user_sgpr_private_segment_size 0
		.amdhsa_wavefront_size32 1
		.amdhsa_uses_dynamic_stack 0
		.amdhsa_enable_private_segment 0
		.amdhsa_system_sgpr_workgroup_id_x 1
		.amdhsa_system_sgpr_workgroup_id_y 0
		.amdhsa_system_sgpr_workgroup_id_z 0
		.amdhsa_system_sgpr_workgroup_info 0
		.amdhsa_system_vgpr_workitem_id 0
		.amdhsa_next_free_vgpr 1
		.amdhsa_next_free_sgpr 1
		.amdhsa_reserve_vcc 0
		.amdhsa_float_round_mode_32 0
		.amdhsa_float_round_mode_16_64 0
		.amdhsa_float_denorm_mode_32 3
		.amdhsa_float_denorm_mode_16_64 3
		.amdhsa_dx10_clamp 1
		.amdhsa_ieee_mode 1
		.amdhsa_fp16_overflow 0
		.amdhsa_workgroup_processor_mode 1
		.amdhsa_memory_ordered 1
		.amdhsa_forward_progress 0
		.amdhsa_shared_vgpr_count 0
		.amdhsa_exception_fp_ieee_invalid_op 0
		.amdhsa_exception_fp_denorm_src 0
		.amdhsa_exception_fp_ieee_div_zero 0
		.amdhsa_exception_fp_ieee_overflow 0
		.amdhsa_exception_fp_ieee_underflow 0
		.amdhsa_exception_fp_ieee_inexact 0
		.amdhsa_exception_int_div_zero 0
	.end_amdhsa_kernel
	.section	.text._ZN7rocprim17ROCPRIM_400000_NS6detail17trampoline_kernelINS0_14default_configENS1_25transform_config_selectorItLb0EEEZNS1_14transform_implILb0ES3_S5_NS0_18transform_iteratorINS0_17counting_iteratorImlEEZNS1_24adjacent_difference_implIS3_Lb1ELb0EPtN6thrust23THRUST_200600_302600_NS16discard_iteratorINSD_11use_defaultEEENSD_5minusItEEEE10hipError_tPvRmT2_T3_mT4_P12ihipStream_tbEUlmE_tEESB_NS0_8identityIvEEEESJ_SM_SN_mSO_SQ_bEUlT_E_NS1_11comp_targetILNS1_3genE2ELNS1_11target_archE906ELNS1_3gpuE6ELNS1_3repE0EEENS1_30default_config_static_selectorELNS0_4arch9wavefront6targetE0EEEvT1_,"axG",@progbits,_ZN7rocprim17ROCPRIM_400000_NS6detail17trampoline_kernelINS0_14default_configENS1_25transform_config_selectorItLb0EEEZNS1_14transform_implILb0ES3_S5_NS0_18transform_iteratorINS0_17counting_iteratorImlEEZNS1_24adjacent_difference_implIS3_Lb1ELb0EPtN6thrust23THRUST_200600_302600_NS16discard_iteratorINSD_11use_defaultEEENSD_5minusItEEEE10hipError_tPvRmT2_T3_mT4_P12ihipStream_tbEUlmE_tEESB_NS0_8identityIvEEEESJ_SM_SN_mSO_SQ_bEUlT_E_NS1_11comp_targetILNS1_3genE2ELNS1_11target_archE906ELNS1_3gpuE6ELNS1_3repE0EEENS1_30default_config_static_selectorELNS0_4arch9wavefront6targetE0EEEvT1_,comdat
.Lfunc_end845:
	.size	_ZN7rocprim17ROCPRIM_400000_NS6detail17trampoline_kernelINS0_14default_configENS1_25transform_config_selectorItLb0EEEZNS1_14transform_implILb0ES3_S5_NS0_18transform_iteratorINS0_17counting_iteratorImlEEZNS1_24adjacent_difference_implIS3_Lb1ELb0EPtN6thrust23THRUST_200600_302600_NS16discard_iteratorINSD_11use_defaultEEENSD_5minusItEEEE10hipError_tPvRmT2_T3_mT4_P12ihipStream_tbEUlmE_tEESB_NS0_8identityIvEEEESJ_SM_SN_mSO_SQ_bEUlT_E_NS1_11comp_targetILNS1_3genE2ELNS1_11target_archE906ELNS1_3gpuE6ELNS1_3repE0EEENS1_30default_config_static_selectorELNS0_4arch9wavefront6targetE0EEEvT1_, .Lfunc_end845-_ZN7rocprim17ROCPRIM_400000_NS6detail17trampoline_kernelINS0_14default_configENS1_25transform_config_selectorItLb0EEEZNS1_14transform_implILb0ES3_S5_NS0_18transform_iteratorINS0_17counting_iteratorImlEEZNS1_24adjacent_difference_implIS3_Lb1ELb0EPtN6thrust23THRUST_200600_302600_NS16discard_iteratorINSD_11use_defaultEEENSD_5minusItEEEE10hipError_tPvRmT2_T3_mT4_P12ihipStream_tbEUlmE_tEESB_NS0_8identityIvEEEESJ_SM_SN_mSO_SQ_bEUlT_E_NS1_11comp_targetILNS1_3genE2ELNS1_11target_archE906ELNS1_3gpuE6ELNS1_3repE0EEENS1_30default_config_static_selectorELNS0_4arch9wavefront6targetE0EEEvT1_
                                        ; -- End function
	.section	.AMDGPU.csdata,"",@progbits
; Kernel info:
; codeLenInByte = 0
; NumSgprs: 0
; NumVgprs: 0
; ScratchSize: 0
; MemoryBound: 0
; FloatMode: 240
; IeeeMode: 1
; LDSByteSize: 0 bytes/workgroup (compile time only)
; SGPRBlocks: 0
; VGPRBlocks: 0
; NumSGPRsForWavesPerEU: 1
; NumVGPRsForWavesPerEU: 1
; Occupancy: 16
; WaveLimiterHint : 0
; COMPUTE_PGM_RSRC2:SCRATCH_EN: 0
; COMPUTE_PGM_RSRC2:USER_SGPR: 15
; COMPUTE_PGM_RSRC2:TRAP_HANDLER: 0
; COMPUTE_PGM_RSRC2:TGID_X_EN: 1
; COMPUTE_PGM_RSRC2:TGID_Y_EN: 0
; COMPUTE_PGM_RSRC2:TGID_Z_EN: 0
; COMPUTE_PGM_RSRC2:TIDIG_COMP_CNT: 0
	.section	.text._ZN7rocprim17ROCPRIM_400000_NS6detail17trampoline_kernelINS0_14default_configENS1_25transform_config_selectorItLb0EEEZNS1_14transform_implILb0ES3_S5_NS0_18transform_iteratorINS0_17counting_iteratorImlEEZNS1_24adjacent_difference_implIS3_Lb1ELb0EPtN6thrust23THRUST_200600_302600_NS16discard_iteratorINSD_11use_defaultEEENSD_5minusItEEEE10hipError_tPvRmT2_T3_mT4_P12ihipStream_tbEUlmE_tEESB_NS0_8identityIvEEEESJ_SM_SN_mSO_SQ_bEUlT_E_NS1_11comp_targetILNS1_3genE10ELNS1_11target_archE1201ELNS1_3gpuE5ELNS1_3repE0EEENS1_30default_config_static_selectorELNS0_4arch9wavefront6targetE0EEEvT1_,"axG",@progbits,_ZN7rocprim17ROCPRIM_400000_NS6detail17trampoline_kernelINS0_14default_configENS1_25transform_config_selectorItLb0EEEZNS1_14transform_implILb0ES3_S5_NS0_18transform_iteratorINS0_17counting_iteratorImlEEZNS1_24adjacent_difference_implIS3_Lb1ELb0EPtN6thrust23THRUST_200600_302600_NS16discard_iteratorINSD_11use_defaultEEENSD_5minusItEEEE10hipError_tPvRmT2_T3_mT4_P12ihipStream_tbEUlmE_tEESB_NS0_8identityIvEEEESJ_SM_SN_mSO_SQ_bEUlT_E_NS1_11comp_targetILNS1_3genE10ELNS1_11target_archE1201ELNS1_3gpuE5ELNS1_3repE0EEENS1_30default_config_static_selectorELNS0_4arch9wavefront6targetE0EEEvT1_,comdat
	.protected	_ZN7rocprim17ROCPRIM_400000_NS6detail17trampoline_kernelINS0_14default_configENS1_25transform_config_selectorItLb0EEEZNS1_14transform_implILb0ES3_S5_NS0_18transform_iteratorINS0_17counting_iteratorImlEEZNS1_24adjacent_difference_implIS3_Lb1ELb0EPtN6thrust23THRUST_200600_302600_NS16discard_iteratorINSD_11use_defaultEEENSD_5minusItEEEE10hipError_tPvRmT2_T3_mT4_P12ihipStream_tbEUlmE_tEESB_NS0_8identityIvEEEESJ_SM_SN_mSO_SQ_bEUlT_E_NS1_11comp_targetILNS1_3genE10ELNS1_11target_archE1201ELNS1_3gpuE5ELNS1_3repE0EEENS1_30default_config_static_selectorELNS0_4arch9wavefront6targetE0EEEvT1_ ; -- Begin function _ZN7rocprim17ROCPRIM_400000_NS6detail17trampoline_kernelINS0_14default_configENS1_25transform_config_selectorItLb0EEEZNS1_14transform_implILb0ES3_S5_NS0_18transform_iteratorINS0_17counting_iteratorImlEEZNS1_24adjacent_difference_implIS3_Lb1ELb0EPtN6thrust23THRUST_200600_302600_NS16discard_iteratorINSD_11use_defaultEEENSD_5minusItEEEE10hipError_tPvRmT2_T3_mT4_P12ihipStream_tbEUlmE_tEESB_NS0_8identityIvEEEESJ_SM_SN_mSO_SQ_bEUlT_E_NS1_11comp_targetILNS1_3genE10ELNS1_11target_archE1201ELNS1_3gpuE5ELNS1_3repE0EEENS1_30default_config_static_selectorELNS0_4arch9wavefront6targetE0EEEvT1_
	.globl	_ZN7rocprim17ROCPRIM_400000_NS6detail17trampoline_kernelINS0_14default_configENS1_25transform_config_selectorItLb0EEEZNS1_14transform_implILb0ES3_S5_NS0_18transform_iteratorINS0_17counting_iteratorImlEEZNS1_24adjacent_difference_implIS3_Lb1ELb0EPtN6thrust23THRUST_200600_302600_NS16discard_iteratorINSD_11use_defaultEEENSD_5minusItEEEE10hipError_tPvRmT2_T3_mT4_P12ihipStream_tbEUlmE_tEESB_NS0_8identityIvEEEESJ_SM_SN_mSO_SQ_bEUlT_E_NS1_11comp_targetILNS1_3genE10ELNS1_11target_archE1201ELNS1_3gpuE5ELNS1_3repE0EEENS1_30default_config_static_selectorELNS0_4arch9wavefront6targetE0EEEvT1_
	.p2align	8
	.type	_ZN7rocprim17ROCPRIM_400000_NS6detail17trampoline_kernelINS0_14default_configENS1_25transform_config_selectorItLb0EEEZNS1_14transform_implILb0ES3_S5_NS0_18transform_iteratorINS0_17counting_iteratorImlEEZNS1_24adjacent_difference_implIS3_Lb1ELb0EPtN6thrust23THRUST_200600_302600_NS16discard_iteratorINSD_11use_defaultEEENSD_5minusItEEEE10hipError_tPvRmT2_T3_mT4_P12ihipStream_tbEUlmE_tEESB_NS0_8identityIvEEEESJ_SM_SN_mSO_SQ_bEUlT_E_NS1_11comp_targetILNS1_3genE10ELNS1_11target_archE1201ELNS1_3gpuE5ELNS1_3repE0EEENS1_30default_config_static_selectorELNS0_4arch9wavefront6targetE0EEEvT1_,@function
_ZN7rocprim17ROCPRIM_400000_NS6detail17trampoline_kernelINS0_14default_configENS1_25transform_config_selectorItLb0EEEZNS1_14transform_implILb0ES3_S5_NS0_18transform_iteratorINS0_17counting_iteratorImlEEZNS1_24adjacent_difference_implIS3_Lb1ELb0EPtN6thrust23THRUST_200600_302600_NS16discard_iteratorINSD_11use_defaultEEENSD_5minusItEEEE10hipError_tPvRmT2_T3_mT4_P12ihipStream_tbEUlmE_tEESB_NS0_8identityIvEEEESJ_SM_SN_mSO_SQ_bEUlT_E_NS1_11comp_targetILNS1_3genE10ELNS1_11target_archE1201ELNS1_3gpuE5ELNS1_3repE0EEENS1_30default_config_static_selectorELNS0_4arch9wavefront6targetE0EEEvT1_: ; @_ZN7rocprim17ROCPRIM_400000_NS6detail17trampoline_kernelINS0_14default_configENS1_25transform_config_selectorItLb0EEEZNS1_14transform_implILb0ES3_S5_NS0_18transform_iteratorINS0_17counting_iteratorImlEEZNS1_24adjacent_difference_implIS3_Lb1ELb0EPtN6thrust23THRUST_200600_302600_NS16discard_iteratorINSD_11use_defaultEEENSD_5minusItEEEE10hipError_tPvRmT2_T3_mT4_P12ihipStream_tbEUlmE_tEESB_NS0_8identityIvEEEESJ_SM_SN_mSO_SQ_bEUlT_E_NS1_11comp_targetILNS1_3genE10ELNS1_11target_archE1201ELNS1_3gpuE5ELNS1_3repE0EEENS1_30default_config_static_selectorELNS0_4arch9wavefront6targetE0EEEvT1_
; %bb.0:
	.section	.rodata,"a",@progbits
	.p2align	6, 0x0
	.amdhsa_kernel _ZN7rocprim17ROCPRIM_400000_NS6detail17trampoline_kernelINS0_14default_configENS1_25transform_config_selectorItLb0EEEZNS1_14transform_implILb0ES3_S5_NS0_18transform_iteratorINS0_17counting_iteratorImlEEZNS1_24adjacent_difference_implIS3_Lb1ELb0EPtN6thrust23THRUST_200600_302600_NS16discard_iteratorINSD_11use_defaultEEENSD_5minusItEEEE10hipError_tPvRmT2_T3_mT4_P12ihipStream_tbEUlmE_tEESB_NS0_8identityIvEEEESJ_SM_SN_mSO_SQ_bEUlT_E_NS1_11comp_targetILNS1_3genE10ELNS1_11target_archE1201ELNS1_3gpuE5ELNS1_3repE0EEENS1_30default_config_static_selectorELNS0_4arch9wavefront6targetE0EEEvT1_
		.amdhsa_group_segment_fixed_size 0
		.amdhsa_private_segment_fixed_size 0
		.amdhsa_kernarg_size 56
		.amdhsa_user_sgpr_count 15
		.amdhsa_user_sgpr_dispatch_ptr 0
		.amdhsa_user_sgpr_queue_ptr 0
		.amdhsa_user_sgpr_kernarg_segment_ptr 1
		.amdhsa_user_sgpr_dispatch_id 0
		.amdhsa_user_sgpr_private_segment_size 0
		.amdhsa_wavefront_size32 1
		.amdhsa_uses_dynamic_stack 0
		.amdhsa_enable_private_segment 0
		.amdhsa_system_sgpr_workgroup_id_x 1
		.amdhsa_system_sgpr_workgroup_id_y 0
		.amdhsa_system_sgpr_workgroup_id_z 0
		.amdhsa_system_sgpr_workgroup_info 0
		.amdhsa_system_vgpr_workitem_id 0
		.amdhsa_next_free_vgpr 1
		.amdhsa_next_free_sgpr 1
		.amdhsa_reserve_vcc 0
		.amdhsa_float_round_mode_32 0
		.amdhsa_float_round_mode_16_64 0
		.amdhsa_float_denorm_mode_32 3
		.amdhsa_float_denorm_mode_16_64 3
		.amdhsa_dx10_clamp 1
		.amdhsa_ieee_mode 1
		.amdhsa_fp16_overflow 0
		.amdhsa_workgroup_processor_mode 1
		.amdhsa_memory_ordered 1
		.amdhsa_forward_progress 0
		.amdhsa_shared_vgpr_count 0
		.amdhsa_exception_fp_ieee_invalid_op 0
		.amdhsa_exception_fp_denorm_src 0
		.amdhsa_exception_fp_ieee_div_zero 0
		.amdhsa_exception_fp_ieee_overflow 0
		.amdhsa_exception_fp_ieee_underflow 0
		.amdhsa_exception_fp_ieee_inexact 0
		.amdhsa_exception_int_div_zero 0
	.end_amdhsa_kernel
	.section	.text._ZN7rocprim17ROCPRIM_400000_NS6detail17trampoline_kernelINS0_14default_configENS1_25transform_config_selectorItLb0EEEZNS1_14transform_implILb0ES3_S5_NS0_18transform_iteratorINS0_17counting_iteratorImlEEZNS1_24adjacent_difference_implIS3_Lb1ELb0EPtN6thrust23THRUST_200600_302600_NS16discard_iteratorINSD_11use_defaultEEENSD_5minusItEEEE10hipError_tPvRmT2_T3_mT4_P12ihipStream_tbEUlmE_tEESB_NS0_8identityIvEEEESJ_SM_SN_mSO_SQ_bEUlT_E_NS1_11comp_targetILNS1_3genE10ELNS1_11target_archE1201ELNS1_3gpuE5ELNS1_3repE0EEENS1_30default_config_static_selectorELNS0_4arch9wavefront6targetE0EEEvT1_,"axG",@progbits,_ZN7rocprim17ROCPRIM_400000_NS6detail17trampoline_kernelINS0_14default_configENS1_25transform_config_selectorItLb0EEEZNS1_14transform_implILb0ES3_S5_NS0_18transform_iteratorINS0_17counting_iteratorImlEEZNS1_24adjacent_difference_implIS3_Lb1ELb0EPtN6thrust23THRUST_200600_302600_NS16discard_iteratorINSD_11use_defaultEEENSD_5minusItEEEE10hipError_tPvRmT2_T3_mT4_P12ihipStream_tbEUlmE_tEESB_NS0_8identityIvEEEESJ_SM_SN_mSO_SQ_bEUlT_E_NS1_11comp_targetILNS1_3genE10ELNS1_11target_archE1201ELNS1_3gpuE5ELNS1_3repE0EEENS1_30default_config_static_selectorELNS0_4arch9wavefront6targetE0EEEvT1_,comdat
.Lfunc_end846:
	.size	_ZN7rocprim17ROCPRIM_400000_NS6detail17trampoline_kernelINS0_14default_configENS1_25transform_config_selectorItLb0EEEZNS1_14transform_implILb0ES3_S5_NS0_18transform_iteratorINS0_17counting_iteratorImlEEZNS1_24adjacent_difference_implIS3_Lb1ELb0EPtN6thrust23THRUST_200600_302600_NS16discard_iteratorINSD_11use_defaultEEENSD_5minusItEEEE10hipError_tPvRmT2_T3_mT4_P12ihipStream_tbEUlmE_tEESB_NS0_8identityIvEEEESJ_SM_SN_mSO_SQ_bEUlT_E_NS1_11comp_targetILNS1_3genE10ELNS1_11target_archE1201ELNS1_3gpuE5ELNS1_3repE0EEENS1_30default_config_static_selectorELNS0_4arch9wavefront6targetE0EEEvT1_, .Lfunc_end846-_ZN7rocprim17ROCPRIM_400000_NS6detail17trampoline_kernelINS0_14default_configENS1_25transform_config_selectorItLb0EEEZNS1_14transform_implILb0ES3_S5_NS0_18transform_iteratorINS0_17counting_iteratorImlEEZNS1_24adjacent_difference_implIS3_Lb1ELb0EPtN6thrust23THRUST_200600_302600_NS16discard_iteratorINSD_11use_defaultEEENSD_5minusItEEEE10hipError_tPvRmT2_T3_mT4_P12ihipStream_tbEUlmE_tEESB_NS0_8identityIvEEEESJ_SM_SN_mSO_SQ_bEUlT_E_NS1_11comp_targetILNS1_3genE10ELNS1_11target_archE1201ELNS1_3gpuE5ELNS1_3repE0EEENS1_30default_config_static_selectorELNS0_4arch9wavefront6targetE0EEEvT1_
                                        ; -- End function
	.section	.AMDGPU.csdata,"",@progbits
; Kernel info:
; codeLenInByte = 0
; NumSgprs: 0
; NumVgprs: 0
; ScratchSize: 0
; MemoryBound: 0
; FloatMode: 240
; IeeeMode: 1
; LDSByteSize: 0 bytes/workgroup (compile time only)
; SGPRBlocks: 0
; VGPRBlocks: 0
; NumSGPRsForWavesPerEU: 1
; NumVGPRsForWavesPerEU: 1
; Occupancy: 16
; WaveLimiterHint : 0
; COMPUTE_PGM_RSRC2:SCRATCH_EN: 0
; COMPUTE_PGM_RSRC2:USER_SGPR: 15
; COMPUTE_PGM_RSRC2:TRAP_HANDLER: 0
; COMPUTE_PGM_RSRC2:TGID_X_EN: 1
; COMPUTE_PGM_RSRC2:TGID_Y_EN: 0
; COMPUTE_PGM_RSRC2:TGID_Z_EN: 0
; COMPUTE_PGM_RSRC2:TIDIG_COMP_CNT: 0
	.section	.text._ZN7rocprim17ROCPRIM_400000_NS6detail17trampoline_kernelINS0_14default_configENS1_25transform_config_selectorItLb0EEEZNS1_14transform_implILb0ES3_S5_NS0_18transform_iteratorINS0_17counting_iteratorImlEEZNS1_24adjacent_difference_implIS3_Lb1ELb0EPtN6thrust23THRUST_200600_302600_NS16discard_iteratorINSD_11use_defaultEEENSD_5minusItEEEE10hipError_tPvRmT2_T3_mT4_P12ihipStream_tbEUlmE_tEESB_NS0_8identityIvEEEESJ_SM_SN_mSO_SQ_bEUlT_E_NS1_11comp_targetILNS1_3genE10ELNS1_11target_archE1200ELNS1_3gpuE4ELNS1_3repE0EEENS1_30default_config_static_selectorELNS0_4arch9wavefront6targetE0EEEvT1_,"axG",@progbits,_ZN7rocprim17ROCPRIM_400000_NS6detail17trampoline_kernelINS0_14default_configENS1_25transform_config_selectorItLb0EEEZNS1_14transform_implILb0ES3_S5_NS0_18transform_iteratorINS0_17counting_iteratorImlEEZNS1_24adjacent_difference_implIS3_Lb1ELb0EPtN6thrust23THRUST_200600_302600_NS16discard_iteratorINSD_11use_defaultEEENSD_5minusItEEEE10hipError_tPvRmT2_T3_mT4_P12ihipStream_tbEUlmE_tEESB_NS0_8identityIvEEEESJ_SM_SN_mSO_SQ_bEUlT_E_NS1_11comp_targetILNS1_3genE10ELNS1_11target_archE1200ELNS1_3gpuE4ELNS1_3repE0EEENS1_30default_config_static_selectorELNS0_4arch9wavefront6targetE0EEEvT1_,comdat
	.protected	_ZN7rocprim17ROCPRIM_400000_NS6detail17trampoline_kernelINS0_14default_configENS1_25transform_config_selectorItLb0EEEZNS1_14transform_implILb0ES3_S5_NS0_18transform_iteratorINS0_17counting_iteratorImlEEZNS1_24adjacent_difference_implIS3_Lb1ELb0EPtN6thrust23THRUST_200600_302600_NS16discard_iteratorINSD_11use_defaultEEENSD_5minusItEEEE10hipError_tPvRmT2_T3_mT4_P12ihipStream_tbEUlmE_tEESB_NS0_8identityIvEEEESJ_SM_SN_mSO_SQ_bEUlT_E_NS1_11comp_targetILNS1_3genE10ELNS1_11target_archE1200ELNS1_3gpuE4ELNS1_3repE0EEENS1_30default_config_static_selectorELNS0_4arch9wavefront6targetE0EEEvT1_ ; -- Begin function _ZN7rocprim17ROCPRIM_400000_NS6detail17trampoline_kernelINS0_14default_configENS1_25transform_config_selectorItLb0EEEZNS1_14transform_implILb0ES3_S5_NS0_18transform_iteratorINS0_17counting_iteratorImlEEZNS1_24adjacent_difference_implIS3_Lb1ELb0EPtN6thrust23THRUST_200600_302600_NS16discard_iteratorINSD_11use_defaultEEENSD_5minusItEEEE10hipError_tPvRmT2_T3_mT4_P12ihipStream_tbEUlmE_tEESB_NS0_8identityIvEEEESJ_SM_SN_mSO_SQ_bEUlT_E_NS1_11comp_targetILNS1_3genE10ELNS1_11target_archE1200ELNS1_3gpuE4ELNS1_3repE0EEENS1_30default_config_static_selectorELNS0_4arch9wavefront6targetE0EEEvT1_
	.globl	_ZN7rocprim17ROCPRIM_400000_NS6detail17trampoline_kernelINS0_14default_configENS1_25transform_config_selectorItLb0EEEZNS1_14transform_implILb0ES3_S5_NS0_18transform_iteratorINS0_17counting_iteratorImlEEZNS1_24adjacent_difference_implIS3_Lb1ELb0EPtN6thrust23THRUST_200600_302600_NS16discard_iteratorINSD_11use_defaultEEENSD_5minusItEEEE10hipError_tPvRmT2_T3_mT4_P12ihipStream_tbEUlmE_tEESB_NS0_8identityIvEEEESJ_SM_SN_mSO_SQ_bEUlT_E_NS1_11comp_targetILNS1_3genE10ELNS1_11target_archE1200ELNS1_3gpuE4ELNS1_3repE0EEENS1_30default_config_static_selectorELNS0_4arch9wavefront6targetE0EEEvT1_
	.p2align	8
	.type	_ZN7rocprim17ROCPRIM_400000_NS6detail17trampoline_kernelINS0_14default_configENS1_25transform_config_selectorItLb0EEEZNS1_14transform_implILb0ES3_S5_NS0_18transform_iteratorINS0_17counting_iteratorImlEEZNS1_24adjacent_difference_implIS3_Lb1ELb0EPtN6thrust23THRUST_200600_302600_NS16discard_iteratorINSD_11use_defaultEEENSD_5minusItEEEE10hipError_tPvRmT2_T3_mT4_P12ihipStream_tbEUlmE_tEESB_NS0_8identityIvEEEESJ_SM_SN_mSO_SQ_bEUlT_E_NS1_11comp_targetILNS1_3genE10ELNS1_11target_archE1200ELNS1_3gpuE4ELNS1_3repE0EEENS1_30default_config_static_selectorELNS0_4arch9wavefront6targetE0EEEvT1_,@function
_ZN7rocprim17ROCPRIM_400000_NS6detail17trampoline_kernelINS0_14default_configENS1_25transform_config_selectorItLb0EEEZNS1_14transform_implILb0ES3_S5_NS0_18transform_iteratorINS0_17counting_iteratorImlEEZNS1_24adjacent_difference_implIS3_Lb1ELb0EPtN6thrust23THRUST_200600_302600_NS16discard_iteratorINSD_11use_defaultEEENSD_5minusItEEEE10hipError_tPvRmT2_T3_mT4_P12ihipStream_tbEUlmE_tEESB_NS0_8identityIvEEEESJ_SM_SN_mSO_SQ_bEUlT_E_NS1_11comp_targetILNS1_3genE10ELNS1_11target_archE1200ELNS1_3gpuE4ELNS1_3repE0EEENS1_30default_config_static_selectorELNS0_4arch9wavefront6targetE0EEEvT1_: ; @_ZN7rocprim17ROCPRIM_400000_NS6detail17trampoline_kernelINS0_14default_configENS1_25transform_config_selectorItLb0EEEZNS1_14transform_implILb0ES3_S5_NS0_18transform_iteratorINS0_17counting_iteratorImlEEZNS1_24adjacent_difference_implIS3_Lb1ELb0EPtN6thrust23THRUST_200600_302600_NS16discard_iteratorINSD_11use_defaultEEENSD_5minusItEEEE10hipError_tPvRmT2_T3_mT4_P12ihipStream_tbEUlmE_tEESB_NS0_8identityIvEEEESJ_SM_SN_mSO_SQ_bEUlT_E_NS1_11comp_targetILNS1_3genE10ELNS1_11target_archE1200ELNS1_3gpuE4ELNS1_3repE0EEENS1_30default_config_static_selectorELNS0_4arch9wavefront6targetE0EEEvT1_
; %bb.0:
	.section	.rodata,"a",@progbits
	.p2align	6, 0x0
	.amdhsa_kernel _ZN7rocprim17ROCPRIM_400000_NS6detail17trampoline_kernelINS0_14default_configENS1_25transform_config_selectorItLb0EEEZNS1_14transform_implILb0ES3_S5_NS0_18transform_iteratorINS0_17counting_iteratorImlEEZNS1_24adjacent_difference_implIS3_Lb1ELb0EPtN6thrust23THRUST_200600_302600_NS16discard_iteratorINSD_11use_defaultEEENSD_5minusItEEEE10hipError_tPvRmT2_T3_mT4_P12ihipStream_tbEUlmE_tEESB_NS0_8identityIvEEEESJ_SM_SN_mSO_SQ_bEUlT_E_NS1_11comp_targetILNS1_3genE10ELNS1_11target_archE1200ELNS1_3gpuE4ELNS1_3repE0EEENS1_30default_config_static_selectorELNS0_4arch9wavefront6targetE0EEEvT1_
		.amdhsa_group_segment_fixed_size 0
		.amdhsa_private_segment_fixed_size 0
		.amdhsa_kernarg_size 56
		.amdhsa_user_sgpr_count 15
		.amdhsa_user_sgpr_dispatch_ptr 0
		.amdhsa_user_sgpr_queue_ptr 0
		.amdhsa_user_sgpr_kernarg_segment_ptr 1
		.amdhsa_user_sgpr_dispatch_id 0
		.amdhsa_user_sgpr_private_segment_size 0
		.amdhsa_wavefront_size32 1
		.amdhsa_uses_dynamic_stack 0
		.amdhsa_enable_private_segment 0
		.amdhsa_system_sgpr_workgroup_id_x 1
		.amdhsa_system_sgpr_workgroup_id_y 0
		.amdhsa_system_sgpr_workgroup_id_z 0
		.amdhsa_system_sgpr_workgroup_info 0
		.amdhsa_system_vgpr_workitem_id 0
		.amdhsa_next_free_vgpr 1
		.amdhsa_next_free_sgpr 1
		.amdhsa_reserve_vcc 0
		.amdhsa_float_round_mode_32 0
		.amdhsa_float_round_mode_16_64 0
		.amdhsa_float_denorm_mode_32 3
		.amdhsa_float_denorm_mode_16_64 3
		.amdhsa_dx10_clamp 1
		.amdhsa_ieee_mode 1
		.amdhsa_fp16_overflow 0
		.amdhsa_workgroup_processor_mode 1
		.amdhsa_memory_ordered 1
		.amdhsa_forward_progress 0
		.amdhsa_shared_vgpr_count 0
		.amdhsa_exception_fp_ieee_invalid_op 0
		.amdhsa_exception_fp_denorm_src 0
		.amdhsa_exception_fp_ieee_div_zero 0
		.amdhsa_exception_fp_ieee_overflow 0
		.amdhsa_exception_fp_ieee_underflow 0
		.amdhsa_exception_fp_ieee_inexact 0
		.amdhsa_exception_int_div_zero 0
	.end_amdhsa_kernel
	.section	.text._ZN7rocprim17ROCPRIM_400000_NS6detail17trampoline_kernelINS0_14default_configENS1_25transform_config_selectorItLb0EEEZNS1_14transform_implILb0ES3_S5_NS0_18transform_iteratorINS0_17counting_iteratorImlEEZNS1_24adjacent_difference_implIS3_Lb1ELb0EPtN6thrust23THRUST_200600_302600_NS16discard_iteratorINSD_11use_defaultEEENSD_5minusItEEEE10hipError_tPvRmT2_T3_mT4_P12ihipStream_tbEUlmE_tEESB_NS0_8identityIvEEEESJ_SM_SN_mSO_SQ_bEUlT_E_NS1_11comp_targetILNS1_3genE10ELNS1_11target_archE1200ELNS1_3gpuE4ELNS1_3repE0EEENS1_30default_config_static_selectorELNS0_4arch9wavefront6targetE0EEEvT1_,"axG",@progbits,_ZN7rocprim17ROCPRIM_400000_NS6detail17trampoline_kernelINS0_14default_configENS1_25transform_config_selectorItLb0EEEZNS1_14transform_implILb0ES3_S5_NS0_18transform_iteratorINS0_17counting_iteratorImlEEZNS1_24adjacent_difference_implIS3_Lb1ELb0EPtN6thrust23THRUST_200600_302600_NS16discard_iteratorINSD_11use_defaultEEENSD_5minusItEEEE10hipError_tPvRmT2_T3_mT4_P12ihipStream_tbEUlmE_tEESB_NS0_8identityIvEEEESJ_SM_SN_mSO_SQ_bEUlT_E_NS1_11comp_targetILNS1_3genE10ELNS1_11target_archE1200ELNS1_3gpuE4ELNS1_3repE0EEENS1_30default_config_static_selectorELNS0_4arch9wavefront6targetE0EEEvT1_,comdat
.Lfunc_end847:
	.size	_ZN7rocprim17ROCPRIM_400000_NS6detail17trampoline_kernelINS0_14default_configENS1_25transform_config_selectorItLb0EEEZNS1_14transform_implILb0ES3_S5_NS0_18transform_iteratorINS0_17counting_iteratorImlEEZNS1_24adjacent_difference_implIS3_Lb1ELb0EPtN6thrust23THRUST_200600_302600_NS16discard_iteratorINSD_11use_defaultEEENSD_5minusItEEEE10hipError_tPvRmT2_T3_mT4_P12ihipStream_tbEUlmE_tEESB_NS0_8identityIvEEEESJ_SM_SN_mSO_SQ_bEUlT_E_NS1_11comp_targetILNS1_3genE10ELNS1_11target_archE1200ELNS1_3gpuE4ELNS1_3repE0EEENS1_30default_config_static_selectorELNS0_4arch9wavefront6targetE0EEEvT1_, .Lfunc_end847-_ZN7rocprim17ROCPRIM_400000_NS6detail17trampoline_kernelINS0_14default_configENS1_25transform_config_selectorItLb0EEEZNS1_14transform_implILb0ES3_S5_NS0_18transform_iteratorINS0_17counting_iteratorImlEEZNS1_24adjacent_difference_implIS3_Lb1ELb0EPtN6thrust23THRUST_200600_302600_NS16discard_iteratorINSD_11use_defaultEEENSD_5minusItEEEE10hipError_tPvRmT2_T3_mT4_P12ihipStream_tbEUlmE_tEESB_NS0_8identityIvEEEESJ_SM_SN_mSO_SQ_bEUlT_E_NS1_11comp_targetILNS1_3genE10ELNS1_11target_archE1200ELNS1_3gpuE4ELNS1_3repE0EEENS1_30default_config_static_selectorELNS0_4arch9wavefront6targetE0EEEvT1_
                                        ; -- End function
	.section	.AMDGPU.csdata,"",@progbits
; Kernel info:
; codeLenInByte = 0
; NumSgprs: 0
; NumVgprs: 0
; ScratchSize: 0
; MemoryBound: 0
; FloatMode: 240
; IeeeMode: 1
; LDSByteSize: 0 bytes/workgroup (compile time only)
; SGPRBlocks: 0
; VGPRBlocks: 0
; NumSGPRsForWavesPerEU: 1
; NumVGPRsForWavesPerEU: 1
; Occupancy: 16
; WaveLimiterHint : 0
; COMPUTE_PGM_RSRC2:SCRATCH_EN: 0
; COMPUTE_PGM_RSRC2:USER_SGPR: 15
; COMPUTE_PGM_RSRC2:TRAP_HANDLER: 0
; COMPUTE_PGM_RSRC2:TGID_X_EN: 1
; COMPUTE_PGM_RSRC2:TGID_Y_EN: 0
; COMPUTE_PGM_RSRC2:TGID_Z_EN: 0
; COMPUTE_PGM_RSRC2:TIDIG_COMP_CNT: 0
	.section	.text._ZN7rocprim17ROCPRIM_400000_NS6detail17trampoline_kernelINS0_14default_configENS1_25transform_config_selectorItLb0EEEZNS1_14transform_implILb0ES3_S5_NS0_18transform_iteratorINS0_17counting_iteratorImlEEZNS1_24adjacent_difference_implIS3_Lb1ELb0EPtN6thrust23THRUST_200600_302600_NS16discard_iteratorINSD_11use_defaultEEENSD_5minusItEEEE10hipError_tPvRmT2_T3_mT4_P12ihipStream_tbEUlmE_tEESB_NS0_8identityIvEEEESJ_SM_SN_mSO_SQ_bEUlT_E_NS1_11comp_targetILNS1_3genE9ELNS1_11target_archE1100ELNS1_3gpuE3ELNS1_3repE0EEENS1_30default_config_static_selectorELNS0_4arch9wavefront6targetE0EEEvT1_,"axG",@progbits,_ZN7rocprim17ROCPRIM_400000_NS6detail17trampoline_kernelINS0_14default_configENS1_25transform_config_selectorItLb0EEEZNS1_14transform_implILb0ES3_S5_NS0_18transform_iteratorINS0_17counting_iteratorImlEEZNS1_24adjacent_difference_implIS3_Lb1ELb0EPtN6thrust23THRUST_200600_302600_NS16discard_iteratorINSD_11use_defaultEEENSD_5minusItEEEE10hipError_tPvRmT2_T3_mT4_P12ihipStream_tbEUlmE_tEESB_NS0_8identityIvEEEESJ_SM_SN_mSO_SQ_bEUlT_E_NS1_11comp_targetILNS1_3genE9ELNS1_11target_archE1100ELNS1_3gpuE3ELNS1_3repE0EEENS1_30default_config_static_selectorELNS0_4arch9wavefront6targetE0EEEvT1_,comdat
	.protected	_ZN7rocprim17ROCPRIM_400000_NS6detail17trampoline_kernelINS0_14default_configENS1_25transform_config_selectorItLb0EEEZNS1_14transform_implILb0ES3_S5_NS0_18transform_iteratorINS0_17counting_iteratorImlEEZNS1_24adjacent_difference_implIS3_Lb1ELb0EPtN6thrust23THRUST_200600_302600_NS16discard_iteratorINSD_11use_defaultEEENSD_5minusItEEEE10hipError_tPvRmT2_T3_mT4_P12ihipStream_tbEUlmE_tEESB_NS0_8identityIvEEEESJ_SM_SN_mSO_SQ_bEUlT_E_NS1_11comp_targetILNS1_3genE9ELNS1_11target_archE1100ELNS1_3gpuE3ELNS1_3repE0EEENS1_30default_config_static_selectorELNS0_4arch9wavefront6targetE0EEEvT1_ ; -- Begin function _ZN7rocprim17ROCPRIM_400000_NS6detail17trampoline_kernelINS0_14default_configENS1_25transform_config_selectorItLb0EEEZNS1_14transform_implILb0ES3_S5_NS0_18transform_iteratorINS0_17counting_iteratorImlEEZNS1_24adjacent_difference_implIS3_Lb1ELb0EPtN6thrust23THRUST_200600_302600_NS16discard_iteratorINSD_11use_defaultEEENSD_5minusItEEEE10hipError_tPvRmT2_T3_mT4_P12ihipStream_tbEUlmE_tEESB_NS0_8identityIvEEEESJ_SM_SN_mSO_SQ_bEUlT_E_NS1_11comp_targetILNS1_3genE9ELNS1_11target_archE1100ELNS1_3gpuE3ELNS1_3repE0EEENS1_30default_config_static_selectorELNS0_4arch9wavefront6targetE0EEEvT1_
	.globl	_ZN7rocprim17ROCPRIM_400000_NS6detail17trampoline_kernelINS0_14default_configENS1_25transform_config_selectorItLb0EEEZNS1_14transform_implILb0ES3_S5_NS0_18transform_iteratorINS0_17counting_iteratorImlEEZNS1_24adjacent_difference_implIS3_Lb1ELb0EPtN6thrust23THRUST_200600_302600_NS16discard_iteratorINSD_11use_defaultEEENSD_5minusItEEEE10hipError_tPvRmT2_T3_mT4_P12ihipStream_tbEUlmE_tEESB_NS0_8identityIvEEEESJ_SM_SN_mSO_SQ_bEUlT_E_NS1_11comp_targetILNS1_3genE9ELNS1_11target_archE1100ELNS1_3gpuE3ELNS1_3repE0EEENS1_30default_config_static_selectorELNS0_4arch9wavefront6targetE0EEEvT1_
	.p2align	8
	.type	_ZN7rocprim17ROCPRIM_400000_NS6detail17trampoline_kernelINS0_14default_configENS1_25transform_config_selectorItLb0EEEZNS1_14transform_implILb0ES3_S5_NS0_18transform_iteratorINS0_17counting_iteratorImlEEZNS1_24adjacent_difference_implIS3_Lb1ELb0EPtN6thrust23THRUST_200600_302600_NS16discard_iteratorINSD_11use_defaultEEENSD_5minusItEEEE10hipError_tPvRmT2_T3_mT4_P12ihipStream_tbEUlmE_tEESB_NS0_8identityIvEEEESJ_SM_SN_mSO_SQ_bEUlT_E_NS1_11comp_targetILNS1_3genE9ELNS1_11target_archE1100ELNS1_3gpuE3ELNS1_3repE0EEENS1_30default_config_static_selectorELNS0_4arch9wavefront6targetE0EEEvT1_,@function
_ZN7rocprim17ROCPRIM_400000_NS6detail17trampoline_kernelINS0_14default_configENS1_25transform_config_selectorItLb0EEEZNS1_14transform_implILb0ES3_S5_NS0_18transform_iteratorINS0_17counting_iteratorImlEEZNS1_24adjacent_difference_implIS3_Lb1ELb0EPtN6thrust23THRUST_200600_302600_NS16discard_iteratorINSD_11use_defaultEEENSD_5minusItEEEE10hipError_tPvRmT2_T3_mT4_P12ihipStream_tbEUlmE_tEESB_NS0_8identityIvEEEESJ_SM_SN_mSO_SQ_bEUlT_E_NS1_11comp_targetILNS1_3genE9ELNS1_11target_archE1100ELNS1_3gpuE3ELNS1_3repE0EEENS1_30default_config_static_selectorELNS0_4arch9wavefront6targetE0EEEvT1_: ; @_ZN7rocprim17ROCPRIM_400000_NS6detail17trampoline_kernelINS0_14default_configENS1_25transform_config_selectorItLb0EEEZNS1_14transform_implILb0ES3_S5_NS0_18transform_iteratorINS0_17counting_iteratorImlEEZNS1_24adjacent_difference_implIS3_Lb1ELb0EPtN6thrust23THRUST_200600_302600_NS16discard_iteratorINSD_11use_defaultEEENSD_5minusItEEEE10hipError_tPvRmT2_T3_mT4_P12ihipStream_tbEUlmE_tEESB_NS0_8identityIvEEEESJ_SM_SN_mSO_SQ_bEUlT_E_NS1_11comp_targetILNS1_3genE9ELNS1_11target_archE1100ELNS1_3gpuE3ELNS1_3repE0EEENS1_30default_config_static_selectorELNS0_4arch9wavefront6targetE0EEEvT1_
; %bb.0:
	s_clause 0x4
	s_load_b128 s[8:11], s[0:1], 0x18
	s_load_b64 s[16:17], s[0:1], 0x28
	s_load_b32 s13, s[0:1], 0x38
	s_load_b128 s[4:7], s[0:1], 0x0
	s_load_b32 s12, s[0:1], 0x10
	v_lshlrev_b32_e32 v3, 1, v0
	s_mov_b32 s3, 0
	s_waitcnt lgkmcnt(0)
	s_lshl_b64 s[0:1], s[8:9], 1
	s_delay_alu instid0(SALU_CYCLE_1)
	s_add_u32 s11, s16, s0
	s_addc_u32 s14, s17, s1
	s_lshl_b32 s2, s15, 11
	s_add_i32 s13, s13, -1
	s_add_u32 s0, s4, s2
	s_addc_u32 s4, s5, 0
	s_add_u32 s1, s0, s8
	s_addc_u32 s5, s4, s9
	s_cmp_lg_u32 s15, s13
	s_mov_b32 s13, -1
	s_cbranch_scc0 .LBB848_2
; %bb.1:
	v_add_co_u32 v4, s0, s1, v0
	s_delay_alu instid0(VALU_DEP_1) | instskip(SKIP_1) | instid1(VALU_DEP_2)
	v_add_co_ci_u32_e64 v6, null, s5, 0, s0
	s_mov_b32 s13, 0
	v_mad_u64_u32 v[1:2], null, v4, s12, 0
	s_lshl_b64 s[8:9], s[12:13], 11
	s_mov_b32 s4, -1
	s_delay_alu instid0(VALU_DEP_1) | instskip(NEXT) | instid1(VALU_DEP_1)
	v_mad_u64_u32 v[4:5], null, v6, s12, v[2:3]
	v_mov_b32_e32 v2, v4
	s_delay_alu instid0(VALU_DEP_1) | instskip(NEXT) | instid1(VALU_DEP_1)
	v_lshlrev_b64 v[1:2], 1, v[1:2]
	v_add_co_u32 v1, vcc_lo, s6, v1
	s_delay_alu instid0(VALU_DEP_2) | instskip(NEXT) | instid1(VALU_DEP_2)
	v_add_co_ci_u32_e32 v2, vcc_lo, s7, v2, vcc_lo
	v_add_co_u32 v4, vcc_lo, v1, s8
	s_delay_alu instid0(VALU_DEP_2)
	v_add_co_ci_u32_e32 v5, vcc_lo, s9, v2, vcc_lo
	s_lshl_b64 s[8:9], s[2:3], 1
	s_clause 0x1
	global_load_u16 v6, v[1:2], off
	global_load_u16 v4, v[4:5], off
	s_add_u32 s8, s11, s8
	s_addc_u32 s9, s14, s9
	v_add_co_u32 v1, s0, s8, v3
	s_delay_alu instid0(VALU_DEP_1)
	v_add_co_ci_u32_e64 v2, null, s9, 0, s0
	s_waitcnt vmcnt(1)
	global_store_b16 v3, v6, s[8:9]
	s_cbranch_execz .LBB848_3
	s_branch .LBB848_12
.LBB848_2:
	s_mov_b32 s4, s3
                                        ; implicit-def: $vgpr4
                                        ; implicit-def: $vgpr1_vgpr2
	s_and_not1_b32 vcc_lo, exec_lo, s13
	s_cbranch_vccnz .LBB848_12
.LBB848_3:
	s_sub_i32 s8, s10, s2
                                        ; implicit-def: $vgpr5
	s_delay_alu instid0(SALU_CYCLE_1)
	v_cmp_gt_u32_e32 vcc_lo, s8, v0
	s_and_saveexec_b32 s9, vcc_lo
	s_cbranch_execz .LBB848_5
; %bb.4:
	s_waitcnt vmcnt(0)
	v_add_co_u32 v4, s0, s1, v0
	s_delay_alu instid0(VALU_DEP_1) | instskip(NEXT) | instid1(VALU_DEP_2)
	v_add_co_ci_u32_e64 v6, null, s5, 0, s0
	v_mad_u64_u32 v[1:2], null, v4, s12, 0
	s_delay_alu instid0(VALU_DEP_1) | instskip(NEXT) | instid1(VALU_DEP_1)
	v_mad_u64_u32 v[4:5], null, v6, s12, v[2:3]
	v_mov_b32_e32 v2, v4
	s_delay_alu instid0(VALU_DEP_1) | instskip(NEXT) | instid1(VALU_DEP_1)
	v_lshlrev_b64 v[1:2], 1, v[1:2]
	v_add_co_u32 v1, s0, s6, v1
	s_delay_alu instid0(VALU_DEP_1)
	v_add_co_ci_u32_e64 v2, s0, s7, v2, s0
	global_load_d16_b16 v5, v[1:2], off
.LBB848_5:
	s_or_b32 exec_lo, exec_lo, s9
	v_or_b32_e32 v0, 0x400, v0
	s_delay_alu instid0(VALU_DEP_1) | instskip(NEXT) | instid1(VALU_DEP_1)
	v_cmp_gt_u32_e64 s0, s8, v0
	s_and_saveexec_b32 s8, s0
	s_cbranch_execz .LBB848_7
; %bb.6:
	v_add_co_u32 v2, s1, s1, v0
	s_waitcnt vmcnt(0)
	v_add_co_ci_u32_e64 v4, null, s5, 0, s1
	s_delay_alu instid0(VALU_DEP_2) | instskip(NEXT) | instid1(VALU_DEP_1)
	v_mad_u64_u32 v[0:1], null, v2, s12, 0
	v_mad_u64_u32 v[6:7], null, v4, s12, v[1:2]
	s_delay_alu instid0(VALU_DEP_1) | instskip(NEXT) | instid1(VALU_DEP_1)
	v_mov_b32_e32 v1, v6
	v_lshlrev_b64 v[0:1], 1, v[0:1]
	s_delay_alu instid0(VALU_DEP_1) | instskip(NEXT) | instid1(VALU_DEP_1)
	v_add_co_u32 v0, s1, s6, v0
	v_add_co_ci_u32_e64 v1, s1, s7, v1, s1
	global_load_d16_hi_b16 v5, v[0:1], off
.LBB848_7:
	s_or_b32 exec_lo, exec_lo, s8
	s_lshl_b64 s[2:3], s[2:3], 1
	s_delay_alu instid0(SALU_CYCLE_1) | instskip(SKIP_2) | instid1(VALU_DEP_1)
	s_add_u32 s1, s11, s2
	s_addc_u32 s2, s14, s3
	v_add_co_u32 v1, s1, s1, v3
	v_add_co_ci_u32_e64 v2, null, s2, 0, s1
	s_and_saveexec_b32 s1, vcc_lo
	s_cbranch_execz .LBB848_9
; %bb.8:
	s_waitcnt vmcnt(0)
	global_store_b16 v[1:2], v5, off
.LBB848_9:
	s_or_b32 exec_lo, exec_lo, s1
                                        ; implicit-def: $vgpr4
	s_and_saveexec_b32 s1, s0
	s_cbranch_execz .LBB848_11
; %bb.10:
	s_waitcnt vmcnt(0)
	v_lshrrev_b32_e32 v4, 16, v5
	s_or_b32 s4, s4, exec_lo
.LBB848_11:
	s_or_b32 exec_lo, exec_lo, s1
.LBB848_12:
	s_and_saveexec_b32 s0, s4
	s_cbranch_execnz .LBB848_14
; %bb.13:
	s_nop 0
	s_sendmsg sendmsg(MSG_DEALLOC_VGPRS)
	s_endpgm
.LBB848_14:
	s_waitcnt vmcnt(0)
	global_store_b16 v[1:2], v4, off offset:2048
	s_nop 0
	s_sendmsg sendmsg(MSG_DEALLOC_VGPRS)
	s_endpgm
	.section	.rodata,"a",@progbits
	.p2align	6, 0x0
	.amdhsa_kernel _ZN7rocprim17ROCPRIM_400000_NS6detail17trampoline_kernelINS0_14default_configENS1_25transform_config_selectorItLb0EEEZNS1_14transform_implILb0ES3_S5_NS0_18transform_iteratorINS0_17counting_iteratorImlEEZNS1_24adjacent_difference_implIS3_Lb1ELb0EPtN6thrust23THRUST_200600_302600_NS16discard_iteratorINSD_11use_defaultEEENSD_5minusItEEEE10hipError_tPvRmT2_T3_mT4_P12ihipStream_tbEUlmE_tEESB_NS0_8identityIvEEEESJ_SM_SN_mSO_SQ_bEUlT_E_NS1_11comp_targetILNS1_3genE9ELNS1_11target_archE1100ELNS1_3gpuE3ELNS1_3repE0EEENS1_30default_config_static_selectorELNS0_4arch9wavefront6targetE0EEEvT1_
		.amdhsa_group_segment_fixed_size 0
		.amdhsa_private_segment_fixed_size 0
		.amdhsa_kernarg_size 312
		.amdhsa_user_sgpr_count 15
		.amdhsa_user_sgpr_dispatch_ptr 0
		.amdhsa_user_sgpr_queue_ptr 0
		.amdhsa_user_sgpr_kernarg_segment_ptr 1
		.amdhsa_user_sgpr_dispatch_id 0
		.amdhsa_user_sgpr_private_segment_size 0
		.amdhsa_wavefront_size32 1
		.amdhsa_uses_dynamic_stack 0
		.amdhsa_enable_private_segment 0
		.amdhsa_system_sgpr_workgroup_id_x 1
		.amdhsa_system_sgpr_workgroup_id_y 0
		.amdhsa_system_sgpr_workgroup_id_z 0
		.amdhsa_system_sgpr_workgroup_info 0
		.amdhsa_system_vgpr_workitem_id 0
		.amdhsa_next_free_vgpr 8
		.amdhsa_next_free_sgpr 18
		.amdhsa_reserve_vcc 1
		.amdhsa_float_round_mode_32 0
		.amdhsa_float_round_mode_16_64 0
		.amdhsa_float_denorm_mode_32 3
		.amdhsa_float_denorm_mode_16_64 3
		.amdhsa_dx10_clamp 1
		.amdhsa_ieee_mode 1
		.amdhsa_fp16_overflow 0
		.amdhsa_workgroup_processor_mode 1
		.amdhsa_memory_ordered 1
		.amdhsa_forward_progress 0
		.amdhsa_shared_vgpr_count 0
		.amdhsa_exception_fp_ieee_invalid_op 0
		.amdhsa_exception_fp_denorm_src 0
		.amdhsa_exception_fp_ieee_div_zero 0
		.amdhsa_exception_fp_ieee_overflow 0
		.amdhsa_exception_fp_ieee_underflow 0
		.amdhsa_exception_fp_ieee_inexact 0
		.amdhsa_exception_int_div_zero 0
	.end_amdhsa_kernel
	.section	.text._ZN7rocprim17ROCPRIM_400000_NS6detail17trampoline_kernelINS0_14default_configENS1_25transform_config_selectorItLb0EEEZNS1_14transform_implILb0ES3_S5_NS0_18transform_iteratorINS0_17counting_iteratorImlEEZNS1_24adjacent_difference_implIS3_Lb1ELb0EPtN6thrust23THRUST_200600_302600_NS16discard_iteratorINSD_11use_defaultEEENSD_5minusItEEEE10hipError_tPvRmT2_T3_mT4_P12ihipStream_tbEUlmE_tEESB_NS0_8identityIvEEEESJ_SM_SN_mSO_SQ_bEUlT_E_NS1_11comp_targetILNS1_3genE9ELNS1_11target_archE1100ELNS1_3gpuE3ELNS1_3repE0EEENS1_30default_config_static_selectorELNS0_4arch9wavefront6targetE0EEEvT1_,"axG",@progbits,_ZN7rocprim17ROCPRIM_400000_NS6detail17trampoline_kernelINS0_14default_configENS1_25transform_config_selectorItLb0EEEZNS1_14transform_implILb0ES3_S5_NS0_18transform_iteratorINS0_17counting_iteratorImlEEZNS1_24adjacent_difference_implIS3_Lb1ELb0EPtN6thrust23THRUST_200600_302600_NS16discard_iteratorINSD_11use_defaultEEENSD_5minusItEEEE10hipError_tPvRmT2_T3_mT4_P12ihipStream_tbEUlmE_tEESB_NS0_8identityIvEEEESJ_SM_SN_mSO_SQ_bEUlT_E_NS1_11comp_targetILNS1_3genE9ELNS1_11target_archE1100ELNS1_3gpuE3ELNS1_3repE0EEENS1_30default_config_static_selectorELNS0_4arch9wavefront6targetE0EEEvT1_,comdat
.Lfunc_end848:
	.size	_ZN7rocprim17ROCPRIM_400000_NS6detail17trampoline_kernelINS0_14default_configENS1_25transform_config_selectorItLb0EEEZNS1_14transform_implILb0ES3_S5_NS0_18transform_iteratorINS0_17counting_iteratorImlEEZNS1_24adjacent_difference_implIS3_Lb1ELb0EPtN6thrust23THRUST_200600_302600_NS16discard_iteratorINSD_11use_defaultEEENSD_5minusItEEEE10hipError_tPvRmT2_T3_mT4_P12ihipStream_tbEUlmE_tEESB_NS0_8identityIvEEEESJ_SM_SN_mSO_SQ_bEUlT_E_NS1_11comp_targetILNS1_3genE9ELNS1_11target_archE1100ELNS1_3gpuE3ELNS1_3repE0EEENS1_30default_config_static_selectorELNS0_4arch9wavefront6targetE0EEEvT1_, .Lfunc_end848-_ZN7rocprim17ROCPRIM_400000_NS6detail17trampoline_kernelINS0_14default_configENS1_25transform_config_selectorItLb0EEEZNS1_14transform_implILb0ES3_S5_NS0_18transform_iteratorINS0_17counting_iteratorImlEEZNS1_24adjacent_difference_implIS3_Lb1ELb0EPtN6thrust23THRUST_200600_302600_NS16discard_iteratorINSD_11use_defaultEEENSD_5minusItEEEE10hipError_tPvRmT2_T3_mT4_P12ihipStream_tbEUlmE_tEESB_NS0_8identityIvEEEESJ_SM_SN_mSO_SQ_bEUlT_E_NS1_11comp_targetILNS1_3genE9ELNS1_11target_archE1100ELNS1_3gpuE3ELNS1_3repE0EEENS1_30default_config_static_selectorELNS0_4arch9wavefront6targetE0EEEvT1_
                                        ; -- End function
	.section	.AMDGPU.csdata,"",@progbits
; Kernel info:
; codeLenInByte = 644
; NumSgprs: 20
; NumVgprs: 8
; ScratchSize: 0
; MemoryBound: 0
; FloatMode: 240
; IeeeMode: 1
; LDSByteSize: 0 bytes/workgroup (compile time only)
; SGPRBlocks: 2
; VGPRBlocks: 0
; NumSGPRsForWavesPerEU: 20
; NumVGPRsForWavesPerEU: 8
; Occupancy: 16
; WaveLimiterHint : 0
; COMPUTE_PGM_RSRC2:SCRATCH_EN: 0
; COMPUTE_PGM_RSRC2:USER_SGPR: 15
; COMPUTE_PGM_RSRC2:TRAP_HANDLER: 0
; COMPUTE_PGM_RSRC2:TGID_X_EN: 1
; COMPUTE_PGM_RSRC2:TGID_Y_EN: 0
; COMPUTE_PGM_RSRC2:TGID_Z_EN: 0
; COMPUTE_PGM_RSRC2:TIDIG_COMP_CNT: 0
	.section	.text._ZN7rocprim17ROCPRIM_400000_NS6detail17trampoline_kernelINS0_14default_configENS1_25transform_config_selectorItLb0EEEZNS1_14transform_implILb0ES3_S5_NS0_18transform_iteratorINS0_17counting_iteratorImlEEZNS1_24adjacent_difference_implIS3_Lb1ELb0EPtN6thrust23THRUST_200600_302600_NS16discard_iteratorINSD_11use_defaultEEENSD_5minusItEEEE10hipError_tPvRmT2_T3_mT4_P12ihipStream_tbEUlmE_tEESB_NS0_8identityIvEEEESJ_SM_SN_mSO_SQ_bEUlT_E_NS1_11comp_targetILNS1_3genE8ELNS1_11target_archE1030ELNS1_3gpuE2ELNS1_3repE0EEENS1_30default_config_static_selectorELNS0_4arch9wavefront6targetE0EEEvT1_,"axG",@progbits,_ZN7rocprim17ROCPRIM_400000_NS6detail17trampoline_kernelINS0_14default_configENS1_25transform_config_selectorItLb0EEEZNS1_14transform_implILb0ES3_S5_NS0_18transform_iteratorINS0_17counting_iteratorImlEEZNS1_24adjacent_difference_implIS3_Lb1ELb0EPtN6thrust23THRUST_200600_302600_NS16discard_iteratorINSD_11use_defaultEEENSD_5minusItEEEE10hipError_tPvRmT2_T3_mT4_P12ihipStream_tbEUlmE_tEESB_NS0_8identityIvEEEESJ_SM_SN_mSO_SQ_bEUlT_E_NS1_11comp_targetILNS1_3genE8ELNS1_11target_archE1030ELNS1_3gpuE2ELNS1_3repE0EEENS1_30default_config_static_selectorELNS0_4arch9wavefront6targetE0EEEvT1_,comdat
	.protected	_ZN7rocprim17ROCPRIM_400000_NS6detail17trampoline_kernelINS0_14default_configENS1_25transform_config_selectorItLb0EEEZNS1_14transform_implILb0ES3_S5_NS0_18transform_iteratorINS0_17counting_iteratorImlEEZNS1_24adjacent_difference_implIS3_Lb1ELb0EPtN6thrust23THRUST_200600_302600_NS16discard_iteratorINSD_11use_defaultEEENSD_5minusItEEEE10hipError_tPvRmT2_T3_mT4_P12ihipStream_tbEUlmE_tEESB_NS0_8identityIvEEEESJ_SM_SN_mSO_SQ_bEUlT_E_NS1_11comp_targetILNS1_3genE8ELNS1_11target_archE1030ELNS1_3gpuE2ELNS1_3repE0EEENS1_30default_config_static_selectorELNS0_4arch9wavefront6targetE0EEEvT1_ ; -- Begin function _ZN7rocprim17ROCPRIM_400000_NS6detail17trampoline_kernelINS0_14default_configENS1_25transform_config_selectorItLb0EEEZNS1_14transform_implILb0ES3_S5_NS0_18transform_iteratorINS0_17counting_iteratorImlEEZNS1_24adjacent_difference_implIS3_Lb1ELb0EPtN6thrust23THRUST_200600_302600_NS16discard_iteratorINSD_11use_defaultEEENSD_5minusItEEEE10hipError_tPvRmT2_T3_mT4_P12ihipStream_tbEUlmE_tEESB_NS0_8identityIvEEEESJ_SM_SN_mSO_SQ_bEUlT_E_NS1_11comp_targetILNS1_3genE8ELNS1_11target_archE1030ELNS1_3gpuE2ELNS1_3repE0EEENS1_30default_config_static_selectorELNS0_4arch9wavefront6targetE0EEEvT1_
	.globl	_ZN7rocprim17ROCPRIM_400000_NS6detail17trampoline_kernelINS0_14default_configENS1_25transform_config_selectorItLb0EEEZNS1_14transform_implILb0ES3_S5_NS0_18transform_iteratorINS0_17counting_iteratorImlEEZNS1_24adjacent_difference_implIS3_Lb1ELb0EPtN6thrust23THRUST_200600_302600_NS16discard_iteratorINSD_11use_defaultEEENSD_5minusItEEEE10hipError_tPvRmT2_T3_mT4_P12ihipStream_tbEUlmE_tEESB_NS0_8identityIvEEEESJ_SM_SN_mSO_SQ_bEUlT_E_NS1_11comp_targetILNS1_3genE8ELNS1_11target_archE1030ELNS1_3gpuE2ELNS1_3repE0EEENS1_30default_config_static_selectorELNS0_4arch9wavefront6targetE0EEEvT1_
	.p2align	8
	.type	_ZN7rocprim17ROCPRIM_400000_NS6detail17trampoline_kernelINS0_14default_configENS1_25transform_config_selectorItLb0EEEZNS1_14transform_implILb0ES3_S5_NS0_18transform_iteratorINS0_17counting_iteratorImlEEZNS1_24adjacent_difference_implIS3_Lb1ELb0EPtN6thrust23THRUST_200600_302600_NS16discard_iteratorINSD_11use_defaultEEENSD_5minusItEEEE10hipError_tPvRmT2_T3_mT4_P12ihipStream_tbEUlmE_tEESB_NS0_8identityIvEEEESJ_SM_SN_mSO_SQ_bEUlT_E_NS1_11comp_targetILNS1_3genE8ELNS1_11target_archE1030ELNS1_3gpuE2ELNS1_3repE0EEENS1_30default_config_static_selectorELNS0_4arch9wavefront6targetE0EEEvT1_,@function
_ZN7rocprim17ROCPRIM_400000_NS6detail17trampoline_kernelINS0_14default_configENS1_25transform_config_selectorItLb0EEEZNS1_14transform_implILb0ES3_S5_NS0_18transform_iteratorINS0_17counting_iteratorImlEEZNS1_24adjacent_difference_implIS3_Lb1ELb0EPtN6thrust23THRUST_200600_302600_NS16discard_iteratorINSD_11use_defaultEEENSD_5minusItEEEE10hipError_tPvRmT2_T3_mT4_P12ihipStream_tbEUlmE_tEESB_NS0_8identityIvEEEESJ_SM_SN_mSO_SQ_bEUlT_E_NS1_11comp_targetILNS1_3genE8ELNS1_11target_archE1030ELNS1_3gpuE2ELNS1_3repE0EEENS1_30default_config_static_selectorELNS0_4arch9wavefront6targetE0EEEvT1_: ; @_ZN7rocprim17ROCPRIM_400000_NS6detail17trampoline_kernelINS0_14default_configENS1_25transform_config_selectorItLb0EEEZNS1_14transform_implILb0ES3_S5_NS0_18transform_iteratorINS0_17counting_iteratorImlEEZNS1_24adjacent_difference_implIS3_Lb1ELb0EPtN6thrust23THRUST_200600_302600_NS16discard_iteratorINSD_11use_defaultEEENSD_5minusItEEEE10hipError_tPvRmT2_T3_mT4_P12ihipStream_tbEUlmE_tEESB_NS0_8identityIvEEEESJ_SM_SN_mSO_SQ_bEUlT_E_NS1_11comp_targetILNS1_3genE8ELNS1_11target_archE1030ELNS1_3gpuE2ELNS1_3repE0EEENS1_30default_config_static_selectorELNS0_4arch9wavefront6targetE0EEEvT1_
; %bb.0:
	.section	.rodata,"a",@progbits
	.p2align	6, 0x0
	.amdhsa_kernel _ZN7rocprim17ROCPRIM_400000_NS6detail17trampoline_kernelINS0_14default_configENS1_25transform_config_selectorItLb0EEEZNS1_14transform_implILb0ES3_S5_NS0_18transform_iteratorINS0_17counting_iteratorImlEEZNS1_24adjacent_difference_implIS3_Lb1ELb0EPtN6thrust23THRUST_200600_302600_NS16discard_iteratorINSD_11use_defaultEEENSD_5minusItEEEE10hipError_tPvRmT2_T3_mT4_P12ihipStream_tbEUlmE_tEESB_NS0_8identityIvEEEESJ_SM_SN_mSO_SQ_bEUlT_E_NS1_11comp_targetILNS1_3genE8ELNS1_11target_archE1030ELNS1_3gpuE2ELNS1_3repE0EEENS1_30default_config_static_selectorELNS0_4arch9wavefront6targetE0EEEvT1_
		.amdhsa_group_segment_fixed_size 0
		.amdhsa_private_segment_fixed_size 0
		.amdhsa_kernarg_size 56
		.amdhsa_user_sgpr_count 15
		.amdhsa_user_sgpr_dispatch_ptr 0
		.amdhsa_user_sgpr_queue_ptr 0
		.amdhsa_user_sgpr_kernarg_segment_ptr 1
		.amdhsa_user_sgpr_dispatch_id 0
		.amdhsa_user_sgpr_private_segment_size 0
		.amdhsa_wavefront_size32 1
		.amdhsa_uses_dynamic_stack 0
		.amdhsa_enable_private_segment 0
		.amdhsa_system_sgpr_workgroup_id_x 1
		.amdhsa_system_sgpr_workgroup_id_y 0
		.amdhsa_system_sgpr_workgroup_id_z 0
		.amdhsa_system_sgpr_workgroup_info 0
		.amdhsa_system_vgpr_workitem_id 0
		.amdhsa_next_free_vgpr 1
		.amdhsa_next_free_sgpr 1
		.amdhsa_reserve_vcc 0
		.amdhsa_float_round_mode_32 0
		.amdhsa_float_round_mode_16_64 0
		.amdhsa_float_denorm_mode_32 3
		.amdhsa_float_denorm_mode_16_64 3
		.amdhsa_dx10_clamp 1
		.amdhsa_ieee_mode 1
		.amdhsa_fp16_overflow 0
		.amdhsa_workgroup_processor_mode 1
		.amdhsa_memory_ordered 1
		.amdhsa_forward_progress 0
		.amdhsa_shared_vgpr_count 0
		.amdhsa_exception_fp_ieee_invalid_op 0
		.amdhsa_exception_fp_denorm_src 0
		.amdhsa_exception_fp_ieee_div_zero 0
		.amdhsa_exception_fp_ieee_overflow 0
		.amdhsa_exception_fp_ieee_underflow 0
		.amdhsa_exception_fp_ieee_inexact 0
		.amdhsa_exception_int_div_zero 0
	.end_amdhsa_kernel
	.section	.text._ZN7rocprim17ROCPRIM_400000_NS6detail17trampoline_kernelINS0_14default_configENS1_25transform_config_selectorItLb0EEEZNS1_14transform_implILb0ES3_S5_NS0_18transform_iteratorINS0_17counting_iteratorImlEEZNS1_24adjacent_difference_implIS3_Lb1ELb0EPtN6thrust23THRUST_200600_302600_NS16discard_iteratorINSD_11use_defaultEEENSD_5minusItEEEE10hipError_tPvRmT2_T3_mT4_P12ihipStream_tbEUlmE_tEESB_NS0_8identityIvEEEESJ_SM_SN_mSO_SQ_bEUlT_E_NS1_11comp_targetILNS1_3genE8ELNS1_11target_archE1030ELNS1_3gpuE2ELNS1_3repE0EEENS1_30default_config_static_selectorELNS0_4arch9wavefront6targetE0EEEvT1_,"axG",@progbits,_ZN7rocprim17ROCPRIM_400000_NS6detail17trampoline_kernelINS0_14default_configENS1_25transform_config_selectorItLb0EEEZNS1_14transform_implILb0ES3_S5_NS0_18transform_iteratorINS0_17counting_iteratorImlEEZNS1_24adjacent_difference_implIS3_Lb1ELb0EPtN6thrust23THRUST_200600_302600_NS16discard_iteratorINSD_11use_defaultEEENSD_5minusItEEEE10hipError_tPvRmT2_T3_mT4_P12ihipStream_tbEUlmE_tEESB_NS0_8identityIvEEEESJ_SM_SN_mSO_SQ_bEUlT_E_NS1_11comp_targetILNS1_3genE8ELNS1_11target_archE1030ELNS1_3gpuE2ELNS1_3repE0EEENS1_30default_config_static_selectorELNS0_4arch9wavefront6targetE0EEEvT1_,comdat
.Lfunc_end849:
	.size	_ZN7rocprim17ROCPRIM_400000_NS6detail17trampoline_kernelINS0_14default_configENS1_25transform_config_selectorItLb0EEEZNS1_14transform_implILb0ES3_S5_NS0_18transform_iteratorINS0_17counting_iteratorImlEEZNS1_24adjacent_difference_implIS3_Lb1ELb0EPtN6thrust23THRUST_200600_302600_NS16discard_iteratorINSD_11use_defaultEEENSD_5minusItEEEE10hipError_tPvRmT2_T3_mT4_P12ihipStream_tbEUlmE_tEESB_NS0_8identityIvEEEESJ_SM_SN_mSO_SQ_bEUlT_E_NS1_11comp_targetILNS1_3genE8ELNS1_11target_archE1030ELNS1_3gpuE2ELNS1_3repE0EEENS1_30default_config_static_selectorELNS0_4arch9wavefront6targetE0EEEvT1_, .Lfunc_end849-_ZN7rocprim17ROCPRIM_400000_NS6detail17trampoline_kernelINS0_14default_configENS1_25transform_config_selectorItLb0EEEZNS1_14transform_implILb0ES3_S5_NS0_18transform_iteratorINS0_17counting_iteratorImlEEZNS1_24adjacent_difference_implIS3_Lb1ELb0EPtN6thrust23THRUST_200600_302600_NS16discard_iteratorINSD_11use_defaultEEENSD_5minusItEEEE10hipError_tPvRmT2_T3_mT4_P12ihipStream_tbEUlmE_tEESB_NS0_8identityIvEEEESJ_SM_SN_mSO_SQ_bEUlT_E_NS1_11comp_targetILNS1_3genE8ELNS1_11target_archE1030ELNS1_3gpuE2ELNS1_3repE0EEENS1_30default_config_static_selectorELNS0_4arch9wavefront6targetE0EEEvT1_
                                        ; -- End function
	.section	.AMDGPU.csdata,"",@progbits
; Kernel info:
; codeLenInByte = 0
; NumSgprs: 0
; NumVgprs: 0
; ScratchSize: 0
; MemoryBound: 0
; FloatMode: 240
; IeeeMode: 1
; LDSByteSize: 0 bytes/workgroup (compile time only)
; SGPRBlocks: 0
; VGPRBlocks: 0
; NumSGPRsForWavesPerEU: 1
; NumVGPRsForWavesPerEU: 1
; Occupancy: 16
; WaveLimiterHint : 0
; COMPUTE_PGM_RSRC2:SCRATCH_EN: 0
; COMPUTE_PGM_RSRC2:USER_SGPR: 15
; COMPUTE_PGM_RSRC2:TRAP_HANDLER: 0
; COMPUTE_PGM_RSRC2:TGID_X_EN: 1
; COMPUTE_PGM_RSRC2:TGID_Y_EN: 0
; COMPUTE_PGM_RSRC2:TGID_Z_EN: 0
; COMPUTE_PGM_RSRC2:TIDIG_COMP_CNT: 0
	.section	.text._ZN7rocprim17ROCPRIM_400000_NS6detail17trampoline_kernelINS0_14default_configENS1_35adjacent_difference_config_selectorILb1EtEEZNS1_24adjacent_difference_implIS3_Lb1ELb0EPtN6thrust23THRUST_200600_302600_NS16discard_iteratorINS9_11use_defaultEEENS9_5minusItEEEE10hipError_tPvRmT2_T3_mT4_P12ihipStream_tbEUlT_E_NS1_11comp_targetILNS1_3genE0ELNS1_11target_archE4294967295ELNS1_3gpuE0ELNS1_3repE0EEENS1_30default_config_static_selectorELNS0_4arch9wavefront6targetE0EEEvT1_,"axG",@progbits,_ZN7rocprim17ROCPRIM_400000_NS6detail17trampoline_kernelINS0_14default_configENS1_35adjacent_difference_config_selectorILb1EtEEZNS1_24adjacent_difference_implIS3_Lb1ELb0EPtN6thrust23THRUST_200600_302600_NS16discard_iteratorINS9_11use_defaultEEENS9_5minusItEEEE10hipError_tPvRmT2_T3_mT4_P12ihipStream_tbEUlT_E_NS1_11comp_targetILNS1_3genE0ELNS1_11target_archE4294967295ELNS1_3gpuE0ELNS1_3repE0EEENS1_30default_config_static_selectorELNS0_4arch9wavefront6targetE0EEEvT1_,comdat
	.protected	_ZN7rocprim17ROCPRIM_400000_NS6detail17trampoline_kernelINS0_14default_configENS1_35adjacent_difference_config_selectorILb1EtEEZNS1_24adjacent_difference_implIS3_Lb1ELb0EPtN6thrust23THRUST_200600_302600_NS16discard_iteratorINS9_11use_defaultEEENS9_5minusItEEEE10hipError_tPvRmT2_T3_mT4_P12ihipStream_tbEUlT_E_NS1_11comp_targetILNS1_3genE0ELNS1_11target_archE4294967295ELNS1_3gpuE0ELNS1_3repE0EEENS1_30default_config_static_selectorELNS0_4arch9wavefront6targetE0EEEvT1_ ; -- Begin function _ZN7rocprim17ROCPRIM_400000_NS6detail17trampoline_kernelINS0_14default_configENS1_35adjacent_difference_config_selectorILb1EtEEZNS1_24adjacent_difference_implIS3_Lb1ELb0EPtN6thrust23THRUST_200600_302600_NS16discard_iteratorINS9_11use_defaultEEENS9_5minusItEEEE10hipError_tPvRmT2_T3_mT4_P12ihipStream_tbEUlT_E_NS1_11comp_targetILNS1_3genE0ELNS1_11target_archE4294967295ELNS1_3gpuE0ELNS1_3repE0EEENS1_30default_config_static_selectorELNS0_4arch9wavefront6targetE0EEEvT1_
	.globl	_ZN7rocprim17ROCPRIM_400000_NS6detail17trampoline_kernelINS0_14default_configENS1_35adjacent_difference_config_selectorILb1EtEEZNS1_24adjacent_difference_implIS3_Lb1ELb0EPtN6thrust23THRUST_200600_302600_NS16discard_iteratorINS9_11use_defaultEEENS9_5minusItEEEE10hipError_tPvRmT2_T3_mT4_P12ihipStream_tbEUlT_E_NS1_11comp_targetILNS1_3genE0ELNS1_11target_archE4294967295ELNS1_3gpuE0ELNS1_3repE0EEENS1_30default_config_static_selectorELNS0_4arch9wavefront6targetE0EEEvT1_
	.p2align	8
	.type	_ZN7rocprim17ROCPRIM_400000_NS6detail17trampoline_kernelINS0_14default_configENS1_35adjacent_difference_config_selectorILb1EtEEZNS1_24adjacent_difference_implIS3_Lb1ELb0EPtN6thrust23THRUST_200600_302600_NS16discard_iteratorINS9_11use_defaultEEENS9_5minusItEEEE10hipError_tPvRmT2_T3_mT4_P12ihipStream_tbEUlT_E_NS1_11comp_targetILNS1_3genE0ELNS1_11target_archE4294967295ELNS1_3gpuE0ELNS1_3repE0EEENS1_30default_config_static_selectorELNS0_4arch9wavefront6targetE0EEEvT1_,@function
_ZN7rocprim17ROCPRIM_400000_NS6detail17trampoline_kernelINS0_14default_configENS1_35adjacent_difference_config_selectorILb1EtEEZNS1_24adjacent_difference_implIS3_Lb1ELb0EPtN6thrust23THRUST_200600_302600_NS16discard_iteratorINS9_11use_defaultEEENS9_5minusItEEEE10hipError_tPvRmT2_T3_mT4_P12ihipStream_tbEUlT_E_NS1_11comp_targetILNS1_3genE0ELNS1_11target_archE4294967295ELNS1_3gpuE0ELNS1_3repE0EEENS1_30default_config_static_selectorELNS0_4arch9wavefront6targetE0EEEvT1_: ; @_ZN7rocprim17ROCPRIM_400000_NS6detail17trampoline_kernelINS0_14default_configENS1_35adjacent_difference_config_selectorILb1EtEEZNS1_24adjacent_difference_implIS3_Lb1ELb0EPtN6thrust23THRUST_200600_302600_NS16discard_iteratorINS9_11use_defaultEEENS9_5minusItEEEE10hipError_tPvRmT2_T3_mT4_P12ihipStream_tbEUlT_E_NS1_11comp_targetILNS1_3genE0ELNS1_11target_archE4294967295ELNS1_3gpuE0ELNS1_3repE0EEENS1_30default_config_static_selectorELNS0_4arch9wavefront6targetE0EEEvT1_
; %bb.0:
	.section	.rodata,"a",@progbits
	.p2align	6, 0x0
	.amdhsa_kernel _ZN7rocprim17ROCPRIM_400000_NS6detail17trampoline_kernelINS0_14default_configENS1_35adjacent_difference_config_selectorILb1EtEEZNS1_24adjacent_difference_implIS3_Lb1ELb0EPtN6thrust23THRUST_200600_302600_NS16discard_iteratorINS9_11use_defaultEEENS9_5minusItEEEE10hipError_tPvRmT2_T3_mT4_P12ihipStream_tbEUlT_E_NS1_11comp_targetILNS1_3genE0ELNS1_11target_archE4294967295ELNS1_3gpuE0ELNS1_3repE0EEENS1_30default_config_static_selectorELNS0_4arch9wavefront6targetE0EEEvT1_
		.amdhsa_group_segment_fixed_size 0
		.amdhsa_private_segment_fixed_size 0
		.amdhsa_kernarg_size 64
		.amdhsa_user_sgpr_count 15
		.amdhsa_user_sgpr_dispatch_ptr 0
		.amdhsa_user_sgpr_queue_ptr 0
		.amdhsa_user_sgpr_kernarg_segment_ptr 1
		.amdhsa_user_sgpr_dispatch_id 0
		.amdhsa_user_sgpr_private_segment_size 0
		.amdhsa_wavefront_size32 1
		.amdhsa_uses_dynamic_stack 0
		.amdhsa_enable_private_segment 0
		.amdhsa_system_sgpr_workgroup_id_x 1
		.amdhsa_system_sgpr_workgroup_id_y 0
		.amdhsa_system_sgpr_workgroup_id_z 0
		.amdhsa_system_sgpr_workgroup_info 0
		.amdhsa_system_vgpr_workitem_id 0
		.amdhsa_next_free_vgpr 1
		.amdhsa_next_free_sgpr 1
		.amdhsa_reserve_vcc 0
		.amdhsa_float_round_mode_32 0
		.amdhsa_float_round_mode_16_64 0
		.amdhsa_float_denorm_mode_32 3
		.amdhsa_float_denorm_mode_16_64 3
		.amdhsa_dx10_clamp 1
		.amdhsa_ieee_mode 1
		.amdhsa_fp16_overflow 0
		.amdhsa_workgroup_processor_mode 1
		.amdhsa_memory_ordered 1
		.amdhsa_forward_progress 0
		.amdhsa_shared_vgpr_count 0
		.amdhsa_exception_fp_ieee_invalid_op 0
		.amdhsa_exception_fp_denorm_src 0
		.amdhsa_exception_fp_ieee_div_zero 0
		.amdhsa_exception_fp_ieee_overflow 0
		.amdhsa_exception_fp_ieee_underflow 0
		.amdhsa_exception_fp_ieee_inexact 0
		.amdhsa_exception_int_div_zero 0
	.end_amdhsa_kernel
	.section	.text._ZN7rocprim17ROCPRIM_400000_NS6detail17trampoline_kernelINS0_14default_configENS1_35adjacent_difference_config_selectorILb1EtEEZNS1_24adjacent_difference_implIS3_Lb1ELb0EPtN6thrust23THRUST_200600_302600_NS16discard_iteratorINS9_11use_defaultEEENS9_5minusItEEEE10hipError_tPvRmT2_T3_mT4_P12ihipStream_tbEUlT_E_NS1_11comp_targetILNS1_3genE0ELNS1_11target_archE4294967295ELNS1_3gpuE0ELNS1_3repE0EEENS1_30default_config_static_selectorELNS0_4arch9wavefront6targetE0EEEvT1_,"axG",@progbits,_ZN7rocprim17ROCPRIM_400000_NS6detail17trampoline_kernelINS0_14default_configENS1_35adjacent_difference_config_selectorILb1EtEEZNS1_24adjacent_difference_implIS3_Lb1ELb0EPtN6thrust23THRUST_200600_302600_NS16discard_iteratorINS9_11use_defaultEEENS9_5minusItEEEE10hipError_tPvRmT2_T3_mT4_P12ihipStream_tbEUlT_E_NS1_11comp_targetILNS1_3genE0ELNS1_11target_archE4294967295ELNS1_3gpuE0ELNS1_3repE0EEENS1_30default_config_static_selectorELNS0_4arch9wavefront6targetE0EEEvT1_,comdat
.Lfunc_end850:
	.size	_ZN7rocprim17ROCPRIM_400000_NS6detail17trampoline_kernelINS0_14default_configENS1_35adjacent_difference_config_selectorILb1EtEEZNS1_24adjacent_difference_implIS3_Lb1ELb0EPtN6thrust23THRUST_200600_302600_NS16discard_iteratorINS9_11use_defaultEEENS9_5minusItEEEE10hipError_tPvRmT2_T3_mT4_P12ihipStream_tbEUlT_E_NS1_11comp_targetILNS1_3genE0ELNS1_11target_archE4294967295ELNS1_3gpuE0ELNS1_3repE0EEENS1_30default_config_static_selectorELNS0_4arch9wavefront6targetE0EEEvT1_, .Lfunc_end850-_ZN7rocprim17ROCPRIM_400000_NS6detail17trampoline_kernelINS0_14default_configENS1_35adjacent_difference_config_selectorILb1EtEEZNS1_24adjacent_difference_implIS3_Lb1ELb0EPtN6thrust23THRUST_200600_302600_NS16discard_iteratorINS9_11use_defaultEEENS9_5minusItEEEE10hipError_tPvRmT2_T3_mT4_P12ihipStream_tbEUlT_E_NS1_11comp_targetILNS1_3genE0ELNS1_11target_archE4294967295ELNS1_3gpuE0ELNS1_3repE0EEENS1_30default_config_static_selectorELNS0_4arch9wavefront6targetE0EEEvT1_
                                        ; -- End function
	.section	.AMDGPU.csdata,"",@progbits
; Kernel info:
; codeLenInByte = 0
; NumSgprs: 0
; NumVgprs: 0
; ScratchSize: 0
; MemoryBound: 0
; FloatMode: 240
; IeeeMode: 1
; LDSByteSize: 0 bytes/workgroup (compile time only)
; SGPRBlocks: 0
; VGPRBlocks: 0
; NumSGPRsForWavesPerEU: 1
; NumVGPRsForWavesPerEU: 1
; Occupancy: 16
; WaveLimiterHint : 0
; COMPUTE_PGM_RSRC2:SCRATCH_EN: 0
; COMPUTE_PGM_RSRC2:USER_SGPR: 15
; COMPUTE_PGM_RSRC2:TRAP_HANDLER: 0
; COMPUTE_PGM_RSRC2:TGID_X_EN: 1
; COMPUTE_PGM_RSRC2:TGID_Y_EN: 0
; COMPUTE_PGM_RSRC2:TGID_Z_EN: 0
; COMPUTE_PGM_RSRC2:TIDIG_COMP_CNT: 0
	.section	.text._ZN7rocprim17ROCPRIM_400000_NS6detail17trampoline_kernelINS0_14default_configENS1_35adjacent_difference_config_selectorILb1EtEEZNS1_24adjacent_difference_implIS3_Lb1ELb0EPtN6thrust23THRUST_200600_302600_NS16discard_iteratorINS9_11use_defaultEEENS9_5minusItEEEE10hipError_tPvRmT2_T3_mT4_P12ihipStream_tbEUlT_E_NS1_11comp_targetILNS1_3genE10ELNS1_11target_archE1201ELNS1_3gpuE5ELNS1_3repE0EEENS1_30default_config_static_selectorELNS0_4arch9wavefront6targetE0EEEvT1_,"axG",@progbits,_ZN7rocprim17ROCPRIM_400000_NS6detail17trampoline_kernelINS0_14default_configENS1_35adjacent_difference_config_selectorILb1EtEEZNS1_24adjacent_difference_implIS3_Lb1ELb0EPtN6thrust23THRUST_200600_302600_NS16discard_iteratorINS9_11use_defaultEEENS9_5minusItEEEE10hipError_tPvRmT2_T3_mT4_P12ihipStream_tbEUlT_E_NS1_11comp_targetILNS1_3genE10ELNS1_11target_archE1201ELNS1_3gpuE5ELNS1_3repE0EEENS1_30default_config_static_selectorELNS0_4arch9wavefront6targetE0EEEvT1_,comdat
	.protected	_ZN7rocprim17ROCPRIM_400000_NS6detail17trampoline_kernelINS0_14default_configENS1_35adjacent_difference_config_selectorILb1EtEEZNS1_24adjacent_difference_implIS3_Lb1ELb0EPtN6thrust23THRUST_200600_302600_NS16discard_iteratorINS9_11use_defaultEEENS9_5minusItEEEE10hipError_tPvRmT2_T3_mT4_P12ihipStream_tbEUlT_E_NS1_11comp_targetILNS1_3genE10ELNS1_11target_archE1201ELNS1_3gpuE5ELNS1_3repE0EEENS1_30default_config_static_selectorELNS0_4arch9wavefront6targetE0EEEvT1_ ; -- Begin function _ZN7rocprim17ROCPRIM_400000_NS6detail17trampoline_kernelINS0_14default_configENS1_35adjacent_difference_config_selectorILb1EtEEZNS1_24adjacent_difference_implIS3_Lb1ELb0EPtN6thrust23THRUST_200600_302600_NS16discard_iteratorINS9_11use_defaultEEENS9_5minusItEEEE10hipError_tPvRmT2_T3_mT4_P12ihipStream_tbEUlT_E_NS1_11comp_targetILNS1_3genE10ELNS1_11target_archE1201ELNS1_3gpuE5ELNS1_3repE0EEENS1_30default_config_static_selectorELNS0_4arch9wavefront6targetE0EEEvT1_
	.globl	_ZN7rocprim17ROCPRIM_400000_NS6detail17trampoline_kernelINS0_14default_configENS1_35adjacent_difference_config_selectorILb1EtEEZNS1_24adjacent_difference_implIS3_Lb1ELb0EPtN6thrust23THRUST_200600_302600_NS16discard_iteratorINS9_11use_defaultEEENS9_5minusItEEEE10hipError_tPvRmT2_T3_mT4_P12ihipStream_tbEUlT_E_NS1_11comp_targetILNS1_3genE10ELNS1_11target_archE1201ELNS1_3gpuE5ELNS1_3repE0EEENS1_30default_config_static_selectorELNS0_4arch9wavefront6targetE0EEEvT1_
	.p2align	8
	.type	_ZN7rocprim17ROCPRIM_400000_NS6detail17trampoline_kernelINS0_14default_configENS1_35adjacent_difference_config_selectorILb1EtEEZNS1_24adjacent_difference_implIS3_Lb1ELb0EPtN6thrust23THRUST_200600_302600_NS16discard_iteratorINS9_11use_defaultEEENS9_5minusItEEEE10hipError_tPvRmT2_T3_mT4_P12ihipStream_tbEUlT_E_NS1_11comp_targetILNS1_3genE10ELNS1_11target_archE1201ELNS1_3gpuE5ELNS1_3repE0EEENS1_30default_config_static_selectorELNS0_4arch9wavefront6targetE0EEEvT1_,@function
_ZN7rocprim17ROCPRIM_400000_NS6detail17trampoline_kernelINS0_14default_configENS1_35adjacent_difference_config_selectorILb1EtEEZNS1_24adjacent_difference_implIS3_Lb1ELb0EPtN6thrust23THRUST_200600_302600_NS16discard_iteratorINS9_11use_defaultEEENS9_5minusItEEEE10hipError_tPvRmT2_T3_mT4_P12ihipStream_tbEUlT_E_NS1_11comp_targetILNS1_3genE10ELNS1_11target_archE1201ELNS1_3gpuE5ELNS1_3repE0EEENS1_30default_config_static_selectorELNS0_4arch9wavefront6targetE0EEEvT1_: ; @_ZN7rocprim17ROCPRIM_400000_NS6detail17trampoline_kernelINS0_14default_configENS1_35adjacent_difference_config_selectorILb1EtEEZNS1_24adjacent_difference_implIS3_Lb1ELb0EPtN6thrust23THRUST_200600_302600_NS16discard_iteratorINS9_11use_defaultEEENS9_5minusItEEEE10hipError_tPvRmT2_T3_mT4_P12ihipStream_tbEUlT_E_NS1_11comp_targetILNS1_3genE10ELNS1_11target_archE1201ELNS1_3gpuE5ELNS1_3repE0EEENS1_30default_config_static_selectorELNS0_4arch9wavefront6targetE0EEEvT1_
; %bb.0:
	.section	.rodata,"a",@progbits
	.p2align	6, 0x0
	.amdhsa_kernel _ZN7rocprim17ROCPRIM_400000_NS6detail17trampoline_kernelINS0_14default_configENS1_35adjacent_difference_config_selectorILb1EtEEZNS1_24adjacent_difference_implIS3_Lb1ELb0EPtN6thrust23THRUST_200600_302600_NS16discard_iteratorINS9_11use_defaultEEENS9_5minusItEEEE10hipError_tPvRmT2_T3_mT4_P12ihipStream_tbEUlT_E_NS1_11comp_targetILNS1_3genE10ELNS1_11target_archE1201ELNS1_3gpuE5ELNS1_3repE0EEENS1_30default_config_static_selectorELNS0_4arch9wavefront6targetE0EEEvT1_
		.amdhsa_group_segment_fixed_size 0
		.amdhsa_private_segment_fixed_size 0
		.amdhsa_kernarg_size 64
		.amdhsa_user_sgpr_count 15
		.amdhsa_user_sgpr_dispatch_ptr 0
		.amdhsa_user_sgpr_queue_ptr 0
		.amdhsa_user_sgpr_kernarg_segment_ptr 1
		.amdhsa_user_sgpr_dispatch_id 0
		.amdhsa_user_sgpr_private_segment_size 0
		.amdhsa_wavefront_size32 1
		.amdhsa_uses_dynamic_stack 0
		.amdhsa_enable_private_segment 0
		.amdhsa_system_sgpr_workgroup_id_x 1
		.amdhsa_system_sgpr_workgroup_id_y 0
		.amdhsa_system_sgpr_workgroup_id_z 0
		.amdhsa_system_sgpr_workgroup_info 0
		.amdhsa_system_vgpr_workitem_id 0
		.amdhsa_next_free_vgpr 1
		.amdhsa_next_free_sgpr 1
		.amdhsa_reserve_vcc 0
		.amdhsa_float_round_mode_32 0
		.amdhsa_float_round_mode_16_64 0
		.amdhsa_float_denorm_mode_32 3
		.amdhsa_float_denorm_mode_16_64 3
		.amdhsa_dx10_clamp 1
		.amdhsa_ieee_mode 1
		.amdhsa_fp16_overflow 0
		.amdhsa_workgroup_processor_mode 1
		.amdhsa_memory_ordered 1
		.amdhsa_forward_progress 0
		.amdhsa_shared_vgpr_count 0
		.amdhsa_exception_fp_ieee_invalid_op 0
		.amdhsa_exception_fp_denorm_src 0
		.amdhsa_exception_fp_ieee_div_zero 0
		.amdhsa_exception_fp_ieee_overflow 0
		.amdhsa_exception_fp_ieee_underflow 0
		.amdhsa_exception_fp_ieee_inexact 0
		.amdhsa_exception_int_div_zero 0
	.end_amdhsa_kernel
	.section	.text._ZN7rocprim17ROCPRIM_400000_NS6detail17trampoline_kernelINS0_14default_configENS1_35adjacent_difference_config_selectorILb1EtEEZNS1_24adjacent_difference_implIS3_Lb1ELb0EPtN6thrust23THRUST_200600_302600_NS16discard_iteratorINS9_11use_defaultEEENS9_5minusItEEEE10hipError_tPvRmT2_T3_mT4_P12ihipStream_tbEUlT_E_NS1_11comp_targetILNS1_3genE10ELNS1_11target_archE1201ELNS1_3gpuE5ELNS1_3repE0EEENS1_30default_config_static_selectorELNS0_4arch9wavefront6targetE0EEEvT1_,"axG",@progbits,_ZN7rocprim17ROCPRIM_400000_NS6detail17trampoline_kernelINS0_14default_configENS1_35adjacent_difference_config_selectorILb1EtEEZNS1_24adjacent_difference_implIS3_Lb1ELb0EPtN6thrust23THRUST_200600_302600_NS16discard_iteratorINS9_11use_defaultEEENS9_5minusItEEEE10hipError_tPvRmT2_T3_mT4_P12ihipStream_tbEUlT_E_NS1_11comp_targetILNS1_3genE10ELNS1_11target_archE1201ELNS1_3gpuE5ELNS1_3repE0EEENS1_30default_config_static_selectorELNS0_4arch9wavefront6targetE0EEEvT1_,comdat
.Lfunc_end851:
	.size	_ZN7rocprim17ROCPRIM_400000_NS6detail17trampoline_kernelINS0_14default_configENS1_35adjacent_difference_config_selectorILb1EtEEZNS1_24adjacent_difference_implIS3_Lb1ELb0EPtN6thrust23THRUST_200600_302600_NS16discard_iteratorINS9_11use_defaultEEENS9_5minusItEEEE10hipError_tPvRmT2_T3_mT4_P12ihipStream_tbEUlT_E_NS1_11comp_targetILNS1_3genE10ELNS1_11target_archE1201ELNS1_3gpuE5ELNS1_3repE0EEENS1_30default_config_static_selectorELNS0_4arch9wavefront6targetE0EEEvT1_, .Lfunc_end851-_ZN7rocprim17ROCPRIM_400000_NS6detail17trampoline_kernelINS0_14default_configENS1_35adjacent_difference_config_selectorILb1EtEEZNS1_24adjacent_difference_implIS3_Lb1ELb0EPtN6thrust23THRUST_200600_302600_NS16discard_iteratorINS9_11use_defaultEEENS9_5minusItEEEE10hipError_tPvRmT2_T3_mT4_P12ihipStream_tbEUlT_E_NS1_11comp_targetILNS1_3genE10ELNS1_11target_archE1201ELNS1_3gpuE5ELNS1_3repE0EEENS1_30default_config_static_selectorELNS0_4arch9wavefront6targetE0EEEvT1_
                                        ; -- End function
	.section	.AMDGPU.csdata,"",@progbits
; Kernel info:
; codeLenInByte = 0
; NumSgprs: 0
; NumVgprs: 0
; ScratchSize: 0
; MemoryBound: 0
; FloatMode: 240
; IeeeMode: 1
; LDSByteSize: 0 bytes/workgroup (compile time only)
; SGPRBlocks: 0
; VGPRBlocks: 0
; NumSGPRsForWavesPerEU: 1
; NumVGPRsForWavesPerEU: 1
; Occupancy: 16
; WaveLimiterHint : 0
; COMPUTE_PGM_RSRC2:SCRATCH_EN: 0
; COMPUTE_PGM_RSRC2:USER_SGPR: 15
; COMPUTE_PGM_RSRC2:TRAP_HANDLER: 0
; COMPUTE_PGM_RSRC2:TGID_X_EN: 1
; COMPUTE_PGM_RSRC2:TGID_Y_EN: 0
; COMPUTE_PGM_RSRC2:TGID_Z_EN: 0
; COMPUTE_PGM_RSRC2:TIDIG_COMP_CNT: 0
	.section	.text._ZN7rocprim17ROCPRIM_400000_NS6detail17trampoline_kernelINS0_14default_configENS1_35adjacent_difference_config_selectorILb1EtEEZNS1_24adjacent_difference_implIS3_Lb1ELb0EPtN6thrust23THRUST_200600_302600_NS16discard_iteratorINS9_11use_defaultEEENS9_5minusItEEEE10hipError_tPvRmT2_T3_mT4_P12ihipStream_tbEUlT_E_NS1_11comp_targetILNS1_3genE5ELNS1_11target_archE942ELNS1_3gpuE9ELNS1_3repE0EEENS1_30default_config_static_selectorELNS0_4arch9wavefront6targetE0EEEvT1_,"axG",@progbits,_ZN7rocprim17ROCPRIM_400000_NS6detail17trampoline_kernelINS0_14default_configENS1_35adjacent_difference_config_selectorILb1EtEEZNS1_24adjacent_difference_implIS3_Lb1ELb0EPtN6thrust23THRUST_200600_302600_NS16discard_iteratorINS9_11use_defaultEEENS9_5minusItEEEE10hipError_tPvRmT2_T3_mT4_P12ihipStream_tbEUlT_E_NS1_11comp_targetILNS1_3genE5ELNS1_11target_archE942ELNS1_3gpuE9ELNS1_3repE0EEENS1_30default_config_static_selectorELNS0_4arch9wavefront6targetE0EEEvT1_,comdat
	.protected	_ZN7rocprim17ROCPRIM_400000_NS6detail17trampoline_kernelINS0_14default_configENS1_35adjacent_difference_config_selectorILb1EtEEZNS1_24adjacent_difference_implIS3_Lb1ELb0EPtN6thrust23THRUST_200600_302600_NS16discard_iteratorINS9_11use_defaultEEENS9_5minusItEEEE10hipError_tPvRmT2_T3_mT4_P12ihipStream_tbEUlT_E_NS1_11comp_targetILNS1_3genE5ELNS1_11target_archE942ELNS1_3gpuE9ELNS1_3repE0EEENS1_30default_config_static_selectorELNS0_4arch9wavefront6targetE0EEEvT1_ ; -- Begin function _ZN7rocprim17ROCPRIM_400000_NS6detail17trampoline_kernelINS0_14default_configENS1_35adjacent_difference_config_selectorILb1EtEEZNS1_24adjacent_difference_implIS3_Lb1ELb0EPtN6thrust23THRUST_200600_302600_NS16discard_iteratorINS9_11use_defaultEEENS9_5minusItEEEE10hipError_tPvRmT2_T3_mT4_P12ihipStream_tbEUlT_E_NS1_11comp_targetILNS1_3genE5ELNS1_11target_archE942ELNS1_3gpuE9ELNS1_3repE0EEENS1_30default_config_static_selectorELNS0_4arch9wavefront6targetE0EEEvT1_
	.globl	_ZN7rocprim17ROCPRIM_400000_NS6detail17trampoline_kernelINS0_14default_configENS1_35adjacent_difference_config_selectorILb1EtEEZNS1_24adjacent_difference_implIS3_Lb1ELb0EPtN6thrust23THRUST_200600_302600_NS16discard_iteratorINS9_11use_defaultEEENS9_5minusItEEEE10hipError_tPvRmT2_T3_mT4_P12ihipStream_tbEUlT_E_NS1_11comp_targetILNS1_3genE5ELNS1_11target_archE942ELNS1_3gpuE9ELNS1_3repE0EEENS1_30default_config_static_selectorELNS0_4arch9wavefront6targetE0EEEvT1_
	.p2align	8
	.type	_ZN7rocprim17ROCPRIM_400000_NS6detail17trampoline_kernelINS0_14default_configENS1_35adjacent_difference_config_selectorILb1EtEEZNS1_24adjacent_difference_implIS3_Lb1ELb0EPtN6thrust23THRUST_200600_302600_NS16discard_iteratorINS9_11use_defaultEEENS9_5minusItEEEE10hipError_tPvRmT2_T3_mT4_P12ihipStream_tbEUlT_E_NS1_11comp_targetILNS1_3genE5ELNS1_11target_archE942ELNS1_3gpuE9ELNS1_3repE0EEENS1_30default_config_static_selectorELNS0_4arch9wavefront6targetE0EEEvT1_,@function
_ZN7rocprim17ROCPRIM_400000_NS6detail17trampoline_kernelINS0_14default_configENS1_35adjacent_difference_config_selectorILb1EtEEZNS1_24adjacent_difference_implIS3_Lb1ELb0EPtN6thrust23THRUST_200600_302600_NS16discard_iteratorINS9_11use_defaultEEENS9_5minusItEEEE10hipError_tPvRmT2_T3_mT4_P12ihipStream_tbEUlT_E_NS1_11comp_targetILNS1_3genE5ELNS1_11target_archE942ELNS1_3gpuE9ELNS1_3repE0EEENS1_30default_config_static_selectorELNS0_4arch9wavefront6targetE0EEEvT1_: ; @_ZN7rocprim17ROCPRIM_400000_NS6detail17trampoline_kernelINS0_14default_configENS1_35adjacent_difference_config_selectorILb1EtEEZNS1_24adjacent_difference_implIS3_Lb1ELb0EPtN6thrust23THRUST_200600_302600_NS16discard_iteratorINS9_11use_defaultEEENS9_5minusItEEEE10hipError_tPvRmT2_T3_mT4_P12ihipStream_tbEUlT_E_NS1_11comp_targetILNS1_3genE5ELNS1_11target_archE942ELNS1_3gpuE9ELNS1_3repE0EEENS1_30default_config_static_selectorELNS0_4arch9wavefront6targetE0EEEvT1_
; %bb.0:
	.section	.rodata,"a",@progbits
	.p2align	6, 0x0
	.amdhsa_kernel _ZN7rocprim17ROCPRIM_400000_NS6detail17trampoline_kernelINS0_14default_configENS1_35adjacent_difference_config_selectorILb1EtEEZNS1_24adjacent_difference_implIS3_Lb1ELb0EPtN6thrust23THRUST_200600_302600_NS16discard_iteratorINS9_11use_defaultEEENS9_5minusItEEEE10hipError_tPvRmT2_T3_mT4_P12ihipStream_tbEUlT_E_NS1_11comp_targetILNS1_3genE5ELNS1_11target_archE942ELNS1_3gpuE9ELNS1_3repE0EEENS1_30default_config_static_selectorELNS0_4arch9wavefront6targetE0EEEvT1_
		.amdhsa_group_segment_fixed_size 0
		.amdhsa_private_segment_fixed_size 0
		.amdhsa_kernarg_size 64
		.amdhsa_user_sgpr_count 15
		.amdhsa_user_sgpr_dispatch_ptr 0
		.amdhsa_user_sgpr_queue_ptr 0
		.amdhsa_user_sgpr_kernarg_segment_ptr 1
		.amdhsa_user_sgpr_dispatch_id 0
		.amdhsa_user_sgpr_private_segment_size 0
		.amdhsa_wavefront_size32 1
		.amdhsa_uses_dynamic_stack 0
		.amdhsa_enable_private_segment 0
		.amdhsa_system_sgpr_workgroup_id_x 1
		.amdhsa_system_sgpr_workgroup_id_y 0
		.amdhsa_system_sgpr_workgroup_id_z 0
		.amdhsa_system_sgpr_workgroup_info 0
		.amdhsa_system_vgpr_workitem_id 0
		.amdhsa_next_free_vgpr 1
		.amdhsa_next_free_sgpr 1
		.amdhsa_reserve_vcc 0
		.amdhsa_float_round_mode_32 0
		.amdhsa_float_round_mode_16_64 0
		.amdhsa_float_denorm_mode_32 3
		.amdhsa_float_denorm_mode_16_64 3
		.amdhsa_dx10_clamp 1
		.amdhsa_ieee_mode 1
		.amdhsa_fp16_overflow 0
		.amdhsa_workgroup_processor_mode 1
		.amdhsa_memory_ordered 1
		.amdhsa_forward_progress 0
		.amdhsa_shared_vgpr_count 0
		.amdhsa_exception_fp_ieee_invalid_op 0
		.amdhsa_exception_fp_denorm_src 0
		.amdhsa_exception_fp_ieee_div_zero 0
		.amdhsa_exception_fp_ieee_overflow 0
		.amdhsa_exception_fp_ieee_underflow 0
		.amdhsa_exception_fp_ieee_inexact 0
		.amdhsa_exception_int_div_zero 0
	.end_amdhsa_kernel
	.section	.text._ZN7rocprim17ROCPRIM_400000_NS6detail17trampoline_kernelINS0_14default_configENS1_35adjacent_difference_config_selectorILb1EtEEZNS1_24adjacent_difference_implIS3_Lb1ELb0EPtN6thrust23THRUST_200600_302600_NS16discard_iteratorINS9_11use_defaultEEENS9_5minusItEEEE10hipError_tPvRmT2_T3_mT4_P12ihipStream_tbEUlT_E_NS1_11comp_targetILNS1_3genE5ELNS1_11target_archE942ELNS1_3gpuE9ELNS1_3repE0EEENS1_30default_config_static_selectorELNS0_4arch9wavefront6targetE0EEEvT1_,"axG",@progbits,_ZN7rocprim17ROCPRIM_400000_NS6detail17trampoline_kernelINS0_14default_configENS1_35adjacent_difference_config_selectorILb1EtEEZNS1_24adjacent_difference_implIS3_Lb1ELb0EPtN6thrust23THRUST_200600_302600_NS16discard_iteratorINS9_11use_defaultEEENS9_5minusItEEEE10hipError_tPvRmT2_T3_mT4_P12ihipStream_tbEUlT_E_NS1_11comp_targetILNS1_3genE5ELNS1_11target_archE942ELNS1_3gpuE9ELNS1_3repE0EEENS1_30default_config_static_selectorELNS0_4arch9wavefront6targetE0EEEvT1_,comdat
.Lfunc_end852:
	.size	_ZN7rocprim17ROCPRIM_400000_NS6detail17trampoline_kernelINS0_14default_configENS1_35adjacent_difference_config_selectorILb1EtEEZNS1_24adjacent_difference_implIS3_Lb1ELb0EPtN6thrust23THRUST_200600_302600_NS16discard_iteratorINS9_11use_defaultEEENS9_5minusItEEEE10hipError_tPvRmT2_T3_mT4_P12ihipStream_tbEUlT_E_NS1_11comp_targetILNS1_3genE5ELNS1_11target_archE942ELNS1_3gpuE9ELNS1_3repE0EEENS1_30default_config_static_selectorELNS0_4arch9wavefront6targetE0EEEvT1_, .Lfunc_end852-_ZN7rocprim17ROCPRIM_400000_NS6detail17trampoline_kernelINS0_14default_configENS1_35adjacent_difference_config_selectorILb1EtEEZNS1_24adjacent_difference_implIS3_Lb1ELb0EPtN6thrust23THRUST_200600_302600_NS16discard_iteratorINS9_11use_defaultEEENS9_5minusItEEEE10hipError_tPvRmT2_T3_mT4_P12ihipStream_tbEUlT_E_NS1_11comp_targetILNS1_3genE5ELNS1_11target_archE942ELNS1_3gpuE9ELNS1_3repE0EEENS1_30default_config_static_selectorELNS0_4arch9wavefront6targetE0EEEvT1_
                                        ; -- End function
	.section	.AMDGPU.csdata,"",@progbits
; Kernel info:
; codeLenInByte = 0
; NumSgprs: 0
; NumVgprs: 0
; ScratchSize: 0
; MemoryBound: 0
; FloatMode: 240
; IeeeMode: 1
; LDSByteSize: 0 bytes/workgroup (compile time only)
; SGPRBlocks: 0
; VGPRBlocks: 0
; NumSGPRsForWavesPerEU: 1
; NumVGPRsForWavesPerEU: 1
; Occupancy: 16
; WaveLimiterHint : 0
; COMPUTE_PGM_RSRC2:SCRATCH_EN: 0
; COMPUTE_PGM_RSRC2:USER_SGPR: 15
; COMPUTE_PGM_RSRC2:TRAP_HANDLER: 0
; COMPUTE_PGM_RSRC2:TGID_X_EN: 1
; COMPUTE_PGM_RSRC2:TGID_Y_EN: 0
; COMPUTE_PGM_RSRC2:TGID_Z_EN: 0
; COMPUTE_PGM_RSRC2:TIDIG_COMP_CNT: 0
	.section	.text._ZN7rocprim17ROCPRIM_400000_NS6detail17trampoline_kernelINS0_14default_configENS1_35adjacent_difference_config_selectorILb1EtEEZNS1_24adjacent_difference_implIS3_Lb1ELb0EPtN6thrust23THRUST_200600_302600_NS16discard_iteratorINS9_11use_defaultEEENS9_5minusItEEEE10hipError_tPvRmT2_T3_mT4_P12ihipStream_tbEUlT_E_NS1_11comp_targetILNS1_3genE4ELNS1_11target_archE910ELNS1_3gpuE8ELNS1_3repE0EEENS1_30default_config_static_selectorELNS0_4arch9wavefront6targetE0EEEvT1_,"axG",@progbits,_ZN7rocprim17ROCPRIM_400000_NS6detail17trampoline_kernelINS0_14default_configENS1_35adjacent_difference_config_selectorILb1EtEEZNS1_24adjacent_difference_implIS3_Lb1ELb0EPtN6thrust23THRUST_200600_302600_NS16discard_iteratorINS9_11use_defaultEEENS9_5minusItEEEE10hipError_tPvRmT2_T3_mT4_P12ihipStream_tbEUlT_E_NS1_11comp_targetILNS1_3genE4ELNS1_11target_archE910ELNS1_3gpuE8ELNS1_3repE0EEENS1_30default_config_static_selectorELNS0_4arch9wavefront6targetE0EEEvT1_,comdat
	.protected	_ZN7rocprim17ROCPRIM_400000_NS6detail17trampoline_kernelINS0_14default_configENS1_35adjacent_difference_config_selectorILb1EtEEZNS1_24adjacent_difference_implIS3_Lb1ELb0EPtN6thrust23THRUST_200600_302600_NS16discard_iteratorINS9_11use_defaultEEENS9_5minusItEEEE10hipError_tPvRmT2_T3_mT4_P12ihipStream_tbEUlT_E_NS1_11comp_targetILNS1_3genE4ELNS1_11target_archE910ELNS1_3gpuE8ELNS1_3repE0EEENS1_30default_config_static_selectorELNS0_4arch9wavefront6targetE0EEEvT1_ ; -- Begin function _ZN7rocprim17ROCPRIM_400000_NS6detail17trampoline_kernelINS0_14default_configENS1_35adjacent_difference_config_selectorILb1EtEEZNS1_24adjacent_difference_implIS3_Lb1ELb0EPtN6thrust23THRUST_200600_302600_NS16discard_iteratorINS9_11use_defaultEEENS9_5minusItEEEE10hipError_tPvRmT2_T3_mT4_P12ihipStream_tbEUlT_E_NS1_11comp_targetILNS1_3genE4ELNS1_11target_archE910ELNS1_3gpuE8ELNS1_3repE0EEENS1_30default_config_static_selectorELNS0_4arch9wavefront6targetE0EEEvT1_
	.globl	_ZN7rocprim17ROCPRIM_400000_NS6detail17trampoline_kernelINS0_14default_configENS1_35adjacent_difference_config_selectorILb1EtEEZNS1_24adjacent_difference_implIS3_Lb1ELb0EPtN6thrust23THRUST_200600_302600_NS16discard_iteratorINS9_11use_defaultEEENS9_5minusItEEEE10hipError_tPvRmT2_T3_mT4_P12ihipStream_tbEUlT_E_NS1_11comp_targetILNS1_3genE4ELNS1_11target_archE910ELNS1_3gpuE8ELNS1_3repE0EEENS1_30default_config_static_selectorELNS0_4arch9wavefront6targetE0EEEvT1_
	.p2align	8
	.type	_ZN7rocprim17ROCPRIM_400000_NS6detail17trampoline_kernelINS0_14default_configENS1_35adjacent_difference_config_selectorILb1EtEEZNS1_24adjacent_difference_implIS3_Lb1ELb0EPtN6thrust23THRUST_200600_302600_NS16discard_iteratorINS9_11use_defaultEEENS9_5minusItEEEE10hipError_tPvRmT2_T3_mT4_P12ihipStream_tbEUlT_E_NS1_11comp_targetILNS1_3genE4ELNS1_11target_archE910ELNS1_3gpuE8ELNS1_3repE0EEENS1_30default_config_static_selectorELNS0_4arch9wavefront6targetE0EEEvT1_,@function
_ZN7rocprim17ROCPRIM_400000_NS6detail17trampoline_kernelINS0_14default_configENS1_35adjacent_difference_config_selectorILb1EtEEZNS1_24adjacent_difference_implIS3_Lb1ELb0EPtN6thrust23THRUST_200600_302600_NS16discard_iteratorINS9_11use_defaultEEENS9_5minusItEEEE10hipError_tPvRmT2_T3_mT4_P12ihipStream_tbEUlT_E_NS1_11comp_targetILNS1_3genE4ELNS1_11target_archE910ELNS1_3gpuE8ELNS1_3repE0EEENS1_30default_config_static_selectorELNS0_4arch9wavefront6targetE0EEEvT1_: ; @_ZN7rocprim17ROCPRIM_400000_NS6detail17trampoline_kernelINS0_14default_configENS1_35adjacent_difference_config_selectorILb1EtEEZNS1_24adjacent_difference_implIS3_Lb1ELb0EPtN6thrust23THRUST_200600_302600_NS16discard_iteratorINS9_11use_defaultEEENS9_5minusItEEEE10hipError_tPvRmT2_T3_mT4_P12ihipStream_tbEUlT_E_NS1_11comp_targetILNS1_3genE4ELNS1_11target_archE910ELNS1_3gpuE8ELNS1_3repE0EEENS1_30default_config_static_selectorELNS0_4arch9wavefront6targetE0EEEvT1_
; %bb.0:
	.section	.rodata,"a",@progbits
	.p2align	6, 0x0
	.amdhsa_kernel _ZN7rocprim17ROCPRIM_400000_NS6detail17trampoline_kernelINS0_14default_configENS1_35adjacent_difference_config_selectorILb1EtEEZNS1_24adjacent_difference_implIS3_Lb1ELb0EPtN6thrust23THRUST_200600_302600_NS16discard_iteratorINS9_11use_defaultEEENS9_5minusItEEEE10hipError_tPvRmT2_T3_mT4_P12ihipStream_tbEUlT_E_NS1_11comp_targetILNS1_3genE4ELNS1_11target_archE910ELNS1_3gpuE8ELNS1_3repE0EEENS1_30default_config_static_selectorELNS0_4arch9wavefront6targetE0EEEvT1_
		.amdhsa_group_segment_fixed_size 0
		.amdhsa_private_segment_fixed_size 0
		.amdhsa_kernarg_size 64
		.amdhsa_user_sgpr_count 15
		.amdhsa_user_sgpr_dispatch_ptr 0
		.amdhsa_user_sgpr_queue_ptr 0
		.amdhsa_user_sgpr_kernarg_segment_ptr 1
		.amdhsa_user_sgpr_dispatch_id 0
		.amdhsa_user_sgpr_private_segment_size 0
		.amdhsa_wavefront_size32 1
		.amdhsa_uses_dynamic_stack 0
		.amdhsa_enable_private_segment 0
		.amdhsa_system_sgpr_workgroup_id_x 1
		.amdhsa_system_sgpr_workgroup_id_y 0
		.amdhsa_system_sgpr_workgroup_id_z 0
		.amdhsa_system_sgpr_workgroup_info 0
		.amdhsa_system_vgpr_workitem_id 0
		.amdhsa_next_free_vgpr 1
		.amdhsa_next_free_sgpr 1
		.amdhsa_reserve_vcc 0
		.amdhsa_float_round_mode_32 0
		.amdhsa_float_round_mode_16_64 0
		.amdhsa_float_denorm_mode_32 3
		.amdhsa_float_denorm_mode_16_64 3
		.amdhsa_dx10_clamp 1
		.amdhsa_ieee_mode 1
		.amdhsa_fp16_overflow 0
		.amdhsa_workgroup_processor_mode 1
		.amdhsa_memory_ordered 1
		.amdhsa_forward_progress 0
		.amdhsa_shared_vgpr_count 0
		.amdhsa_exception_fp_ieee_invalid_op 0
		.amdhsa_exception_fp_denorm_src 0
		.amdhsa_exception_fp_ieee_div_zero 0
		.amdhsa_exception_fp_ieee_overflow 0
		.amdhsa_exception_fp_ieee_underflow 0
		.amdhsa_exception_fp_ieee_inexact 0
		.amdhsa_exception_int_div_zero 0
	.end_amdhsa_kernel
	.section	.text._ZN7rocprim17ROCPRIM_400000_NS6detail17trampoline_kernelINS0_14default_configENS1_35adjacent_difference_config_selectorILb1EtEEZNS1_24adjacent_difference_implIS3_Lb1ELb0EPtN6thrust23THRUST_200600_302600_NS16discard_iteratorINS9_11use_defaultEEENS9_5minusItEEEE10hipError_tPvRmT2_T3_mT4_P12ihipStream_tbEUlT_E_NS1_11comp_targetILNS1_3genE4ELNS1_11target_archE910ELNS1_3gpuE8ELNS1_3repE0EEENS1_30default_config_static_selectorELNS0_4arch9wavefront6targetE0EEEvT1_,"axG",@progbits,_ZN7rocprim17ROCPRIM_400000_NS6detail17trampoline_kernelINS0_14default_configENS1_35adjacent_difference_config_selectorILb1EtEEZNS1_24adjacent_difference_implIS3_Lb1ELb0EPtN6thrust23THRUST_200600_302600_NS16discard_iteratorINS9_11use_defaultEEENS9_5minusItEEEE10hipError_tPvRmT2_T3_mT4_P12ihipStream_tbEUlT_E_NS1_11comp_targetILNS1_3genE4ELNS1_11target_archE910ELNS1_3gpuE8ELNS1_3repE0EEENS1_30default_config_static_selectorELNS0_4arch9wavefront6targetE0EEEvT1_,comdat
.Lfunc_end853:
	.size	_ZN7rocprim17ROCPRIM_400000_NS6detail17trampoline_kernelINS0_14default_configENS1_35adjacent_difference_config_selectorILb1EtEEZNS1_24adjacent_difference_implIS3_Lb1ELb0EPtN6thrust23THRUST_200600_302600_NS16discard_iteratorINS9_11use_defaultEEENS9_5minusItEEEE10hipError_tPvRmT2_T3_mT4_P12ihipStream_tbEUlT_E_NS1_11comp_targetILNS1_3genE4ELNS1_11target_archE910ELNS1_3gpuE8ELNS1_3repE0EEENS1_30default_config_static_selectorELNS0_4arch9wavefront6targetE0EEEvT1_, .Lfunc_end853-_ZN7rocprim17ROCPRIM_400000_NS6detail17trampoline_kernelINS0_14default_configENS1_35adjacent_difference_config_selectorILb1EtEEZNS1_24adjacent_difference_implIS3_Lb1ELb0EPtN6thrust23THRUST_200600_302600_NS16discard_iteratorINS9_11use_defaultEEENS9_5minusItEEEE10hipError_tPvRmT2_T3_mT4_P12ihipStream_tbEUlT_E_NS1_11comp_targetILNS1_3genE4ELNS1_11target_archE910ELNS1_3gpuE8ELNS1_3repE0EEENS1_30default_config_static_selectorELNS0_4arch9wavefront6targetE0EEEvT1_
                                        ; -- End function
	.section	.AMDGPU.csdata,"",@progbits
; Kernel info:
; codeLenInByte = 0
; NumSgprs: 0
; NumVgprs: 0
; ScratchSize: 0
; MemoryBound: 0
; FloatMode: 240
; IeeeMode: 1
; LDSByteSize: 0 bytes/workgroup (compile time only)
; SGPRBlocks: 0
; VGPRBlocks: 0
; NumSGPRsForWavesPerEU: 1
; NumVGPRsForWavesPerEU: 1
; Occupancy: 16
; WaveLimiterHint : 0
; COMPUTE_PGM_RSRC2:SCRATCH_EN: 0
; COMPUTE_PGM_RSRC2:USER_SGPR: 15
; COMPUTE_PGM_RSRC2:TRAP_HANDLER: 0
; COMPUTE_PGM_RSRC2:TGID_X_EN: 1
; COMPUTE_PGM_RSRC2:TGID_Y_EN: 0
; COMPUTE_PGM_RSRC2:TGID_Z_EN: 0
; COMPUTE_PGM_RSRC2:TIDIG_COMP_CNT: 0
	.section	.text._ZN7rocprim17ROCPRIM_400000_NS6detail17trampoline_kernelINS0_14default_configENS1_35adjacent_difference_config_selectorILb1EtEEZNS1_24adjacent_difference_implIS3_Lb1ELb0EPtN6thrust23THRUST_200600_302600_NS16discard_iteratorINS9_11use_defaultEEENS9_5minusItEEEE10hipError_tPvRmT2_T3_mT4_P12ihipStream_tbEUlT_E_NS1_11comp_targetILNS1_3genE3ELNS1_11target_archE908ELNS1_3gpuE7ELNS1_3repE0EEENS1_30default_config_static_selectorELNS0_4arch9wavefront6targetE0EEEvT1_,"axG",@progbits,_ZN7rocprim17ROCPRIM_400000_NS6detail17trampoline_kernelINS0_14default_configENS1_35adjacent_difference_config_selectorILb1EtEEZNS1_24adjacent_difference_implIS3_Lb1ELb0EPtN6thrust23THRUST_200600_302600_NS16discard_iteratorINS9_11use_defaultEEENS9_5minusItEEEE10hipError_tPvRmT2_T3_mT4_P12ihipStream_tbEUlT_E_NS1_11comp_targetILNS1_3genE3ELNS1_11target_archE908ELNS1_3gpuE7ELNS1_3repE0EEENS1_30default_config_static_selectorELNS0_4arch9wavefront6targetE0EEEvT1_,comdat
	.protected	_ZN7rocprim17ROCPRIM_400000_NS6detail17trampoline_kernelINS0_14default_configENS1_35adjacent_difference_config_selectorILb1EtEEZNS1_24adjacent_difference_implIS3_Lb1ELb0EPtN6thrust23THRUST_200600_302600_NS16discard_iteratorINS9_11use_defaultEEENS9_5minusItEEEE10hipError_tPvRmT2_T3_mT4_P12ihipStream_tbEUlT_E_NS1_11comp_targetILNS1_3genE3ELNS1_11target_archE908ELNS1_3gpuE7ELNS1_3repE0EEENS1_30default_config_static_selectorELNS0_4arch9wavefront6targetE0EEEvT1_ ; -- Begin function _ZN7rocprim17ROCPRIM_400000_NS6detail17trampoline_kernelINS0_14default_configENS1_35adjacent_difference_config_selectorILb1EtEEZNS1_24adjacent_difference_implIS3_Lb1ELb0EPtN6thrust23THRUST_200600_302600_NS16discard_iteratorINS9_11use_defaultEEENS9_5minusItEEEE10hipError_tPvRmT2_T3_mT4_P12ihipStream_tbEUlT_E_NS1_11comp_targetILNS1_3genE3ELNS1_11target_archE908ELNS1_3gpuE7ELNS1_3repE0EEENS1_30default_config_static_selectorELNS0_4arch9wavefront6targetE0EEEvT1_
	.globl	_ZN7rocprim17ROCPRIM_400000_NS6detail17trampoline_kernelINS0_14default_configENS1_35adjacent_difference_config_selectorILb1EtEEZNS1_24adjacent_difference_implIS3_Lb1ELb0EPtN6thrust23THRUST_200600_302600_NS16discard_iteratorINS9_11use_defaultEEENS9_5minusItEEEE10hipError_tPvRmT2_T3_mT4_P12ihipStream_tbEUlT_E_NS1_11comp_targetILNS1_3genE3ELNS1_11target_archE908ELNS1_3gpuE7ELNS1_3repE0EEENS1_30default_config_static_selectorELNS0_4arch9wavefront6targetE0EEEvT1_
	.p2align	8
	.type	_ZN7rocprim17ROCPRIM_400000_NS6detail17trampoline_kernelINS0_14default_configENS1_35adjacent_difference_config_selectorILb1EtEEZNS1_24adjacent_difference_implIS3_Lb1ELb0EPtN6thrust23THRUST_200600_302600_NS16discard_iteratorINS9_11use_defaultEEENS9_5minusItEEEE10hipError_tPvRmT2_T3_mT4_P12ihipStream_tbEUlT_E_NS1_11comp_targetILNS1_3genE3ELNS1_11target_archE908ELNS1_3gpuE7ELNS1_3repE0EEENS1_30default_config_static_selectorELNS0_4arch9wavefront6targetE0EEEvT1_,@function
_ZN7rocprim17ROCPRIM_400000_NS6detail17trampoline_kernelINS0_14default_configENS1_35adjacent_difference_config_selectorILb1EtEEZNS1_24adjacent_difference_implIS3_Lb1ELb0EPtN6thrust23THRUST_200600_302600_NS16discard_iteratorINS9_11use_defaultEEENS9_5minusItEEEE10hipError_tPvRmT2_T3_mT4_P12ihipStream_tbEUlT_E_NS1_11comp_targetILNS1_3genE3ELNS1_11target_archE908ELNS1_3gpuE7ELNS1_3repE0EEENS1_30default_config_static_selectorELNS0_4arch9wavefront6targetE0EEEvT1_: ; @_ZN7rocprim17ROCPRIM_400000_NS6detail17trampoline_kernelINS0_14default_configENS1_35adjacent_difference_config_selectorILb1EtEEZNS1_24adjacent_difference_implIS3_Lb1ELb0EPtN6thrust23THRUST_200600_302600_NS16discard_iteratorINS9_11use_defaultEEENS9_5minusItEEEE10hipError_tPvRmT2_T3_mT4_P12ihipStream_tbEUlT_E_NS1_11comp_targetILNS1_3genE3ELNS1_11target_archE908ELNS1_3gpuE7ELNS1_3repE0EEENS1_30default_config_static_selectorELNS0_4arch9wavefront6targetE0EEEvT1_
; %bb.0:
	.section	.rodata,"a",@progbits
	.p2align	6, 0x0
	.amdhsa_kernel _ZN7rocprim17ROCPRIM_400000_NS6detail17trampoline_kernelINS0_14default_configENS1_35adjacent_difference_config_selectorILb1EtEEZNS1_24adjacent_difference_implIS3_Lb1ELb0EPtN6thrust23THRUST_200600_302600_NS16discard_iteratorINS9_11use_defaultEEENS9_5minusItEEEE10hipError_tPvRmT2_T3_mT4_P12ihipStream_tbEUlT_E_NS1_11comp_targetILNS1_3genE3ELNS1_11target_archE908ELNS1_3gpuE7ELNS1_3repE0EEENS1_30default_config_static_selectorELNS0_4arch9wavefront6targetE0EEEvT1_
		.amdhsa_group_segment_fixed_size 0
		.amdhsa_private_segment_fixed_size 0
		.amdhsa_kernarg_size 64
		.amdhsa_user_sgpr_count 15
		.amdhsa_user_sgpr_dispatch_ptr 0
		.amdhsa_user_sgpr_queue_ptr 0
		.amdhsa_user_sgpr_kernarg_segment_ptr 1
		.amdhsa_user_sgpr_dispatch_id 0
		.amdhsa_user_sgpr_private_segment_size 0
		.amdhsa_wavefront_size32 1
		.amdhsa_uses_dynamic_stack 0
		.amdhsa_enable_private_segment 0
		.amdhsa_system_sgpr_workgroup_id_x 1
		.amdhsa_system_sgpr_workgroup_id_y 0
		.amdhsa_system_sgpr_workgroup_id_z 0
		.amdhsa_system_sgpr_workgroup_info 0
		.amdhsa_system_vgpr_workitem_id 0
		.amdhsa_next_free_vgpr 1
		.amdhsa_next_free_sgpr 1
		.amdhsa_reserve_vcc 0
		.amdhsa_float_round_mode_32 0
		.amdhsa_float_round_mode_16_64 0
		.amdhsa_float_denorm_mode_32 3
		.amdhsa_float_denorm_mode_16_64 3
		.amdhsa_dx10_clamp 1
		.amdhsa_ieee_mode 1
		.amdhsa_fp16_overflow 0
		.amdhsa_workgroup_processor_mode 1
		.amdhsa_memory_ordered 1
		.amdhsa_forward_progress 0
		.amdhsa_shared_vgpr_count 0
		.amdhsa_exception_fp_ieee_invalid_op 0
		.amdhsa_exception_fp_denorm_src 0
		.amdhsa_exception_fp_ieee_div_zero 0
		.amdhsa_exception_fp_ieee_overflow 0
		.amdhsa_exception_fp_ieee_underflow 0
		.amdhsa_exception_fp_ieee_inexact 0
		.amdhsa_exception_int_div_zero 0
	.end_amdhsa_kernel
	.section	.text._ZN7rocprim17ROCPRIM_400000_NS6detail17trampoline_kernelINS0_14default_configENS1_35adjacent_difference_config_selectorILb1EtEEZNS1_24adjacent_difference_implIS3_Lb1ELb0EPtN6thrust23THRUST_200600_302600_NS16discard_iteratorINS9_11use_defaultEEENS9_5minusItEEEE10hipError_tPvRmT2_T3_mT4_P12ihipStream_tbEUlT_E_NS1_11comp_targetILNS1_3genE3ELNS1_11target_archE908ELNS1_3gpuE7ELNS1_3repE0EEENS1_30default_config_static_selectorELNS0_4arch9wavefront6targetE0EEEvT1_,"axG",@progbits,_ZN7rocprim17ROCPRIM_400000_NS6detail17trampoline_kernelINS0_14default_configENS1_35adjacent_difference_config_selectorILb1EtEEZNS1_24adjacent_difference_implIS3_Lb1ELb0EPtN6thrust23THRUST_200600_302600_NS16discard_iteratorINS9_11use_defaultEEENS9_5minusItEEEE10hipError_tPvRmT2_T3_mT4_P12ihipStream_tbEUlT_E_NS1_11comp_targetILNS1_3genE3ELNS1_11target_archE908ELNS1_3gpuE7ELNS1_3repE0EEENS1_30default_config_static_selectorELNS0_4arch9wavefront6targetE0EEEvT1_,comdat
.Lfunc_end854:
	.size	_ZN7rocprim17ROCPRIM_400000_NS6detail17trampoline_kernelINS0_14default_configENS1_35adjacent_difference_config_selectorILb1EtEEZNS1_24adjacent_difference_implIS3_Lb1ELb0EPtN6thrust23THRUST_200600_302600_NS16discard_iteratorINS9_11use_defaultEEENS9_5minusItEEEE10hipError_tPvRmT2_T3_mT4_P12ihipStream_tbEUlT_E_NS1_11comp_targetILNS1_3genE3ELNS1_11target_archE908ELNS1_3gpuE7ELNS1_3repE0EEENS1_30default_config_static_selectorELNS0_4arch9wavefront6targetE0EEEvT1_, .Lfunc_end854-_ZN7rocprim17ROCPRIM_400000_NS6detail17trampoline_kernelINS0_14default_configENS1_35adjacent_difference_config_selectorILb1EtEEZNS1_24adjacent_difference_implIS3_Lb1ELb0EPtN6thrust23THRUST_200600_302600_NS16discard_iteratorINS9_11use_defaultEEENS9_5minusItEEEE10hipError_tPvRmT2_T3_mT4_P12ihipStream_tbEUlT_E_NS1_11comp_targetILNS1_3genE3ELNS1_11target_archE908ELNS1_3gpuE7ELNS1_3repE0EEENS1_30default_config_static_selectorELNS0_4arch9wavefront6targetE0EEEvT1_
                                        ; -- End function
	.section	.AMDGPU.csdata,"",@progbits
; Kernel info:
; codeLenInByte = 0
; NumSgprs: 0
; NumVgprs: 0
; ScratchSize: 0
; MemoryBound: 0
; FloatMode: 240
; IeeeMode: 1
; LDSByteSize: 0 bytes/workgroup (compile time only)
; SGPRBlocks: 0
; VGPRBlocks: 0
; NumSGPRsForWavesPerEU: 1
; NumVGPRsForWavesPerEU: 1
; Occupancy: 16
; WaveLimiterHint : 0
; COMPUTE_PGM_RSRC2:SCRATCH_EN: 0
; COMPUTE_PGM_RSRC2:USER_SGPR: 15
; COMPUTE_PGM_RSRC2:TRAP_HANDLER: 0
; COMPUTE_PGM_RSRC2:TGID_X_EN: 1
; COMPUTE_PGM_RSRC2:TGID_Y_EN: 0
; COMPUTE_PGM_RSRC2:TGID_Z_EN: 0
; COMPUTE_PGM_RSRC2:TIDIG_COMP_CNT: 0
	.section	.text._ZN7rocprim17ROCPRIM_400000_NS6detail17trampoline_kernelINS0_14default_configENS1_35adjacent_difference_config_selectorILb1EtEEZNS1_24adjacent_difference_implIS3_Lb1ELb0EPtN6thrust23THRUST_200600_302600_NS16discard_iteratorINS9_11use_defaultEEENS9_5minusItEEEE10hipError_tPvRmT2_T3_mT4_P12ihipStream_tbEUlT_E_NS1_11comp_targetILNS1_3genE2ELNS1_11target_archE906ELNS1_3gpuE6ELNS1_3repE0EEENS1_30default_config_static_selectorELNS0_4arch9wavefront6targetE0EEEvT1_,"axG",@progbits,_ZN7rocprim17ROCPRIM_400000_NS6detail17trampoline_kernelINS0_14default_configENS1_35adjacent_difference_config_selectorILb1EtEEZNS1_24adjacent_difference_implIS3_Lb1ELb0EPtN6thrust23THRUST_200600_302600_NS16discard_iteratorINS9_11use_defaultEEENS9_5minusItEEEE10hipError_tPvRmT2_T3_mT4_P12ihipStream_tbEUlT_E_NS1_11comp_targetILNS1_3genE2ELNS1_11target_archE906ELNS1_3gpuE6ELNS1_3repE0EEENS1_30default_config_static_selectorELNS0_4arch9wavefront6targetE0EEEvT1_,comdat
	.protected	_ZN7rocprim17ROCPRIM_400000_NS6detail17trampoline_kernelINS0_14default_configENS1_35adjacent_difference_config_selectorILb1EtEEZNS1_24adjacent_difference_implIS3_Lb1ELb0EPtN6thrust23THRUST_200600_302600_NS16discard_iteratorINS9_11use_defaultEEENS9_5minusItEEEE10hipError_tPvRmT2_T3_mT4_P12ihipStream_tbEUlT_E_NS1_11comp_targetILNS1_3genE2ELNS1_11target_archE906ELNS1_3gpuE6ELNS1_3repE0EEENS1_30default_config_static_selectorELNS0_4arch9wavefront6targetE0EEEvT1_ ; -- Begin function _ZN7rocprim17ROCPRIM_400000_NS6detail17trampoline_kernelINS0_14default_configENS1_35adjacent_difference_config_selectorILb1EtEEZNS1_24adjacent_difference_implIS3_Lb1ELb0EPtN6thrust23THRUST_200600_302600_NS16discard_iteratorINS9_11use_defaultEEENS9_5minusItEEEE10hipError_tPvRmT2_T3_mT4_P12ihipStream_tbEUlT_E_NS1_11comp_targetILNS1_3genE2ELNS1_11target_archE906ELNS1_3gpuE6ELNS1_3repE0EEENS1_30default_config_static_selectorELNS0_4arch9wavefront6targetE0EEEvT1_
	.globl	_ZN7rocprim17ROCPRIM_400000_NS6detail17trampoline_kernelINS0_14default_configENS1_35adjacent_difference_config_selectorILb1EtEEZNS1_24adjacent_difference_implIS3_Lb1ELb0EPtN6thrust23THRUST_200600_302600_NS16discard_iteratorINS9_11use_defaultEEENS9_5minusItEEEE10hipError_tPvRmT2_T3_mT4_P12ihipStream_tbEUlT_E_NS1_11comp_targetILNS1_3genE2ELNS1_11target_archE906ELNS1_3gpuE6ELNS1_3repE0EEENS1_30default_config_static_selectorELNS0_4arch9wavefront6targetE0EEEvT1_
	.p2align	8
	.type	_ZN7rocprim17ROCPRIM_400000_NS6detail17trampoline_kernelINS0_14default_configENS1_35adjacent_difference_config_selectorILb1EtEEZNS1_24adjacent_difference_implIS3_Lb1ELb0EPtN6thrust23THRUST_200600_302600_NS16discard_iteratorINS9_11use_defaultEEENS9_5minusItEEEE10hipError_tPvRmT2_T3_mT4_P12ihipStream_tbEUlT_E_NS1_11comp_targetILNS1_3genE2ELNS1_11target_archE906ELNS1_3gpuE6ELNS1_3repE0EEENS1_30default_config_static_selectorELNS0_4arch9wavefront6targetE0EEEvT1_,@function
_ZN7rocprim17ROCPRIM_400000_NS6detail17trampoline_kernelINS0_14default_configENS1_35adjacent_difference_config_selectorILb1EtEEZNS1_24adjacent_difference_implIS3_Lb1ELb0EPtN6thrust23THRUST_200600_302600_NS16discard_iteratorINS9_11use_defaultEEENS9_5minusItEEEE10hipError_tPvRmT2_T3_mT4_P12ihipStream_tbEUlT_E_NS1_11comp_targetILNS1_3genE2ELNS1_11target_archE906ELNS1_3gpuE6ELNS1_3repE0EEENS1_30default_config_static_selectorELNS0_4arch9wavefront6targetE0EEEvT1_: ; @_ZN7rocprim17ROCPRIM_400000_NS6detail17trampoline_kernelINS0_14default_configENS1_35adjacent_difference_config_selectorILb1EtEEZNS1_24adjacent_difference_implIS3_Lb1ELb0EPtN6thrust23THRUST_200600_302600_NS16discard_iteratorINS9_11use_defaultEEENS9_5minusItEEEE10hipError_tPvRmT2_T3_mT4_P12ihipStream_tbEUlT_E_NS1_11comp_targetILNS1_3genE2ELNS1_11target_archE906ELNS1_3gpuE6ELNS1_3repE0EEENS1_30default_config_static_selectorELNS0_4arch9wavefront6targetE0EEEvT1_
; %bb.0:
	.section	.rodata,"a",@progbits
	.p2align	6, 0x0
	.amdhsa_kernel _ZN7rocprim17ROCPRIM_400000_NS6detail17trampoline_kernelINS0_14default_configENS1_35adjacent_difference_config_selectorILb1EtEEZNS1_24adjacent_difference_implIS3_Lb1ELb0EPtN6thrust23THRUST_200600_302600_NS16discard_iteratorINS9_11use_defaultEEENS9_5minusItEEEE10hipError_tPvRmT2_T3_mT4_P12ihipStream_tbEUlT_E_NS1_11comp_targetILNS1_3genE2ELNS1_11target_archE906ELNS1_3gpuE6ELNS1_3repE0EEENS1_30default_config_static_selectorELNS0_4arch9wavefront6targetE0EEEvT1_
		.amdhsa_group_segment_fixed_size 0
		.amdhsa_private_segment_fixed_size 0
		.amdhsa_kernarg_size 64
		.amdhsa_user_sgpr_count 15
		.amdhsa_user_sgpr_dispatch_ptr 0
		.amdhsa_user_sgpr_queue_ptr 0
		.amdhsa_user_sgpr_kernarg_segment_ptr 1
		.amdhsa_user_sgpr_dispatch_id 0
		.amdhsa_user_sgpr_private_segment_size 0
		.amdhsa_wavefront_size32 1
		.amdhsa_uses_dynamic_stack 0
		.amdhsa_enable_private_segment 0
		.amdhsa_system_sgpr_workgroup_id_x 1
		.amdhsa_system_sgpr_workgroup_id_y 0
		.amdhsa_system_sgpr_workgroup_id_z 0
		.amdhsa_system_sgpr_workgroup_info 0
		.amdhsa_system_vgpr_workitem_id 0
		.amdhsa_next_free_vgpr 1
		.amdhsa_next_free_sgpr 1
		.amdhsa_reserve_vcc 0
		.amdhsa_float_round_mode_32 0
		.amdhsa_float_round_mode_16_64 0
		.amdhsa_float_denorm_mode_32 3
		.amdhsa_float_denorm_mode_16_64 3
		.amdhsa_dx10_clamp 1
		.amdhsa_ieee_mode 1
		.amdhsa_fp16_overflow 0
		.amdhsa_workgroup_processor_mode 1
		.amdhsa_memory_ordered 1
		.amdhsa_forward_progress 0
		.amdhsa_shared_vgpr_count 0
		.amdhsa_exception_fp_ieee_invalid_op 0
		.amdhsa_exception_fp_denorm_src 0
		.amdhsa_exception_fp_ieee_div_zero 0
		.amdhsa_exception_fp_ieee_overflow 0
		.amdhsa_exception_fp_ieee_underflow 0
		.amdhsa_exception_fp_ieee_inexact 0
		.amdhsa_exception_int_div_zero 0
	.end_amdhsa_kernel
	.section	.text._ZN7rocprim17ROCPRIM_400000_NS6detail17trampoline_kernelINS0_14default_configENS1_35adjacent_difference_config_selectorILb1EtEEZNS1_24adjacent_difference_implIS3_Lb1ELb0EPtN6thrust23THRUST_200600_302600_NS16discard_iteratorINS9_11use_defaultEEENS9_5minusItEEEE10hipError_tPvRmT2_T3_mT4_P12ihipStream_tbEUlT_E_NS1_11comp_targetILNS1_3genE2ELNS1_11target_archE906ELNS1_3gpuE6ELNS1_3repE0EEENS1_30default_config_static_selectorELNS0_4arch9wavefront6targetE0EEEvT1_,"axG",@progbits,_ZN7rocprim17ROCPRIM_400000_NS6detail17trampoline_kernelINS0_14default_configENS1_35adjacent_difference_config_selectorILb1EtEEZNS1_24adjacent_difference_implIS3_Lb1ELb0EPtN6thrust23THRUST_200600_302600_NS16discard_iteratorINS9_11use_defaultEEENS9_5minusItEEEE10hipError_tPvRmT2_T3_mT4_P12ihipStream_tbEUlT_E_NS1_11comp_targetILNS1_3genE2ELNS1_11target_archE906ELNS1_3gpuE6ELNS1_3repE0EEENS1_30default_config_static_selectorELNS0_4arch9wavefront6targetE0EEEvT1_,comdat
.Lfunc_end855:
	.size	_ZN7rocprim17ROCPRIM_400000_NS6detail17trampoline_kernelINS0_14default_configENS1_35adjacent_difference_config_selectorILb1EtEEZNS1_24adjacent_difference_implIS3_Lb1ELb0EPtN6thrust23THRUST_200600_302600_NS16discard_iteratorINS9_11use_defaultEEENS9_5minusItEEEE10hipError_tPvRmT2_T3_mT4_P12ihipStream_tbEUlT_E_NS1_11comp_targetILNS1_3genE2ELNS1_11target_archE906ELNS1_3gpuE6ELNS1_3repE0EEENS1_30default_config_static_selectorELNS0_4arch9wavefront6targetE0EEEvT1_, .Lfunc_end855-_ZN7rocprim17ROCPRIM_400000_NS6detail17trampoline_kernelINS0_14default_configENS1_35adjacent_difference_config_selectorILb1EtEEZNS1_24adjacent_difference_implIS3_Lb1ELb0EPtN6thrust23THRUST_200600_302600_NS16discard_iteratorINS9_11use_defaultEEENS9_5minusItEEEE10hipError_tPvRmT2_T3_mT4_P12ihipStream_tbEUlT_E_NS1_11comp_targetILNS1_3genE2ELNS1_11target_archE906ELNS1_3gpuE6ELNS1_3repE0EEENS1_30default_config_static_selectorELNS0_4arch9wavefront6targetE0EEEvT1_
                                        ; -- End function
	.section	.AMDGPU.csdata,"",@progbits
; Kernel info:
; codeLenInByte = 0
; NumSgprs: 0
; NumVgprs: 0
; ScratchSize: 0
; MemoryBound: 0
; FloatMode: 240
; IeeeMode: 1
; LDSByteSize: 0 bytes/workgroup (compile time only)
; SGPRBlocks: 0
; VGPRBlocks: 0
; NumSGPRsForWavesPerEU: 1
; NumVGPRsForWavesPerEU: 1
; Occupancy: 16
; WaveLimiterHint : 0
; COMPUTE_PGM_RSRC2:SCRATCH_EN: 0
; COMPUTE_PGM_RSRC2:USER_SGPR: 15
; COMPUTE_PGM_RSRC2:TRAP_HANDLER: 0
; COMPUTE_PGM_RSRC2:TGID_X_EN: 1
; COMPUTE_PGM_RSRC2:TGID_Y_EN: 0
; COMPUTE_PGM_RSRC2:TGID_Z_EN: 0
; COMPUTE_PGM_RSRC2:TIDIG_COMP_CNT: 0
	.section	.text._ZN7rocprim17ROCPRIM_400000_NS6detail17trampoline_kernelINS0_14default_configENS1_35adjacent_difference_config_selectorILb1EtEEZNS1_24adjacent_difference_implIS3_Lb1ELb0EPtN6thrust23THRUST_200600_302600_NS16discard_iteratorINS9_11use_defaultEEENS9_5minusItEEEE10hipError_tPvRmT2_T3_mT4_P12ihipStream_tbEUlT_E_NS1_11comp_targetILNS1_3genE9ELNS1_11target_archE1100ELNS1_3gpuE3ELNS1_3repE0EEENS1_30default_config_static_selectorELNS0_4arch9wavefront6targetE0EEEvT1_,"axG",@progbits,_ZN7rocprim17ROCPRIM_400000_NS6detail17trampoline_kernelINS0_14default_configENS1_35adjacent_difference_config_selectorILb1EtEEZNS1_24adjacent_difference_implIS3_Lb1ELb0EPtN6thrust23THRUST_200600_302600_NS16discard_iteratorINS9_11use_defaultEEENS9_5minusItEEEE10hipError_tPvRmT2_T3_mT4_P12ihipStream_tbEUlT_E_NS1_11comp_targetILNS1_3genE9ELNS1_11target_archE1100ELNS1_3gpuE3ELNS1_3repE0EEENS1_30default_config_static_selectorELNS0_4arch9wavefront6targetE0EEEvT1_,comdat
	.protected	_ZN7rocprim17ROCPRIM_400000_NS6detail17trampoline_kernelINS0_14default_configENS1_35adjacent_difference_config_selectorILb1EtEEZNS1_24adjacent_difference_implIS3_Lb1ELb0EPtN6thrust23THRUST_200600_302600_NS16discard_iteratorINS9_11use_defaultEEENS9_5minusItEEEE10hipError_tPvRmT2_T3_mT4_P12ihipStream_tbEUlT_E_NS1_11comp_targetILNS1_3genE9ELNS1_11target_archE1100ELNS1_3gpuE3ELNS1_3repE0EEENS1_30default_config_static_selectorELNS0_4arch9wavefront6targetE0EEEvT1_ ; -- Begin function _ZN7rocprim17ROCPRIM_400000_NS6detail17trampoline_kernelINS0_14default_configENS1_35adjacent_difference_config_selectorILb1EtEEZNS1_24adjacent_difference_implIS3_Lb1ELb0EPtN6thrust23THRUST_200600_302600_NS16discard_iteratorINS9_11use_defaultEEENS9_5minusItEEEE10hipError_tPvRmT2_T3_mT4_P12ihipStream_tbEUlT_E_NS1_11comp_targetILNS1_3genE9ELNS1_11target_archE1100ELNS1_3gpuE3ELNS1_3repE0EEENS1_30default_config_static_selectorELNS0_4arch9wavefront6targetE0EEEvT1_
	.globl	_ZN7rocprim17ROCPRIM_400000_NS6detail17trampoline_kernelINS0_14default_configENS1_35adjacent_difference_config_selectorILb1EtEEZNS1_24adjacent_difference_implIS3_Lb1ELb0EPtN6thrust23THRUST_200600_302600_NS16discard_iteratorINS9_11use_defaultEEENS9_5minusItEEEE10hipError_tPvRmT2_T3_mT4_P12ihipStream_tbEUlT_E_NS1_11comp_targetILNS1_3genE9ELNS1_11target_archE1100ELNS1_3gpuE3ELNS1_3repE0EEENS1_30default_config_static_selectorELNS0_4arch9wavefront6targetE0EEEvT1_
	.p2align	8
	.type	_ZN7rocprim17ROCPRIM_400000_NS6detail17trampoline_kernelINS0_14default_configENS1_35adjacent_difference_config_selectorILb1EtEEZNS1_24adjacent_difference_implIS3_Lb1ELb0EPtN6thrust23THRUST_200600_302600_NS16discard_iteratorINS9_11use_defaultEEENS9_5minusItEEEE10hipError_tPvRmT2_T3_mT4_P12ihipStream_tbEUlT_E_NS1_11comp_targetILNS1_3genE9ELNS1_11target_archE1100ELNS1_3gpuE3ELNS1_3repE0EEENS1_30default_config_static_selectorELNS0_4arch9wavefront6targetE0EEEvT1_,@function
_ZN7rocprim17ROCPRIM_400000_NS6detail17trampoline_kernelINS0_14default_configENS1_35adjacent_difference_config_selectorILb1EtEEZNS1_24adjacent_difference_implIS3_Lb1ELb0EPtN6thrust23THRUST_200600_302600_NS16discard_iteratorINS9_11use_defaultEEENS9_5minusItEEEE10hipError_tPvRmT2_T3_mT4_P12ihipStream_tbEUlT_E_NS1_11comp_targetILNS1_3genE9ELNS1_11target_archE1100ELNS1_3gpuE3ELNS1_3repE0EEENS1_30default_config_static_selectorELNS0_4arch9wavefront6targetE0EEEvT1_: ; @_ZN7rocprim17ROCPRIM_400000_NS6detail17trampoline_kernelINS0_14default_configENS1_35adjacent_difference_config_selectorILb1EtEEZNS1_24adjacent_difference_implIS3_Lb1ELb0EPtN6thrust23THRUST_200600_302600_NS16discard_iteratorINS9_11use_defaultEEENS9_5minusItEEEE10hipError_tPvRmT2_T3_mT4_P12ihipStream_tbEUlT_E_NS1_11comp_targetILNS1_3genE9ELNS1_11target_archE1100ELNS1_3gpuE3ELNS1_3repE0EEENS1_30default_config_static_selectorELNS0_4arch9wavefront6targetE0EEEvT1_
; %bb.0:
	s_clause 0x1
	s_load_b128 s[4:7], s[0:1], 0x0
	s_load_b64 s[20:21], s[0:1], 0x20
	s_mov_b32 s8, s15
	s_mov_b32 s13, -1
	s_waitcnt lgkmcnt(0)
	s_lshl_b64 s[2:3], s[6:7], 1
	s_delay_alu instid0(SALU_CYCLE_1)
	s_add_u32 s16, s4, s2
	s_addc_u32 s17, s5, s3
	s_add_u32 s2, 0, 0x590b2000
	s_addc_u32 s3, 0, 0
	s_mul_hi_u32 s5, s2, 0xfffff480
	s_add_i32 s3, s3, 0x1642c8
	s_sub_i32 s5, s5, s2
	s_mul_i32 s7, s3, 0xfffff480
	s_mul_i32 s4, s2, 0xfffff480
	s_add_i32 s5, s5, s7
	s_mul_hi_u32 s6, s2, s4
	s_mul_i32 s10, s2, s5
	s_mul_hi_u32 s7, s2, s5
	s_mul_hi_u32 s9, s3, s4
	s_mul_i32 s4, s3, s4
	s_add_u32 s6, s6, s10
	s_addc_u32 s7, 0, s7
	s_mul_hi_u32 s11, s3, s5
	s_add_u32 s4, s6, s4
	s_mul_i32 s5, s3, s5
	s_addc_u32 s4, s7, s9
	s_addc_u32 s6, s11, 0
	s_add_u32 s4, s4, s5
	s_delay_alu instid0(SALU_CYCLE_1) | instskip(SKIP_3) | instid1(VALU_DEP_1)
	v_add_co_u32 v1, s2, s2, s4
	s_addc_u32 s4, 0, s6
	s_cmp_lg_u32 s2, 0
	s_addc_u32 s2, s3, s4
	v_readfirstlane_b32 s3, v1
	s_mul_i32 s5, s20, s2
	s_mul_hi_u32 s4, s20, s2
	s_mul_hi_u32 s6, s21, s2
	s_mul_i32 s2, s21, s2
	s_mul_hi_u32 s7, s20, s3
	s_mul_hi_u32 s9, s21, s3
	s_mul_i32 s3, s21, s3
	s_add_u32 s5, s7, s5
	s_addc_u32 s4, 0, s4
	s_add_u32 s3, s5, s3
	s_addc_u32 s3, s4, s9
	s_addc_u32 s4, s6, 0
	s_add_u32 s5, s3, s2
	s_addc_u32 s4, 0, s4
	s_mul_i32 s3, s5, 0xb80
	s_add_u32 s2, s5, 1
	v_sub_co_u32 v1, s3, s20, s3
	s_mul_hi_u32 s6, s5, 0xb80
	s_addc_u32 s7, s4, 0
	s_mul_i32 s9, s4, 0xb80
	s_delay_alu instid0(VALU_DEP_1)
	v_subrev_co_u32 v2, s10, 0xb80, v1
	s_add_u32 s11, s5, 2
	s_addc_u32 s12, s4, 0
	s_add_i32 s6, s6, s9
	s_cmp_lg_u32 s3, 0
	v_readfirstlane_b32 s3, v2
	s_subb_u32 s6, s21, s6
	s_cmp_lg_u32 s10, 0
	s_subb_u32 s9, s6, 0
	s_delay_alu instid0(VALU_DEP_1) | instskip(SKIP_4) | instid1(SALU_CYCLE_1)
	s_cmpk_gt_u32 s3, 0xb7f
	s_cselect_b32 s3, -1, 0
	s_cmp_eq_u32 s9, 0
	v_readfirstlane_b32 s9, v1
	s_cselect_b32 s3, s3, -1
	s_cmp_lg_u32 s3, 0
	s_cselect_b32 s10, s11, s2
	s_cselect_b32 s7, s12, s7
	s_cmpk_gt_u32 s9, 0xb7f
	s_mul_i32 s12, s15, 0xb80
	s_cselect_b32 s2, -1, 0
	s_cmp_eq_u32 s6, 0
	s_cselect_b32 s2, s2, -1
	s_delay_alu instid0(SALU_CYCLE_1)
	s_cmp_lg_u32 s2, 0
	s_load_b128 s[0:3], s[0:1], 0x30
	s_cselect_b32 s6, s7, s4
	s_cselect_b32 s7, s10, s5
	s_mul_i32 s4, s6, 0xb80
	s_mul_hi_u32 s5, s7, 0xb80
	s_mul_i32 s9, s7, 0xb80
	s_add_i32 s5, s5, s4
	s_sub_u32 s4, s20, s9
	s_subb_u32 s5, s21, s5
	s_mov_b32 s9, 0
	s_cmp_lg_u64 s[4:5], 0
	s_cselect_b32 s4, -1, 0
	s_delay_alu instid0(SALU_CYCLE_1) | instskip(NEXT) | instid1(VALU_DEP_1)
	v_cndmask_b32_e64 v1, 0, 1, s4
	v_readfirstlane_b32 s4, v1
	s_delay_alu instid0(VALU_DEP_1)
	s_add_u32 s4, s7, s4
	s_addc_u32 s5, s6, 0
	s_waitcnt lgkmcnt(0)
	s_add_u32 s6, s2, s15
	s_addc_u32 s7, s3, 0
	s_add_u32 s10, s4, -1
	s_addc_u32 s11, s5, -1
	s_delay_alu instid0(SALU_CYCLE_1) | instskip(NEXT) | instid1(VALU_DEP_1)
	v_cmp_ge_u64_e64 s21, s[6:7], s[10:11]
	s_and_b32 vcc_lo, exec_lo, s21
	s_cbranch_vccz .LBB856_48
; %bb.1:
	s_mov_b32 s13, s9
	s_mul_i32 s18, s10, 0xfffff480
	s_lshl_b64 s[14:15], s[12:13], 1
	s_add_i32 s18, s18, s20
	s_add_u32 s14, s16, s14
	s_addc_u32 s15, s17, s15
	s_mov_b32 s13, exec_lo
                                        ; implicit-def: $vgpr1
	v_cmpx_gt_u32_e64 s18, v0
	s_cbranch_execz .LBB856_3
; %bb.2:
	v_lshlrev_b32_e32 v1, 1, v0
	global_load_u16 v1, v1, s[14:15]
.LBB856_3:
	s_or_b32 exec_lo, exec_lo, s13
	v_or_b32_e32 v2, 0x80, v0
	s_delay_alu instid0(VALU_DEP_1)
	v_cmp_gt_u32_e32 vcc_lo, s18, v2
                                        ; implicit-def: $vgpr2
	s_and_saveexec_b32 s13, vcc_lo
	s_cbranch_execz .LBB856_5
; %bb.4:
	v_lshlrev_b32_e32 v2, 1, v0
	global_load_u16 v2, v2, s[14:15] offset:256
.LBB856_5:
	s_or_b32 exec_lo, exec_lo, s13
	v_or_b32_e32 v3, 0x100, v0
	s_delay_alu instid0(VALU_DEP_1)
	v_cmp_gt_u32_e32 vcc_lo, s18, v3
                                        ; implicit-def: $vgpr3
	s_and_saveexec_b32 s13, vcc_lo
	s_cbranch_execz .LBB856_7
; %bb.6:
	v_lshlrev_b32_e32 v3, 1, v0
	global_load_u16 v3, v3, s[14:15] offset:512
.LBB856_7:
	s_or_b32 exec_lo, exec_lo, s13
	v_or_b32_e32 v4, 0x180, v0
	s_delay_alu instid0(VALU_DEP_1)
	v_cmp_gt_u32_e32 vcc_lo, s18, v4
                                        ; implicit-def: $vgpr4
	s_and_saveexec_b32 s13, vcc_lo
	s_cbranch_execz .LBB856_9
; %bb.8:
	v_lshlrev_b32_e32 v4, 1, v0
	global_load_u16 v4, v4, s[14:15] offset:768
.LBB856_9:
	s_or_b32 exec_lo, exec_lo, s13
	v_or_b32_e32 v5, 0x200, v0
	s_delay_alu instid0(VALU_DEP_1)
	v_cmp_gt_u32_e32 vcc_lo, s18, v5
                                        ; implicit-def: $vgpr5
	s_and_saveexec_b32 s13, vcc_lo
	s_cbranch_execz .LBB856_11
; %bb.10:
	v_lshlrev_b32_e32 v5, 1, v0
	global_load_u16 v5, v5, s[14:15] offset:1024
.LBB856_11:
	s_or_b32 exec_lo, exec_lo, s13
	v_or_b32_e32 v6, 0x280, v0
	s_delay_alu instid0(VALU_DEP_1)
	v_cmp_gt_u32_e32 vcc_lo, s18, v6
                                        ; implicit-def: $vgpr6
	s_and_saveexec_b32 s13, vcc_lo
	s_cbranch_execz .LBB856_13
; %bb.12:
	v_lshlrev_b32_e32 v6, 1, v0
	global_load_u16 v6, v6, s[14:15] offset:1280
.LBB856_13:
	s_or_b32 exec_lo, exec_lo, s13
	v_or_b32_e32 v7, 0x300, v0
	s_delay_alu instid0(VALU_DEP_1)
	v_cmp_gt_u32_e32 vcc_lo, s18, v7
                                        ; implicit-def: $vgpr7
	s_and_saveexec_b32 s13, vcc_lo
	s_cbranch_execz .LBB856_15
; %bb.14:
	v_lshlrev_b32_e32 v7, 1, v0
	global_load_u16 v7, v7, s[14:15] offset:1536
.LBB856_15:
	s_or_b32 exec_lo, exec_lo, s13
	v_or_b32_e32 v8, 0x380, v0
	s_delay_alu instid0(VALU_DEP_1)
	v_cmp_gt_u32_e32 vcc_lo, s18, v8
                                        ; implicit-def: $vgpr8
	s_and_saveexec_b32 s13, vcc_lo
	s_cbranch_execz .LBB856_17
; %bb.16:
	v_lshlrev_b32_e32 v8, 1, v0
	global_load_u16 v8, v8, s[14:15] offset:1792
.LBB856_17:
	s_or_b32 exec_lo, exec_lo, s13
	v_or_b32_e32 v9, 0x400, v0
	s_delay_alu instid0(VALU_DEP_1)
	v_cmp_gt_u32_e32 vcc_lo, s18, v9
                                        ; implicit-def: $vgpr9
	s_and_saveexec_b32 s13, vcc_lo
	s_cbranch_execz .LBB856_19
; %bb.18:
	v_lshlrev_b32_e32 v9, 1, v0
	global_load_u16 v9, v9, s[14:15] offset:2048
.LBB856_19:
	s_or_b32 exec_lo, exec_lo, s13
	v_or_b32_e32 v10, 0x480, v0
	s_delay_alu instid0(VALU_DEP_1)
	v_cmp_gt_u32_e32 vcc_lo, s18, v10
                                        ; implicit-def: $vgpr10
	s_and_saveexec_b32 s13, vcc_lo
	s_cbranch_execz .LBB856_21
; %bb.20:
	v_lshlrev_b32_e32 v10, 1, v0
	global_load_u16 v10, v10, s[14:15] offset:2304
.LBB856_21:
	s_or_b32 exec_lo, exec_lo, s13
	v_or_b32_e32 v11, 0x500, v0
	s_delay_alu instid0(VALU_DEP_1)
	v_cmp_gt_u32_e32 vcc_lo, s18, v11
                                        ; implicit-def: $vgpr11
	s_and_saveexec_b32 s13, vcc_lo
	s_cbranch_execz .LBB856_23
; %bb.22:
	v_lshlrev_b32_e32 v11, 1, v0
	global_load_u16 v11, v11, s[14:15] offset:2560
.LBB856_23:
	s_or_b32 exec_lo, exec_lo, s13
	v_or_b32_e32 v12, 0x580, v0
	s_delay_alu instid0(VALU_DEP_1)
	v_cmp_gt_u32_e32 vcc_lo, s18, v12
                                        ; implicit-def: $vgpr12
	s_and_saveexec_b32 s13, vcc_lo
	s_cbranch_execz .LBB856_25
; %bb.24:
	v_lshlrev_b32_e32 v12, 1, v0
	global_load_u16 v12, v12, s[14:15] offset:2816
.LBB856_25:
	s_or_b32 exec_lo, exec_lo, s13
	v_or_b32_e32 v13, 0x600, v0
	s_delay_alu instid0(VALU_DEP_1)
	v_cmp_gt_u32_e32 vcc_lo, s18, v13
                                        ; implicit-def: $vgpr13
	s_and_saveexec_b32 s13, vcc_lo
	s_cbranch_execz .LBB856_27
; %bb.26:
	v_lshlrev_b32_e32 v13, 1, v0
	global_load_u16 v13, v13, s[14:15] offset:3072
.LBB856_27:
	s_or_b32 exec_lo, exec_lo, s13
	v_or_b32_e32 v14, 0x680, v0
	s_delay_alu instid0(VALU_DEP_1)
	v_cmp_gt_u32_e32 vcc_lo, s18, v14
                                        ; implicit-def: $vgpr14
	s_and_saveexec_b32 s13, vcc_lo
	s_cbranch_execz .LBB856_29
; %bb.28:
	v_lshlrev_b32_e32 v14, 1, v0
	global_load_u16 v14, v14, s[14:15] offset:3328
.LBB856_29:
	s_or_b32 exec_lo, exec_lo, s13
	v_or_b32_e32 v15, 0x700, v0
	s_delay_alu instid0(VALU_DEP_1)
	v_cmp_gt_u32_e32 vcc_lo, s18, v15
                                        ; implicit-def: $vgpr15
	s_and_saveexec_b32 s13, vcc_lo
	s_cbranch_execz .LBB856_31
; %bb.30:
	v_lshlrev_b32_e32 v15, 1, v0
	global_load_u16 v15, v15, s[14:15] offset:3584
.LBB856_31:
	s_or_b32 exec_lo, exec_lo, s13
	v_or_b32_e32 v16, 0x780, v0
	s_delay_alu instid0(VALU_DEP_1)
	v_cmp_gt_u32_e32 vcc_lo, s18, v16
                                        ; implicit-def: $vgpr16
	s_and_saveexec_b32 s13, vcc_lo
	s_cbranch_execz .LBB856_33
; %bb.32:
	v_lshlrev_b32_e32 v16, 1, v0
	global_load_u16 v16, v16, s[14:15] offset:3840
.LBB856_33:
	s_or_b32 exec_lo, exec_lo, s13
	v_or_b32_e32 v18, 0x800, v0
	s_mov_b32 s13, exec_lo
                                        ; implicit-def: $vgpr17
	s_delay_alu instid0(VALU_DEP_1)
	v_cmpx_gt_u32_e64 s18, v18
	s_cbranch_execz .LBB856_35
; %bb.34:
	v_lshlrev_b32_e32 v17, 1, v18
	global_load_u16 v17, v17, s[14:15]
.LBB856_35:
	s_or_b32 exec_lo, exec_lo, s13
	v_or_b32_e32 v19, 0x880, v0
	s_mov_b32 s13, exec_lo
                                        ; implicit-def: $vgpr18
	s_delay_alu instid0(VALU_DEP_1)
	v_cmpx_gt_u32_e64 s18, v19
	s_cbranch_execz .LBB856_37
; %bb.36:
	v_lshlrev_b32_e32 v18, 1, v19
	global_load_u16 v18, v18, s[14:15]
.LBB856_37:
	s_or_b32 exec_lo, exec_lo, s13
	v_or_b32_e32 v20, 0x900, v0
	s_mov_b32 s13, exec_lo
                                        ; implicit-def: $vgpr19
	s_delay_alu instid0(VALU_DEP_1)
	v_cmpx_gt_u32_e64 s18, v20
	s_cbranch_execz .LBB856_39
; %bb.38:
	v_lshlrev_b32_e32 v19, 1, v20
	global_load_u16 v19, v19, s[14:15]
.LBB856_39:
	s_or_b32 exec_lo, exec_lo, s13
	v_or_b32_e32 v21, 0x980, v0
	s_mov_b32 s13, exec_lo
                                        ; implicit-def: $vgpr20
	s_delay_alu instid0(VALU_DEP_1)
	v_cmpx_gt_u32_e64 s18, v21
	s_cbranch_execz .LBB856_41
; %bb.40:
	v_lshlrev_b32_e32 v20, 1, v21
	global_load_u16 v20, v20, s[14:15]
.LBB856_41:
	s_or_b32 exec_lo, exec_lo, s13
	v_or_b32_e32 v22, 0xa00, v0
	s_mov_b32 s13, exec_lo
                                        ; implicit-def: $vgpr21
	s_delay_alu instid0(VALU_DEP_1)
	v_cmpx_gt_u32_e64 s18, v22
	s_cbranch_execz .LBB856_43
; %bb.42:
	v_lshlrev_b32_e32 v21, 1, v22
	global_load_u16 v21, v21, s[14:15]
.LBB856_43:
	s_or_b32 exec_lo, exec_lo, s13
	v_or_b32_e32 v23, 0xa80, v0
	s_mov_b32 s13, exec_lo
                                        ; implicit-def: $vgpr22
	s_delay_alu instid0(VALU_DEP_1)
	v_cmpx_gt_u32_e64 s18, v23
	s_cbranch_execz .LBB856_45
; %bb.44:
	v_lshlrev_b32_e32 v22, 1, v23
	global_load_u16 v22, v22, s[14:15]
.LBB856_45:
	s_or_b32 exec_lo, exec_lo, s13
	v_or_b32_e32 v24, 0xb00, v0
	s_mov_b32 s13, exec_lo
                                        ; implicit-def: $vgpr23
	s_delay_alu instid0(VALU_DEP_1)
	v_cmpx_gt_u32_e64 s18, v24
	s_cbranch_execz .LBB856_47
; %bb.46:
	v_lshlrev_b32_e32 v23, 1, v24
	global_load_u16 v23, v23, s[14:15]
.LBB856_47:
	s_or_b32 exec_lo, exec_lo, s13
	v_lshlrev_b32_e32 v24, 1, v0
	s_mov_b32 s13, 0
	s_waitcnt vmcnt(0)
	ds_store_b16 v24, v1
	ds_store_b16 v24, v2 offset:256
	ds_store_b16 v24, v3 offset:512
	;; [unrolled: 1-line block ×22, first 2 shown]
	s_waitcnt lgkmcnt(0)
	s_barrier
.LBB856_48:
	v_lshlrev_b32_e32 v22, 1, v0
	s_and_b32 vcc_lo, exec_lo, s13
	s_cbranch_vccz .LBB856_50
; %bb.49:
	s_mov_b32 s13, 0
	s_delay_alu instid0(SALU_CYCLE_1) | instskip(NEXT) | instid1(SALU_CYCLE_1)
	s_lshl_b64 s[12:13], s[12:13], 1
	s_add_u32 s12, s16, s12
	s_addc_u32 s13, s17, s13
	v_add_co_u32 v1, s14, s12, v22
	s_delay_alu instid0(VALU_DEP_1)
	v_add_co_ci_u32_e64 v2, null, s13, 0, s14
	s_clause 0x8
	global_load_u16 v3, v22, s[12:13]
	global_load_u16 v4, v22, s[12:13] offset:256
	global_load_u16 v5, v22, s[12:13] offset:512
	global_load_u16 v6, v22, s[12:13] offset:768
	global_load_u16 v7, v22, s[12:13] offset:1024
	global_load_u16 v8, v22, s[12:13] offset:1280
	global_load_u16 v9, v22, s[12:13] offset:1536
	global_load_u16 v10, v22, s[12:13] offset:1792
	global_load_u16 v11, v22, s[12:13] offset:2048
	v_add_co_u32 v1, vcc_lo, 0x1000, v1
	v_add_co_ci_u32_e32 v2, vcc_lo, 0, v2, vcc_lo
	s_clause 0xd
	global_load_u16 v12, v22, s[12:13] offset:2304
	global_load_u16 v13, v22, s[12:13] offset:2560
	;; [unrolled: 1-line block ×7, first 2 shown]
	global_load_u16 v19, v[1:2], off
	global_load_u16 v20, v[1:2], off offset:256
	global_load_u16 v21, v[1:2], off offset:512
	;; [unrolled: 1-line block ×6, first 2 shown]
	s_waitcnt vmcnt(22)
	ds_store_b16 v22, v3
	s_waitcnt vmcnt(21)
	ds_store_b16 v22, v4 offset:256
	s_waitcnt vmcnt(20)
	ds_store_b16 v22, v5 offset:512
	s_waitcnt vmcnt(19)
	ds_store_b16 v22, v6 offset:768
	s_waitcnt vmcnt(18)
	ds_store_b16 v22, v7 offset:1024
	s_waitcnt vmcnt(17)
	ds_store_b16 v22, v8 offset:1280
	s_waitcnt vmcnt(16)
	ds_store_b16 v22, v9 offset:1536
	s_waitcnt vmcnt(15)
	ds_store_b16 v22, v10 offset:1792
	s_waitcnt vmcnt(14)
	ds_store_b16 v22, v11 offset:2048
	s_waitcnt vmcnt(13)
	ds_store_b16 v22, v12 offset:2304
	s_waitcnt vmcnt(12)
	ds_store_b16 v22, v13 offset:2560
	s_waitcnt vmcnt(11)
	ds_store_b16 v22, v14 offset:2816
	s_waitcnt vmcnt(10)
	ds_store_b16 v22, v15 offset:3072
	s_waitcnt vmcnt(9)
	ds_store_b16 v22, v16 offset:3328
	s_waitcnt vmcnt(8)
	ds_store_b16 v22, v17 offset:3584
	s_waitcnt vmcnt(7)
	ds_store_b16 v22, v18 offset:3840
	s_waitcnt vmcnt(6)
	ds_store_b16 v22, v19 offset:4096
	s_waitcnt vmcnt(5)
	ds_store_b16 v22, v20 offset:4352
	s_waitcnt vmcnt(4)
	ds_store_b16 v22, v21 offset:4608
	s_waitcnt vmcnt(3)
	ds_store_b16 v22, v23 offset:4864
	s_waitcnt vmcnt(2)
	ds_store_b16 v22, v24 offset:5120
	s_waitcnt vmcnt(1)
	ds_store_b16 v22, v25 offset:5376
	s_waitcnt vmcnt(0)
	ds_store_b16 v22, v1 offset:5632
	s_waitcnt lgkmcnt(0)
	s_barrier
.LBB856_50:
	v_mul_u32_u24_e32 v1, 23, v0
	buffer_gl0_inv
	s_cmp_eq_u64 s[6:7], 0
	v_lshlrev_b32_e32 v12, 1, v1
	ds_load_b96 v[9:11], v12 offset:32
	ds_load_b128 v[5:8], v12
	ds_load_b128 v[1:4], v12 offset:16
	ds_load_u16 v12, v12 offset:44
	s_waitcnt lgkmcnt(0)
	s_barrier
	buffer_gl0_inv
	v_lshrrev_b32_e32 v13, 16, v9
	v_lshrrev_b32_e32 v14, 16, v10
	;; [unrolled: 1-line block ×3, first 2 shown]
	v_alignbit_b32 v16, v7, v6, 16
	v_alignbit_b32 v6, v6, v5, 16
	v_lshrrev_b32_e32 v7, 16, v7
	v_lshrrev_b32_e32 v17, 16, v8
	;; [unrolled: 1-line block ×6, first 2 shown]
	s_cbranch_scc1 .LBB856_55
; %bb.51:
	s_lshl_b64 s[2:3], s[2:3], 1
	v_mov_b32_e32 v23, 0
	s_add_u32 s2, s0, s2
	s_addc_u32 s3, s1, s3
	s_lshl_b64 s[0:1], s[8:9], 1
	s_delay_alu instid0(SALU_CYCLE_1)
	s_add_u32 s0, s2, s0
	s_addc_u32 s1, s3, s1
	s_cmp_eq_u64 s[6:7], s[10:11]
	global_load_u16 v44, v23, s[0:1] offset:-2
	s_cbranch_scc1 .LBB856_56
; %bb.52:
	s_waitcnt vmcnt(0)
	v_mov_b32_e32 v23, v44
	s_mov_b32 s0, 0
	s_mov_b32 s1, exec_lo
	ds_store_b16 v22, v12
	s_waitcnt lgkmcnt(0)
	s_barrier
	buffer_gl0_inv
	v_cmpx_ne_u32_e32 0, v0
	s_cbranch_execz .LBB856_54
; %bb.53:
	v_add_nc_u32_e32 v23, -2, v22
	ds_load_u16 v23, v23
.LBB856_54:
	s_or_b32 exec_lo, exec_lo, s1
	s_waitcnt lgkmcnt(0)
	v_sub_nc_u16 v23, v5, v23
	v_perm_b32 v24, v6, v5, 0x5040100
	v_alignbit_b32 v25, v16, v6, 16
	v_lshrrev_b32_e32 v26, 16, v16
	s_branch .LBB856_57
.LBB856_55:
                                        ; implicit-def: $vgpr25
                                        ; implicit-def: $vgpr24
                                        ; implicit-def: $vgpr23
                                        ; implicit-def: $vgpr26
                                        ; implicit-def: $vgpr43
                                        ; implicit-def: $vgpr42
                                        ; implicit-def: $vgpr41
                                        ; implicit-def: $vgpr40
                                        ; implicit-def: $vgpr39
                                        ; implicit-def: $vgpr38
                                        ; implicit-def: $vgpr37
                                        ; implicit-def: $vgpr36
                                        ; implicit-def: $vgpr35
                                        ; implicit-def: $vgpr34
                                        ; implicit-def: $vgpr33
                                        ; implicit-def: $vgpr32
                                        ; implicit-def: $vgpr31
                                        ; implicit-def: $vgpr30
                                        ; implicit-def: $vgpr29
                                        ; implicit-def: $vgpr28
                                        ; implicit-def: $vgpr27
	s_branch .LBB856_62
.LBB856_56:
	s_mov_b32 s0, -1
                                        ; implicit-def: $vgpr25
                                        ; implicit-def: $vgpr24
                                        ; implicit-def: $vgpr23
                                        ; implicit-def: $vgpr26
.LBB856_57:
	v_dual_mov_b32 v43, v7 :: v_dual_mov_b32 v42, v8
	v_dual_mov_b32 v41, v17 :: v_dual_mov_b32 v38, v2
	v_dual_mov_b32 v40, v1 :: v_dual_mov_b32 v39, v18
	v_dual_mov_b32 v37, v19 :: v_dual_mov_b32 v34, v4
	v_dual_mov_b32 v36, v3 :: v_dual_mov_b32 v35, v20
	v_dual_mov_b32 v33, v21 :: v_dual_mov_b32 v30, v10
	v_dual_mov_b32 v32, v9 :: v_dual_mov_b32 v29, v14
	v_dual_mov_b32 v31, v13 :: v_dual_mov_b32 v28, v11
	v_mov_b32_e32 v27, v15
	s_and_b32 vcc_lo, exec_lo, s0
	s_cbranch_vccz .LBB856_61
; %bb.58:
	v_mul_u32_u24_e32 v23, 23, v0
	s_mov_b32 s0, exec_lo
	ds_store_b16 v22, v12
	s_waitcnt vmcnt(0) lgkmcnt(0)
	s_barrier
	buffer_gl0_inv
	v_cmpx_ne_u32_e32 0, v0
	s_cbranch_execz .LBB856_60
; %bb.59:
	v_add_nc_u32_e32 v24, -2, v22
	ds_load_u16 v44, v24
.LBB856_60:
	s_or_b32 exec_lo, exec_lo, s0
	v_add_nc_u32_e32 v24, 22, v23
	s_mul_i32 s0, s6, 0xfffff480
	v_add_nc_u32_e32 v25, 21, v23
	s_add_i32 s0, s0, s20
	v_add_nc_u32_e32 v26, 19, v23
	v_cmp_gt_u32_e32 vcc_lo, s0, v24
	v_add_nc_u32_e32 v24, 20, v23
	v_lshrrev_b32_e32 v45, 16, v6
	v_add_nc_u32_e32 v46, 1, v23
	v_add_nc_u32_e32 v48, 2, v23
	v_cndmask_b32_e32 v27, 0, v15, vcc_lo
	v_cmp_gt_u32_e32 vcc_lo, s0, v25
	v_add_nc_u32_e32 v25, 18, v23
	v_cndmask_b32_e32 v28, 0, v11, vcc_lo
	v_cmp_gt_u32_e32 vcc_lo, s0, v24
	v_dual_cndmask_b32 v29, 0, v14 :: v_dual_add_nc_u32 v24, 17, v23
	v_cmp_gt_u32_e32 vcc_lo, s0, v26
	v_add_nc_u32_e32 v26, 15, v23
	v_cndmask_b32_e32 v30, 0, v10, vcc_lo
	v_cmp_gt_u32_e32 vcc_lo, s0, v25
	v_add_nc_u32_e32 v25, 16, v23
	v_cndmask_b32_e32 v31, 0, v13, vcc_lo
	;; [unrolled: 3-line block ×5, first 2 shown]
	v_cmp_gt_u32_e32 vcc_lo, s0, v24
	v_dual_cndmask_b32 v35, 0, v20 :: v_dual_add_nc_u32 v24, 12, v23
	v_cmp_gt_u32_e32 vcc_lo, s0, v25
	v_add_nc_u32_e32 v25, 10, v23
	v_cndmask_b32_e32 v36, 0, v3, vcc_lo
	s_delay_alu instid0(VALU_DEP_4)
	v_cmp_gt_u32_e32 vcc_lo, s0, v24
	v_add_nc_u32_e32 v24, 9, v23
	v_cndmask_b32_e32 v37, 0, v19, vcc_lo
	v_cmp_gt_u32_e32 vcc_lo, s0, v26
	v_add_nc_u32_e32 v26, 7, v23
	v_cndmask_b32_e32 v38, 0, v2, vcc_lo
	;; [unrolled: 3-line block ×4, first 2 shown]
	v_cmp_gt_u32_e32 vcc_lo, s0, v25
	v_lshrrev_b32_e32 v25, 16, v16
	v_add_nc_u32_e32 v47, 4, v23
	v_cndmask_b32_e32 v41, 0, v17, vcc_lo
	v_cmp_gt_u32_e32 vcc_lo, s0, v26
	v_add_nc_u32_e32 v26, 3, v23
	v_cndmask_b32_e32 v42, 0, v8, vcc_lo
	v_cmp_gt_u32_e32 vcc_lo, s0, v24
	;; [unrolled: 3-line block ×3, first 2 shown]
	v_cndmask_b32_e32 v45, 0, v45, vcc_lo
	v_cmp_gt_u32_e32 vcc_lo, s0, v46
	v_cndmask_b32_e32 v46, 0, v5, vcc_lo
	v_cmp_gt_u32_e32 vcc_lo, s0, v48
	;; [unrolled: 2-line block ×3, first 2 shown]
	s_waitcnt lgkmcnt(0)
	v_cndmask_b32_e32 v23, 0, v44, vcc_lo
	v_cmp_gt_u32_e32 vcc_lo, s0, v47
	s_delay_alu instid0(VALU_DEP_2) | instskip(SKIP_4) | instid1(VALU_DEP_4)
	v_sub_nc_u16 v23, v5, v23
	v_cndmask_b32_e32 v44, 0, v16, vcc_lo
	v_cmp_gt_u32_e32 vcc_lo, s0, v24
	v_perm_b32 v24, v48, v46, 0x5040100
	v_cndmask_b32_e32 v26, 0, v25, vcc_lo
	v_perm_b32 v25, v44, v45, 0x5040100
.LBB856_61:
	s_cbranch_execnz .LBB856_72
.LBB856_62:
	v_cmp_ne_u32_e32 vcc_lo, 0, v0
	s_cmp_eq_u64 s[4:5], 1
	s_cbranch_scc1 .LBB856_66
; %bb.63:
	s_waitcnt vmcnt(0)
	v_dual_mov_b32 v44, 0 :: v_dual_mov_b32 v23, v5
	s_mov_b32 s0, 0
	ds_store_b16 v22, v12
	s_waitcnt lgkmcnt(0)
	s_barrier
	buffer_gl0_inv
	s_and_saveexec_b32 s1, vcc_lo
	s_cbranch_execz .LBB856_65
; %bb.64:
	v_dual_mov_b32 v44, v0 :: v_dual_add_nc_u32 v23, -2, v22
	ds_load_u16 v23, v23
	s_waitcnt lgkmcnt(0)
	v_sub_nc_u16 v23, v5, v23
.LBB856_65:
	s_or_b32 exec_lo, exec_lo, s1
	v_perm_b32 v24, v6, v5, 0x5040100
	v_alignbit_b32 v25, v16, v6, 16
	v_lshrrev_b32_e32 v26, 16, v16
	s_branch .LBB856_67
.LBB856_66:
	s_mov_b32 s0, -1
                                        ; implicit-def: $vgpr25
                                        ; implicit-def: $vgpr24
                                        ; implicit-def: $vgpr23
                                        ; implicit-def: $vgpr26
                                        ; implicit-def: $vgpr44
.LBB856_67:
	v_dual_mov_b32 v43, v7 :: v_dual_mov_b32 v42, v8
	v_dual_mov_b32 v41, v17 :: v_dual_mov_b32 v38, v2
	;; [unrolled: 1-line block ×8, first 2 shown]
	v_mov_b32_e32 v27, v15
	s_and_not1_b32 vcc_lo, exec_lo, s0
	s_cbranch_vccnz .LBB856_71
; %bb.68:
	v_mad_u32_u24 v24, v0, 23, 21
	v_mad_u32_u24 v25, v0, 23, 20
	;; [unrolled: 1-line block ×5, first 2 shown]
	v_cmp_gt_u32_e64 s0, s20, v24
	v_mad_u32_u24 v24, v0, 23, 18
	v_cmp_gt_u32_e64 s1, s20, v25
	v_mad_u32_u24 v25, v0, 23, 17
	;; [unrolled: 2-line block ×4, first 2 shown]
	v_cmp_gt_u32_e64 s4, s20, v25
	v_cmp_gt_u32_e64 s6, s20, v28
	v_mad_u32_u24 v25, v0, 23, 12
	v_mad_u32_u24 v28, v0, 23, 10
	v_cmp_gt_u32_e64 s8, s20, v24
	v_mad_u32_u24 v24, v0, 23, 8
	v_cmp_gt_u32_e64 s10, s20, v27
	;; [unrolled: 2-line block ×3, first 2 shown]
	v_cmp_gt_u32_e64 s11, s20, v28
	v_cmp_gt_u32_e64 s13, s20, v24
	v_mad_u32_u24 v24, v0, 23, 4
	v_mad_u32_u24 v25, v0, 23, 7
	;; [unrolled: 1-line block ×3, first 2 shown]
	v_cmp_gt_u32_e64 s15, s20, v27
	v_mad_u32_u24 v27, v0, 23, 3
	v_cmp_gt_u32_e64 s17, s20, v24
	v_cmp_gt_u32_e32 vcc_lo, s20, v23
	v_mad_u32_u24 v23, v0, 23, 19
	v_cmp_gt_u32_e64 s14, s20, v25
	v_cmp_gt_u32_e64 s16, s20, v28
	v_mad_u32_u24 v28, v0, 23, 1
	v_lshrrev_b32_e32 v29, 16, v6
	v_cndmask_b32_e64 v25, 0, v16, s17
	v_cmp_gt_u32_e64 s17, s20, v27
	v_cmp_gt_u32_e64 s2, s20, v23
	v_mad_u32_u24 v23, v0, 23, 14
	v_mad_u32_u24 v30, v0, 23, 2
	v_mul_u32_u24_e32 v26, 23, v0
	s_waitcnt vmcnt(0)
	v_cndmask_b32_e64 v44, 0, v29, s17
	v_cmp_gt_u32_e64 s17, s20, v28
	v_cmp_gt_u32_e64 s7, s20, v23
	v_mad_u32_u24 v23, v0, 23, 9
	v_cmp_gt_u32_e64 s19, s20, v30
	v_cmp_gt_u32_e64 s18, s20, v26
	v_cndmask_b32_e64 v24, 0, v5, s17
	v_cmp_ne_u32_e64 s17, 0, v0
	v_cmp_gt_u32_e64 s12, s20, v23
	v_lshrrev_b32_e32 v23, 16, v16
	v_cndmask_b32_e64 v45, 0, v6, s19
	ds_store_b16 v22, v12
	s_and_b32 s18, s17, s18
	s_waitcnt lgkmcnt(0)
	s_barrier
	buffer_gl0_inv
	s_and_saveexec_b32 s17, s18
	s_cbranch_execz .LBB856_70
; %bb.69:
	v_add_nc_u32_e32 v22, -2, v22
	ds_load_u16 v22, v22
	s_waitcnt lgkmcnt(0)
	v_sub_nc_u16 v5, v5, v22
.LBB856_70:
	s_or_b32 exec_lo, exec_lo, s17
	v_cndmask_b32_e32 v27, 0, v15, vcc_lo
	v_cndmask_b32_e64 v28, 0, v11, s0
	v_cndmask_b32_e64 v29, 0, v14, s1
	;; [unrolled: 1-line block ×17, first 2 shown]
	v_perm_b32 v24, v45, v24, 0x5040100
	v_perm_b32 v25, v25, v44, 0x5040100
	v_dual_mov_b32 v44, v0 :: v_dual_mov_b32 v23, v5
.LBB856_71:
	s_waitcnt vmcnt(0)
	s_delay_alu instid0(VALU_DEP_1)
	v_mov_b32_e32 v0, v44
.LBB856_72:
	s_delay_alu instid0(VALU_DEP_1)
	v_pk_sub_i16 v5, v16, v25
	v_pk_sub_i16 v6, v6, v24
	v_sub_nc_u16 v7, v7, v26
	v_sub_nc_u16 v8, v8, v43
	;; [unrolled: 1-line block ×17, first 2 shown]
	v_mul_u32_u24_e32 v15, 46, v0
	v_perm_b32 v3, v16, v8, 0x5040100
	v_alignbit_b32 v2, v7, v5, 16
	v_alignbit_b32 v1, v5, v6, 16
	v_perm_b32 v0, v6, v23, 0x5040100
	v_perm_b32 v7, v21, v4, 0x5040100
	;; [unrolled: 1-line block ×8, first 2 shown]
	v_sub_nc_u16 v12, v12, v27
	s_and_b32 vcc_lo, exec_lo, s21
	s_mov_b32 s0, -1
	s_waitcnt vmcnt(0)
	s_barrier
	buffer_gl0_inv
	ds_store_b128 v15, v[0:3]
	ds_store_b128 v15, v[4:7] offset:16
	ds_store_b96 v15, v[8:10] offset:32
	ds_store_b16 v15, v12 offset:44
	s_waitcnt lgkmcnt(0)
	s_cbranch_vccnz .LBB856_75
; %bb.73:
	s_and_not1_b32 vcc_lo, exec_lo, s0
	s_cbranch_vccz .LBB856_76
.LBB856_74:
	buffer_gl0_inv
	s_endpgm
.LBB856_75:
	s_barrier
	s_cbranch_execnz .LBB856_74
.LBB856_76:
	s_barrier
	buffer_gl0_inv
	s_endpgm
	.section	.rodata,"a",@progbits
	.p2align	6, 0x0
	.amdhsa_kernel _ZN7rocprim17ROCPRIM_400000_NS6detail17trampoline_kernelINS0_14default_configENS1_35adjacent_difference_config_selectorILb1EtEEZNS1_24adjacent_difference_implIS3_Lb1ELb0EPtN6thrust23THRUST_200600_302600_NS16discard_iteratorINS9_11use_defaultEEENS9_5minusItEEEE10hipError_tPvRmT2_T3_mT4_P12ihipStream_tbEUlT_E_NS1_11comp_targetILNS1_3genE9ELNS1_11target_archE1100ELNS1_3gpuE3ELNS1_3repE0EEENS1_30default_config_static_selectorELNS0_4arch9wavefront6targetE0EEEvT1_
		.amdhsa_group_segment_fixed_size 5888
		.amdhsa_private_segment_fixed_size 0
		.amdhsa_kernarg_size 64
		.amdhsa_user_sgpr_count 15
		.amdhsa_user_sgpr_dispatch_ptr 0
		.amdhsa_user_sgpr_queue_ptr 0
		.amdhsa_user_sgpr_kernarg_segment_ptr 1
		.amdhsa_user_sgpr_dispatch_id 0
		.amdhsa_user_sgpr_private_segment_size 0
		.amdhsa_wavefront_size32 1
		.amdhsa_uses_dynamic_stack 0
		.amdhsa_enable_private_segment 0
		.amdhsa_system_sgpr_workgroup_id_x 1
		.amdhsa_system_sgpr_workgroup_id_y 0
		.amdhsa_system_sgpr_workgroup_id_z 0
		.amdhsa_system_sgpr_workgroup_info 0
		.amdhsa_system_vgpr_workitem_id 0
		.amdhsa_next_free_vgpr 49
		.amdhsa_next_free_sgpr 22
		.amdhsa_reserve_vcc 1
		.amdhsa_float_round_mode_32 0
		.amdhsa_float_round_mode_16_64 0
		.amdhsa_float_denorm_mode_32 3
		.amdhsa_float_denorm_mode_16_64 3
		.amdhsa_dx10_clamp 1
		.amdhsa_ieee_mode 1
		.amdhsa_fp16_overflow 0
		.amdhsa_workgroup_processor_mode 1
		.amdhsa_memory_ordered 1
		.amdhsa_forward_progress 0
		.amdhsa_shared_vgpr_count 0
		.amdhsa_exception_fp_ieee_invalid_op 0
		.amdhsa_exception_fp_denorm_src 0
		.amdhsa_exception_fp_ieee_div_zero 0
		.amdhsa_exception_fp_ieee_overflow 0
		.amdhsa_exception_fp_ieee_underflow 0
		.amdhsa_exception_fp_ieee_inexact 0
		.amdhsa_exception_int_div_zero 0
	.end_amdhsa_kernel
	.section	.text._ZN7rocprim17ROCPRIM_400000_NS6detail17trampoline_kernelINS0_14default_configENS1_35adjacent_difference_config_selectorILb1EtEEZNS1_24adjacent_difference_implIS3_Lb1ELb0EPtN6thrust23THRUST_200600_302600_NS16discard_iteratorINS9_11use_defaultEEENS9_5minusItEEEE10hipError_tPvRmT2_T3_mT4_P12ihipStream_tbEUlT_E_NS1_11comp_targetILNS1_3genE9ELNS1_11target_archE1100ELNS1_3gpuE3ELNS1_3repE0EEENS1_30default_config_static_selectorELNS0_4arch9wavefront6targetE0EEEvT1_,"axG",@progbits,_ZN7rocprim17ROCPRIM_400000_NS6detail17trampoline_kernelINS0_14default_configENS1_35adjacent_difference_config_selectorILb1EtEEZNS1_24adjacent_difference_implIS3_Lb1ELb0EPtN6thrust23THRUST_200600_302600_NS16discard_iteratorINS9_11use_defaultEEENS9_5minusItEEEE10hipError_tPvRmT2_T3_mT4_P12ihipStream_tbEUlT_E_NS1_11comp_targetILNS1_3genE9ELNS1_11target_archE1100ELNS1_3gpuE3ELNS1_3repE0EEENS1_30default_config_static_selectorELNS0_4arch9wavefront6targetE0EEEvT1_,comdat
.Lfunc_end856:
	.size	_ZN7rocprim17ROCPRIM_400000_NS6detail17trampoline_kernelINS0_14default_configENS1_35adjacent_difference_config_selectorILb1EtEEZNS1_24adjacent_difference_implIS3_Lb1ELb0EPtN6thrust23THRUST_200600_302600_NS16discard_iteratorINS9_11use_defaultEEENS9_5minusItEEEE10hipError_tPvRmT2_T3_mT4_P12ihipStream_tbEUlT_E_NS1_11comp_targetILNS1_3genE9ELNS1_11target_archE1100ELNS1_3gpuE3ELNS1_3repE0EEENS1_30default_config_static_selectorELNS0_4arch9wavefront6targetE0EEEvT1_, .Lfunc_end856-_ZN7rocprim17ROCPRIM_400000_NS6detail17trampoline_kernelINS0_14default_configENS1_35adjacent_difference_config_selectorILb1EtEEZNS1_24adjacent_difference_implIS3_Lb1ELb0EPtN6thrust23THRUST_200600_302600_NS16discard_iteratorINS9_11use_defaultEEENS9_5minusItEEEE10hipError_tPvRmT2_T3_mT4_P12ihipStream_tbEUlT_E_NS1_11comp_targetILNS1_3genE9ELNS1_11target_archE1100ELNS1_3gpuE3ELNS1_3repE0EEENS1_30default_config_static_selectorELNS0_4arch9wavefront6targetE0EEEvT1_
                                        ; -- End function
	.section	.AMDGPU.csdata,"",@progbits
; Kernel info:
; codeLenInByte = 4256
; NumSgprs: 24
; NumVgprs: 49
; ScratchSize: 0
; MemoryBound: 0
; FloatMode: 240
; IeeeMode: 1
; LDSByteSize: 5888 bytes/workgroup (compile time only)
; SGPRBlocks: 2
; VGPRBlocks: 6
; NumSGPRsForWavesPerEU: 24
; NumVGPRsForWavesPerEU: 49
; Occupancy: 16
; WaveLimiterHint : 1
; COMPUTE_PGM_RSRC2:SCRATCH_EN: 0
; COMPUTE_PGM_RSRC2:USER_SGPR: 15
; COMPUTE_PGM_RSRC2:TRAP_HANDLER: 0
; COMPUTE_PGM_RSRC2:TGID_X_EN: 1
; COMPUTE_PGM_RSRC2:TGID_Y_EN: 0
; COMPUTE_PGM_RSRC2:TGID_Z_EN: 0
; COMPUTE_PGM_RSRC2:TIDIG_COMP_CNT: 0
	.section	.text._ZN7rocprim17ROCPRIM_400000_NS6detail17trampoline_kernelINS0_14default_configENS1_35adjacent_difference_config_selectorILb1EtEEZNS1_24adjacent_difference_implIS3_Lb1ELb0EPtN6thrust23THRUST_200600_302600_NS16discard_iteratorINS9_11use_defaultEEENS9_5minusItEEEE10hipError_tPvRmT2_T3_mT4_P12ihipStream_tbEUlT_E_NS1_11comp_targetILNS1_3genE8ELNS1_11target_archE1030ELNS1_3gpuE2ELNS1_3repE0EEENS1_30default_config_static_selectorELNS0_4arch9wavefront6targetE0EEEvT1_,"axG",@progbits,_ZN7rocprim17ROCPRIM_400000_NS6detail17trampoline_kernelINS0_14default_configENS1_35adjacent_difference_config_selectorILb1EtEEZNS1_24adjacent_difference_implIS3_Lb1ELb0EPtN6thrust23THRUST_200600_302600_NS16discard_iteratorINS9_11use_defaultEEENS9_5minusItEEEE10hipError_tPvRmT2_T3_mT4_P12ihipStream_tbEUlT_E_NS1_11comp_targetILNS1_3genE8ELNS1_11target_archE1030ELNS1_3gpuE2ELNS1_3repE0EEENS1_30default_config_static_selectorELNS0_4arch9wavefront6targetE0EEEvT1_,comdat
	.protected	_ZN7rocprim17ROCPRIM_400000_NS6detail17trampoline_kernelINS0_14default_configENS1_35adjacent_difference_config_selectorILb1EtEEZNS1_24adjacent_difference_implIS3_Lb1ELb0EPtN6thrust23THRUST_200600_302600_NS16discard_iteratorINS9_11use_defaultEEENS9_5minusItEEEE10hipError_tPvRmT2_T3_mT4_P12ihipStream_tbEUlT_E_NS1_11comp_targetILNS1_3genE8ELNS1_11target_archE1030ELNS1_3gpuE2ELNS1_3repE0EEENS1_30default_config_static_selectorELNS0_4arch9wavefront6targetE0EEEvT1_ ; -- Begin function _ZN7rocprim17ROCPRIM_400000_NS6detail17trampoline_kernelINS0_14default_configENS1_35adjacent_difference_config_selectorILb1EtEEZNS1_24adjacent_difference_implIS3_Lb1ELb0EPtN6thrust23THRUST_200600_302600_NS16discard_iteratorINS9_11use_defaultEEENS9_5minusItEEEE10hipError_tPvRmT2_T3_mT4_P12ihipStream_tbEUlT_E_NS1_11comp_targetILNS1_3genE8ELNS1_11target_archE1030ELNS1_3gpuE2ELNS1_3repE0EEENS1_30default_config_static_selectorELNS0_4arch9wavefront6targetE0EEEvT1_
	.globl	_ZN7rocprim17ROCPRIM_400000_NS6detail17trampoline_kernelINS0_14default_configENS1_35adjacent_difference_config_selectorILb1EtEEZNS1_24adjacent_difference_implIS3_Lb1ELb0EPtN6thrust23THRUST_200600_302600_NS16discard_iteratorINS9_11use_defaultEEENS9_5minusItEEEE10hipError_tPvRmT2_T3_mT4_P12ihipStream_tbEUlT_E_NS1_11comp_targetILNS1_3genE8ELNS1_11target_archE1030ELNS1_3gpuE2ELNS1_3repE0EEENS1_30default_config_static_selectorELNS0_4arch9wavefront6targetE0EEEvT1_
	.p2align	8
	.type	_ZN7rocprim17ROCPRIM_400000_NS6detail17trampoline_kernelINS0_14default_configENS1_35adjacent_difference_config_selectorILb1EtEEZNS1_24adjacent_difference_implIS3_Lb1ELb0EPtN6thrust23THRUST_200600_302600_NS16discard_iteratorINS9_11use_defaultEEENS9_5minusItEEEE10hipError_tPvRmT2_T3_mT4_P12ihipStream_tbEUlT_E_NS1_11comp_targetILNS1_3genE8ELNS1_11target_archE1030ELNS1_3gpuE2ELNS1_3repE0EEENS1_30default_config_static_selectorELNS0_4arch9wavefront6targetE0EEEvT1_,@function
_ZN7rocprim17ROCPRIM_400000_NS6detail17trampoline_kernelINS0_14default_configENS1_35adjacent_difference_config_selectorILb1EtEEZNS1_24adjacent_difference_implIS3_Lb1ELb0EPtN6thrust23THRUST_200600_302600_NS16discard_iteratorINS9_11use_defaultEEENS9_5minusItEEEE10hipError_tPvRmT2_T3_mT4_P12ihipStream_tbEUlT_E_NS1_11comp_targetILNS1_3genE8ELNS1_11target_archE1030ELNS1_3gpuE2ELNS1_3repE0EEENS1_30default_config_static_selectorELNS0_4arch9wavefront6targetE0EEEvT1_: ; @_ZN7rocprim17ROCPRIM_400000_NS6detail17trampoline_kernelINS0_14default_configENS1_35adjacent_difference_config_selectorILb1EtEEZNS1_24adjacent_difference_implIS3_Lb1ELb0EPtN6thrust23THRUST_200600_302600_NS16discard_iteratorINS9_11use_defaultEEENS9_5minusItEEEE10hipError_tPvRmT2_T3_mT4_P12ihipStream_tbEUlT_E_NS1_11comp_targetILNS1_3genE8ELNS1_11target_archE1030ELNS1_3gpuE2ELNS1_3repE0EEENS1_30default_config_static_selectorELNS0_4arch9wavefront6targetE0EEEvT1_
; %bb.0:
	.section	.rodata,"a",@progbits
	.p2align	6, 0x0
	.amdhsa_kernel _ZN7rocprim17ROCPRIM_400000_NS6detail17trampoline_kernelINS0_14default_configENS1_35adjacent_difference_config_selectorILb1EtEEZNS1_24adjacent_difference_implIS3_Lb1ELb0EPtN6thrust23THRUST_200600_302600_NS16discard_iteratorINS9_11use_defaultEEENS9_5minusItEEEE10hipError_tPvRmT2_T3_mT4_P12ihipStream_tbEUlT_E_NS1_11comp_targetILNS1_3genE8ELNS1_11target_archE1030ELNS1_3gpuE2ELNS1_3repE0EEENS1_30default_config_static_selectorELNS0_4arch9wavefront6targetE0EEEvT1_
		.amdhsa_group_segment_fixed_size 0
		.amdhsa_private_segment_fixed_size 0
		.amdhsa_kernarg_size 64
		.amdhsa_user_sgpr_count 15
		.amdhsa_user_sgpr_dispatch_ptr 0
		.amdhsa_user_sgpr_queue_ptr 0
		.amdhsa_user_sgpr_kernarg_segment_ptr 1
		.amdhsa_user_sgpr_dispatch_id 0
		.amdhsa_user_sgpr_private_segment_size 0
		.amdhsa_wavefront_size32 1
		.amdhsa_uses_dynamic_stack 0
		.amdhsa_enable_private_segment 0
		.amdhsa_system_sgpr_workgroup_id_x 1
		.amdhsa_system_sgpr_workgroup_id_y 0
		.amdhsa_system_sgpr_workgroup_id_z 0
		.amdhsa_system_sgpr_workgroup_info 0
		.amdhsa_system_vgpr_workitem_id 0
		.amdhsa_next_free_vgpr 1
		.amdhsa_next_free_sgpr 1
		.amdhsa_reserve_vcc 0
		.amdhsa_float_round_mode_32 0
		.amdhsa_float_round_mode_16_64 0
		.amdhsa_float_denorm_mode_32 3
		.amdhsa_float_denorm_mode_16_64 3
		.amdhsa_dx10_clamp 1
		.amdhsa_ieee_mode 1
		.amdhsa_fp16_overflow 0
		.amdhsa_workgroup_processor_mode 1
		.amdhsa_memory_ordered 1
		.amdhsa_forward_progress 0
		.amdhsa_shared_vgpr_count 0
		.amdhsa_exception_fp_ieee_invalid_op 0
		.amdhsa_exception_fp_denorm_src 0
		.amdhsa_exception_fp_ieee_div_zero 0
		.amdhsa_exception_fp_ieee_overflow 0
		.amdhsa_exception_fp_ieee_underflow 0
		.amdhsa_exception_fp_ieee_inexact 0
		.amdhsa_exception_int_div_zero 0
	.end_amdhsa_kernel
	.section	.text._ZN7rocprim17ROCPRIM_400000_NS6detail17trampoline_kernelINS0_14default_configENS1_35adjacent_difference_config_selectorILb1EtEEZNS1_24adjacent_difference_implIS3_Lb1ELb0EPtN6thrust23THRUST_200600_302600_NS16discard_iteratorINS9_11use_defaultEEENS9_5minusItEEEE10hipError_tPvRmT2_T3_mT4_P12ihipStream_tbEUlT_E_NS1_11comp_targetILNS1_3genE8ELNS1_11target_archE1030ELNS1_3gpuE2ELNS1_3repE0EEENS1_30default_config_static_selectorELNS0_4arch9wavefront6targetE0EEEvT1_,"axG",@progbits,_ZN7rocprim17ROCPRIM_400000_NS6detail17trampoline_kernelINS0_14default_configENS1_35adjacent_difference_config_selectorILb1EtEEZNS1_24adjacent_difference_implIS3_Lb1ELb0EPtN6thrust23THRUST_200600_302600_NS16discard_iteratorINS9_11use_defaultEEENS9_5minusItEEEE10hipError_tPvRmT2_T3_mT4_P12ihipStream_tbEUlT_E_NS1_11comp_targetILNS1_3genE8ELNS1_11target_archE1030ELNS1_3gpuE2ELNS1_3repE0EEENS1_30default_config_static_selectorELNS0_4arch9wavefront6targetE0EEEvT1_,comdat
.Lfunc_end857:
	.size	_ZN7rocprim17ROCPRIM_400000_NS6detail17trampoline_kernelINS0_14default_configENS1_35adjacent_difference_config_selectorILb1EtEEZNS1_24adjacent_difference_implIS3_Lb1ELb0EPtN6thrust23THRUST_200600_302600_NS16discard_iteratorINS9_11use_defaultEEENS9_5minusItEEEE10hipError_tPvRmT2_T3_mT4_P12ihipStream_tbEUlT_E_NS1_11comp_targetILNS1_3genE8ELNS1_11target_archE1030ELNS1_3gpuE2ELNS1_3repE0EEENS1_30default_config_static_selectorELNS0_4arch9wavefront6targetE0EEEvT1_, .Lfunc_end857-_ZN7rocprim17ROCPRIM_400000_NS6detail17trampoline_kernelINS0_14default_configENS1_35adjacent_difference_config_selectorILb1EtEEZNS1_24adjacent_difference_implIS3_Lb1ELb0EPtN6thrust23THRUST_200600_302600_NS16discard_iteratorINS9_11use_defaultEEENS9_5minusItEEEE10hipError_tPvRmT2_T3_mT4_P12ihipStream_tbEUlT_E_NS1_11comp_targetILNS1_3genE8ELNS1_11target_archE1030ELNS1_3gpuE2ELNS1_3repE0EEENS1_30default_config_static_selectorELNS0_4arch9wavefront6targetE0EEEvT1_
                                        ; -- End function
	.section	.AMDGPU.csdata,"",@progbits
; Kernel info:
; codeLenInByte = 0
; NumSgprs: 0
; NumVgprs: 0
; ScratchSize: 0
; MemoryBound: 0
; FloatMode: 240
; IeeeMode: 1
; LDSByteSize: 0 bytes/workgroup (compile time only)
; SGPRBlocks: 0
; VGPRBlocks: 0
; NumSGPRsForWavesPerEU: 1
; NumVGPRsForWavesPerEU: 1
; Occupancy: 16
; WaveLimiterHint : 0
; COMPUTE_PGM_RSRC2:SCRATCH_EN: 0
; COMPUTE_PGM_RSRC2:USER_SGPR: 15
; COMPUTE_PGM_RSRC2:TRAP_HANDLER: 0
; COMPUTE_PGM_RSRC2:TGID_X_EN: 1
; COMPUTE_PGM_RSRC2:TGID_Y_EN: 0
; COMPUTE_PGM_RSRC2:TGID_Z_EN: 0
; COMPUTE_PGM_RSRC2:TIDIG_COMP_CNT: 0
	.section	.text._ZN7rocprim17ROCPRIM_400000_NS6detail17trampoline_kernelINS0_14default_configENS1_25transform_config_selectorIxLb0EEEZNS1_14transform_implILb0ES3_S5_NS0_18transform_iteratorINS0_17counting_iteratorImlEEZNS1_24adjacent_difference_implIS3_Lb1ELb0EPxN6thrust23THRUST_200600_302600_NS16discard_iteratorINSD_11use_defaultEEENSD_5minusIxEEEE10hipError_tPvRmT2_T3_mT4_P12ihipStream_tbEUlmE_xEESB_NS0_8identityIvEEEESJ_SM_SN_mSO_SQ_bEUlT_E_NS1_11comp_targetILNS1_3genE0ELNS1_11target_archE4294967295ELNS1_3gpuE0ELNS1_3repE0EEENS1_30default_config_static_selectorELNS0_4arch9wavefront6targetE0EEEvT1_,"axG",@progbits,_ZN7rocprim17ROCPRIM_400000_NS6detail17trampoline_kernelINS0_14default_configENS1_25transform_config_selectorIxLb0EEEZNS1_14transform_implILb0ES3_S5_NS0_18transform_iteratorINS0_17counting_iteratorImlEEZNS1_24adjacent_difference_implIS3_Lb1ELb0EPxN6thrust23THRUST_200600_302600_NS16discard_iteratorINSD_11use_defaultEEENSD_5minusIxEEEE10hipError_tPvRmT2_T3_mT4_P12ihipStream_tbEUlmE_xEESB_NS0_8identityIvEEEESJ_SM_SN_mSO_SQ_bEUlT_E_NS1_11comp_targetILNS1_3genE0ELNS1_11target_archE4294967295ELNS1_3gpuE0ELNS1_3repE0EEENS1_30default_config_static_selectorELNS0_4arch9wavefront6targetE0EEEvT1_,comdat
	.protected	_ZN7rocprim17ROCPRIM_400000_NS6detail17trampoline_kernelINS0_14default_configENS1_25transform_config_selectorIxLb0EEEZNS1_14transform_implILb0ES3_S5_NS0_18transform_iteratorINS0_17counting_iteratorImlEEZNS1_24adjacent_difference_implIS3_Lb1ELb0EPxN6thrust23THRUST_200600_302600_NS16discard_iteratorINSD_11use_defaultEEENSD_5minusIxEEEE10hipError_tPvRmT2_T3_mT4_P12ihipStream_tbEUlmE_xEESB_NS0_8identityIvEEEESJ_SM_SN_mSO_SQ_bEUlT_E_NS1_11comp_targetILNS1_3genE0ELNS1_11target_archE4294967295ELNS1_3gpuE0ELNS1_3repE0EEENS1_30default_config_static_selectorELNS0_4arch9wavefront6targetE0EEEvT1_ ; -- Begin function _ZN7rocprim17ROCPRIM_400000_NS6detail17trampoline_kernelINS0_14default_configENS1_25transform_config_selectorIxLb0EEEZNS1_14transform_implILb0ES3_S5_NS0_18transform_iteratorINS0_17counting_iteratorImlEEZNS1_24adjacent_difference_implIS3_Lb1ELb0EPxN6thrust23THRUST_200600_302600_NS16discard_iteratorINSD_11use_defaultEEENSD_5minusIxEEEE10hipError_tPvRmT2_T3_mT4_P12ihipStream_tbEUlmE_xEESB_NS0_8identityIvEEEESJ_SM_SN_mSO_SQ_bEUlT_E_NS1_11comp_targetILNS1_3genE0ELNS1_11target_archE4294967295ELNS1_3gpuE0ELNS1_3repE0EEENS1_30default_config_static_selectorELNS0_4arch9wavefront6targetE0EEEvT1_
	.globl	_ZN7rocprim17ROCPRIM_400000_NS6detail17trampoline_kernelINS0_14default_configENS1_25transform_config_selectorIxLb0EEEZNS1_14transform_implILb0ES3_S5_NS0_18transform_iteratorINS0_17counting_iteratorImlEEZNS1_24adjacent_difference_implIS3_Lb1ELb0EPxN6thrust23THRUST_200600_302600_NS16discard_iteratorINSD_11use_defaultEEENSD_5minusIxEEEE10hipError_tPvRmT2_T3_mT4_P12ihipStream_tbEUlmE_xEESB_NS0_8identityIvEEEESJ_SM_SN_mSO_SQ_bEUlT_E_NS1_11comp_targetILNS1_3genE0ELNS1_11target_archE4294967295ELNS1_3gpuE0ELNS1_3repE0EEENS1_30default_config_static_selectorELNS0_4arch9wavefront6targetE0EEEvT1_
	.p2align	8
	.type	_ZN7rocprim17ROCPRIM_400000_NS6detail17trampoline_kernelINS0_14default_configENS1_25transform_config_selectorIxLb0EEEZNS1_14transform_implILb0ES3_S5_NS0_18transform_iteratorINS0_17counting_iteratorImlEEZNS1_24adjacent_difference_implIS3_Lb1ELb0EPxN6thrust23THRUST_200600_302600_NS16discard_iteratorINSD_11use_defaultEEENSD_5minusIxEEEE10hipError_tPvRmT2_T3_mT4_P12ihipStream_tbEUlmE_xEESB_NS0_8identityIvEEEESJ_SM_SN_mSO_SQ_bEUlT_E_NS1_11comp_targetILNS1_3genE0ELNS1_11target_archE4294967295ELNS1_3gpuE0ELNS1_3repE0EEENS1_30default_config_static_selectorELNS0_4arch9wavefront6targetE0EEEvT1_,@function
_ZN7rocprim17ROCPRIM_400000_NS6detail17trampoline_kernelINS0_14default_configENS1_25transform_config_selectorIxLb0EEEZNS1_14transform_implILb0ES3_S5_NS0_18transform_iteratorINS0_17counting_iteratorImlEEZNS1_24adjacent_difference_implIS3_Lb1ELb0EPxN6thrust23THRUST_200600_302600_NS16discard_iteratorINSD_11use_defaultEEENSD_5minusIxEEEE10hipError_tPvRmT2_T3_mT4_P12ihipStream_tbEUlmE_xEESB_NS0_8identityIvEEEESJ_SM_SN_mSO_SQ_bEUlT_E_NS1_11comp_targetILNS1_3genE0ELNS1_11target_archE4294967295ELNS1_3gpuE0ELNS1_3repE0EEENS1_30default_config_static_selectorELNS0_4arch9wavefront6targetE0EEEvT1_: ; @_ZN7rocprim17ROCPRIM_400000_NS6detail17trampoline_kernelINS0_14default_configENS1_25transform_config_selectorIxLb0EEEZNS1_14transform_implILb0ES3_S5_NS0_18transform_iteratorINS0_17counting_iteratorImlEEZNS1_24adjacent_difference_implIS3_Lb1ELb0EPxN6thrust23THRUST_200600_302600_NS16discard_iteratorINSD_11use_defaultEEENSD_5minusIxEEEE10hipError_tPvRmT2_T3_mT4_P12ihipStream_tbEUlmE_xEESB_NS0_8identityIvEEEESJ_SM_SN_mSO_SQ_bEUlT_E_NS1_11comp_targetILNS1_3genE0ELNS1_11target_archE4294967295ELNS1_3gpuE0ELNS1_3repE0EEENS1_30default_config_static_selectorELNS0_4arch9wavefront6targetE0EEEvT1_
; %bb.0:
	.section	.rodata,"a",@progbits
	.p2align	6, 0x0
	.amdhsa_kernel _ZN7rocprim17ROCPRIM_400000_NS6detail17trampoline_kernelINS0_14default_configENS1_25transform_config_selectorIxLb0EEEZNS1_14transform_implILb0ES3_S5_NS0_18transform_iteratorINS0_17counting_iteratorImlEEZNS1_24adjacent_difference_implIS3_Lb1ELb0EPxN6thrust23THRUST_200600_302600_NS16discard_iteratorINSD_11use_defaultEEENSD_5minusIxEEEE10hipError_tPvRmT2_T3_mT4_P12ihipStream_tbEUlmE_xEESB_NS0_8identityIvEEEESJ_SM_SN_mSO_SQ_bEUlT_E_NS1_11comp_targetILNS1_3genE0ELNS1_11target_archE4294967295ELNS1_3gpuE0ELNS1_3repE0EEENS1_30default_config_static_selectorELNS0_4arch9wavefront6targetE0EEEvT1_
		.amdhsa_group_segment_fixed_size 0
		.amdhsa_private_segment_fixed_size 0
		.amdhsa_kernarg_size 56
		.amdhsa_user_sgpr_count 15
		.amdhsa_user_sgpr_dispatch_ptr 0
		.amdhsa_user_sgpr_queue_ptr 0
		.amdhsa_user_sgpr_kernarg_segment_ptr 1
		.amdhsa_user_sgpr_dispatch_id 0
		.amdhsa_user_sgpr_private_segment_size 0
		.amdhsa_wavefront_size32 1
		.amdhsa_uses_dynamic_stack 0
		.amdhsa_enable_private_segment 0
		.amdhsa_system_sgpr_workgroup_id_x 1
		.amdhsa_system_sgpr_workgroup_id_y 0
		.amdhsa_system_sgpr_workgroup_id_z 0
		.amdhsa_system_sgpr_workgroup_info 0
		.amdhsa_system_vgpr_workitem_id 0
		.amdhsa_next_free_vgpr 1
		.amdhsa_next_free_sgpr 1
		.amdhsa_reserve_vcc 0
		.amdhsa_float_round_mode_32 0
		.amdhsa_float_round_mode_16_64 0
		.amdhsa_float_denorm_mode_32 3
		.amdhsa_float_denorm_mode_16_64 3
		.amdhsa_dx10_clamp 1
		.amdhsa_ieee_mode 1
		.amdhsa_fp16_overflow 0
		.amdhsa_workgroup_processor_mode 1
		.amdhsa_memory_ordered 1
		.amdhsa_forward_progress 0
		.amdhsa_shared_vgpr_count 0
		.amdhsa_exception_fp_ieee_invalid_op 0
		.amdhsa_exception_fp_denorm_src 0
		.amdhsa_exception_fp_ieee_div_zero 0
		.amdhsa_exception_fp_ieee_overflow 0
		.amdhsa_exception_fp_ieee_underflow 0
		.amdhsa_exception_fp_ieee_inexact 0
		.amdhsa_exception_int_div_zero 0
	.end_amdhsa_kernel
	.section	.text._ZN7rocprim17ROCPRIM_400000_NS6detail17trampoline_kernelINS0_14default_configENS1_25transform_config_selectorIxLb0EEEZNS1_14transform_implILb0ES3_S5_NS0_18transform_iteratorINS0_17counting_iteratorImlEEZNS1_24adjacent_difference_implIS3_Lb1ELb0EPxN6thrust23THRUST_200600_302600_NS16discard_iteratorINSD_11use_defaultEEENSD_5minusIxEEEE10hipError_tPvRmT2_T3_mT4_P12ihipStream_tbEUlmE_xEESB_NS0_8identityIvEEEESJ_SM_SN_mSO_SQ_bEUlT_E_NS1_11comp_targetILNS1_3genE0ELNS1_11target_archE4294967295ELNS1_3gpuE0ELNS1_3repE0EEENS1_30default_config_static_selectorELNS0_4arch9wavefront6targetE0EEEvT1_,"axG",@progbits,_ZN7rocprim17ROCPRIM_400000_NS6detail17trampoline_kernelINS0_14default_configENS1_25transform_config_selectorIxLb0EEEZNS1_14transform_implILb0ES3_S5_NS0_18transform_iteratorINS0_17counting_iteratorImlEEZNS1_24adjacent_difference_implIS3_Lb1ELb0EPxN6thrust23THRUST_200600_302600_NS16discard_iteratorINSD_11use_defaultEEENSD_5minusIxEEEE10hipError_tPvRmT2_T3_mT4_P12ihipStream_tbEUlmE_xEESB_NS0_8identityIvEEEESJ_SM_SN_mSO_SQ_bEUlT_E_NS1_11comp_targetILNS1_3genE0ELNS1_11target_archE4294967295ELNS1_3gpuE0ELNS1_3repE0EEENS1_30default_config_static_selectorELNS0_4arch9wavefront6targetE0EEEvT1_,comdat
.Lfunc_end858:
	.size	_ZN7rocprim17ROCPRIM_400000_NS6detail17trampoline_kernelINS0_14default_configENS1_25transform_config_selectorIxLb0EEEZNS1_14transform_implILb0ES3_S5_NS0_18transform_iteratorINS0_17counting_iteratorImlEEZNS1_24adjacent_difference_implIS3_Lb1ELb0EPxN6thrust23THRUST_200600_302600_NS16discard_iteratorINSD_11use_defaultEEENSD_5minusIxEEEE10hipError_tPvRmT2_T3_mT4_P12ihipStream_tbEUlmE_xEESB_NS0_8identityIvEEEESJ_SM_SN_mSO_SQ_bEUlT_E_NS1_11comp_targetILNS1_3genE0ELNS1_11target_archE4294967295ELNS1_3gpuE0ELNS1_3repE0EEENS1_30default_config_static_selectorELNS0_4arch9wavefront6targetE0EEEvT1_, .Lfunc_end858-_ZN7rocprim17ROCPRIM_400000_NS6detail17trampoline_kernelINS0_14default_configENS1_25transform_config_selectorIxLb0EEEZNS1_14transform_implILb0ES3_S5_NS0_18transform_iteratorINS0_17counting_iteratorImlEEZNS1_24adjacent_difference_implIS3_Lb1ELb0EPxN6thrust23THRUST_200600_302600_NS16discard_iteratorINSD_11use_defaultEEENSD_5minusIxEEEE10hipError_tPvRmT2_T3_mT4_P12ihipStream_tbEUlmE_xEESB_NS0_8identityIvEEEESJ_SM_SN_mSO_SQ_bEUlT_E_NS1_11comp_targetILNS1_3genE0ELNS1_11target_archE4294967295ELNS1_3gpuE0ELNS1_3repE0EEENS1_30default_config_static_selectorELNS0_4arch9wavefront6targetE0EEEvT1_
                                        ; -- End function
	.section	.AMDGPU.csdata,"",@progbits
; Kernel info:
; codeLenInByte = 0
; NumSgprs: 0
; NumVgprs: 0
; ScratchSize: 0
; MemoryBound: 0
; FloatMode: 240
; IeeeMode: 1
; LDSByteSize: 0 bytes/workgroup (compile time only)
; SGPRBlocks: 0
; VGPRBlocks: 0
; NumSGPRsForWavesPerEU: 1
; NumVGPRsForWavesPerEU: 1
; Occupancy: 16
; WaveLimiterHint : 0
; COMPUTE_PGM_RSRC2:SCRATCH_EN: 0
; COMPUTE_PGM_RSRC2:USER_SGPR: 15
; COMPUTE_PGM_RSRC2:TRAP_HANDLER: 0
; COMPUTE_PGM_RSRC2:TGID_X_EN: 1
; COMPUTE_PGM_RSRC2:TGID_Y_EN: 0
; COMPUTE_PGM_RSRC2:TGID_Z_EN: 0
; COMPUTE_PGM_RSRC2:TIDIG_COMP_CNT: 0
	.section	.text._ZN7rocprim17ROCPRIM_400000_NS6detail17trampoline_kernelINS0_14default_configENS1_25transform_config_selectorIxLb0EEEZNS1_14transform_implILb0ES3_S5_NS0_18transform_iteratorINS0_17counting_iteratorImlEEZNS1_24adjacent_difference_implIS3_Lb1ELb0EPxN6thrust23THRUST_200600_302600_NS16discard_iteratorINSD_11use_defaultEEENSD_5minusIxEEEE10hipError_tPvRmT2_T3_mT4_P12ihipStream_tbEUlmE_xEESB_NS0_8identityIvEEEESJ_SM_SN_mSO_SQ_bEUlT_E_NS1_11comp_targetILNS1_3genE5ELNS1_11target_archE942ELNS1_3gpuE9ELNS1_3repE0EEENS1_30default_config_static_selectorELNS0_4arch9wavefront6targetE0EEEvT1_,"axG",@progbits,_ZN7rocprim17ROCPRIM_400000_NS6detail17trampoline_kernelINS0_14default_configENS1_25transform_config_selectorIxLb0EEEZNS1_14transform_implILb0ES3_S5_NS0_18transform_iteratorINS0_17counting_iteratorImlEEZNS1_24adjacent_difference_implIS3_Lb1ELb0EPxN6thrust23THRUST_200600_302600_NS16discard_iteratorINSD_11use_defaultEEENSD_5minusIxEEEE10hipError_tPvRmT2_T3_mT4_P12ihipStream_tbEUlmE_xEESB_NS0_8identityIvEEEESJ_SM_SN_mSO_SQ_bEUlT_E_NS1_11comp_targetILNS1_3genE5ELNS1_11target_archE942ELNS1_3gpuE9ELNS1_3repE0EEENS1_30default_config_static_selectorELNS0_4arch9wavefront6targetE0EEEvT1_,comdat
	.protected	_ZN7rocprim17ROCPRIM_400000_NS6detail17trampoline_kernelINS0_14default_configENS1_25transform_config_selectorIxLb0EEEZNS1_14transform_implILb0ES3_S5_NS0_18transform_iteratorINS0_17counting_iteratorImlEEZNS1_24adjacent_difference_implIS3_Lb1ELb0EPxN6thrust23THRUST_200600_302600_NS16discard_iteratorINSD_11use_defaultEEENSD_5minusIxEEEE10hipError_tPvRmT2_T3_mT4_P12ihipStream_tbEUlmE_xEESB_NS0_8identityIvEEEESJ_SM_SN_mSO_SQ_bEUlT_E_NS1_11comp_targetILNS1_3genE5ELNS1_11target_archE942ELNS1_3gpuE9ELNS1_3repE0EEENS1_30default_config_static_selectorELNS0_4arch9wavefront6targetE0EEEvT1_ ; -- Begin function _ZN7rocprim17ROCPRIM_400000_NS6detail17trampoline_kernelINS0_14default_configENS1_25transform_config_selectorIxLb0EEEZNS1_14transform_implILb0ES3_S5_NS0_18transform_iteratorINS0_17counting_iteratorImlEEZNS1_24adjacent_difference_implIS3_Lb1ELb0EPxN6thrust23THRUST_200600_302600_NS16discard_iteratorINSD_11use_defaultEEENSD_5minusIxEEEE10hipError_tPvRmT2_T3_mT4_P12ihipStream_tbEUlmE_xEESB_NS0_8identityIvEEEESJ_SM_SN_mSO_SQ_bEUlT_E_NS1_11comp_targetILNS1_3genE5ELNS1_11target_archE942ELNS1_3gpuE9ELNS1_3repE0EEENS1_30default_config_static_selectorELNS0_4arch9wavefront6targetE0EEEvT1_
	.globl	_ZN7rocprim17ROCPRIM_400000_NS6detail17trampoline_kernelINS0_14default_configENS1_25transform_config_selectorIxLb0EEEZNS1_14transform_implILb0ES3_S5_NS0_18transform_iteratorINS0_17counting_iteratorImlEEZNS1_24adjacent_difference_implIS3_Lb1ELb0EPxN6thrust23THRUST_200600_302600_NS16discard_iteratorINSD_11use_defaultEEENSD_5minusIxEEEE10hipError_tPvRmT2_T3_mT4_P12ihipStream_tbEUlmE_xEESB_NS0_8identityIvEEEESJ_SM_SN_mSO_SQ_bEUlT_E_NS1_11comp_targetILNS1_3genE5ELNS1_11target_archE942ELNS1_3gpuE9ELNS1_3repE0EEENS1_30default_config_static_selectorELNS0_4arch9wavefront6targetE0EEEvT1_
	.p2align	8
	.type	_ZN7rocprim17ROCPRIM_400000_NS6detail17trampoline_kernelINS0_14default_configENS1_25transform_config_selectorIxLb0EEEZNS1_14transform_implILb0ES3_S5_NS0_18transform_iteratorINS0_17counting_iteratorImlEEZNS1_24adjacent_difference_implIS3_Lb1ELb0EPxN6thrust23THRUST_200600_302600_NS16discard_iteratorINSD_11use_defaultEEENSD_5minusIxEEEE10hipError_tPvRmT2_T3_mT4_P12ihipStream_tbEUlmE_xEESB_NS0_8identityIvEEEESJ_SM_SN_mSO_SQ_bEUlT_E_NS1_11comp_targetILNS1_3genE5ELNS1_11target_archE942ELNS1_3gpuE9ELNS1_3repE0EEENS1_30default_config_static_selectorELNS0_4arch9wavefront6targetE0EEEvT1_,@function
_ZN7rocprim17ROCPRIM_400000_NS6detail17trampoline_kernelINS0_14default_configENS1_25transform_config_selectorIxLb0EEEZNS1_14transform_implILb0ES3_S5_NS0_18transform_iteratorINS0_17counting_iteratorImlEEZNS1_24adjacent_difference_implIS3_Lb1ELb0EPxN6thrust23THRUST_200600_302600_NS16discard_iteratorINSD_11use_defaultEEENSD_5minusIxEEEE10hipError_tPvRmT2_T3_mT4_P12ihipStream_tbEUlmE_xEESB_NS0_8identityIvEEEESJ_SM_SN_mSO_SQ_bEUlT_E_NS1_11comp_targetILNS1_3genE5ELNS1_11target_archE942ELNS1_3gpuE9ELNS1_3repE0EEENS1_30default_config_static_selectorELNS0_4arch9wavefront6targetE0EEEvT1_: ; @_ZN7rocprim17ROCPRIM_400000_NS6detail17trampoline_kernelINS0_14default_configENS1_25transform_config_selectorIxLb0EEEZNS1_14transform_implILb0ES3_S5_NS0_18transform_iteratorINS0_17counting_iteratorImlEEZNS1_24adjacent_difference_implIS3_Lb1ELb0EPxN6thrust23THRUST_200600_302600_NS16discard_iteratorINSD_11use_defaultEEENSD_5minusIxEEEE10hipError_tPvRmT2_T3_mT4_P12ihipStream_tbEUlmE_xEESB_NS0_8identityIvEEEESJ_SM_SN_mSO_SQ_bEUlT_E_NS1_11comp_targetILNS1_3genE5ELNS1_11target_archE942ELNS1_3gpuE9ELNS1_3repE0EEENS1_30default_config_static_selectorELNS0_4arch9wavefront6targetE0EEEvT1_
; %bb.0:
	.section	.rodata,"a",@progbits
	.p2align	6, 0x0
	.amdhsa_kernel _ZN7rocprim17ROCPRIM_400000_NS6detail17trampoline_kernelINS0_14default_configENS1_25transform_config_selectorIxLb0EEEZNS1_14transform_implILb0ES3_S5_NS0_18transform_iteratorINS0_17counting_iteratorImlEEZNS1_24adjacent_difference_implIS3_Lb1ELb0EPxN6thrust23THRUST_200600_302600_NS16discard_iteratorINSD_11use_defaultEEENSD_5minusIxEEEE10hipError_tPvRmT2_T3_mT4_P12ihipStream_tbEUlmE_xEESB_NS0_8identityIvEEEESJ_SM_SN_mSO_SQ_bEUlT_E_NS1_11comp_targetILNS1_3genE5ELNS1_11target_archE942ELNS1_3gpuE9ELNS1_3repE0EEENS1_30default_config_static_selectorELNS0_4arch9wavefront6targetE0EEEvT1_
		.amdhsa_group_segment_fixed_size 0
		.amdhsa_private_segment_fixed_size 0
		.amdhsa_kernarg_size 56
		.amdhsa_user_sgpr_count 15
		.amdhsa_user_sgpr_dispatch_ptr 0
		.amdhsa_user_sgpr_queue_ptr 0
		.amdhsa_user_sgpr_kernarg_segment_ptr 1
		.amdhsa_user_sgpr_dispatch_id 0
		.amdhsa_user_sgpr_private_segment_size 0
		.amdhsa_wavefront_size32 1
		.amdhsa_uses_dynamic_stack 0
		.amdhsa_enable_private_segment 0
		.amdhsa_system_sgpr_workgroup_id_x 1
		.amdhsa_system_sgpr_workgroup_id_y 0
		.amdhsa_system_sgpr_workgroup_id_z 0
		.amdhsa_system_sgpr_workgroup_info 0
		.amdhsa_system_vgpr_workitem_id 0
		.amdhsa_next_free_vgpr 1
		.amdhsa_next_free_sgpr 1
		.amdhsa_reserve_vcc 0
		.amdhsa_float_round_mode_32 0
		.amdhsa_float_round_mode_16_64 0
		.amdhsa_float_denorm_mode_32 3
		.amdhsa_float_denorm_mode_16_64 3
		.amdhsa_dx10_clamp 1
		.amdhsa_ieee_mode 1
		.amdhsa_fp16_overflow 0
		.amdhsa_workgroup_processor_mode 1
		.amdhsa_memory_ordered 1
		.amdhsa_forward_progress 0
		.amdhsa_shared_vgpr_count 0
		.amdhsa_exception_fp_ieee_invalid_op 0
		.amdhsa_exception_fp_denorm_src 0
		.amdhsa_exception_fp_ieee_div_zero 0
		.amdhsa_exception_fp_ieee_overflow 0
		.amdhsa_exception_fp_ieee_underflow 0
		.amdhsa_exception_fp_ieee_inexact 0
		.amdhsa_exception_int_div_zero 0
	.end_amdhsa_kernel
	.section	.text._ZN7rocprim17ROCPRIM_400000_NS6detail17trampoline_kernelINS0_14default_configENS1_25transform_config_selectorIxLb0EEEZNS1_14transform_implILb0ES3_S5_NS0_18transform_iteratorINS0_17counting_iteratorImlEEZNS1_24adjacent_difference_implIS3_Lb1ELb0EPxN6thrust23THRUST_200600_302600_NS16discard_iteratorINSD_11use_defaultEEENSD_5minusIxEEEE10hipError_tPvRmT2_T3_mT4_P12ihipStream_tbEUlmE_xEESB_NS0_8identityIvEEEESJ_SM_SN_mSO_SQ_bEUlT_E_NS1_11comp_targetILNS1_3genE5ELNS1_11target_archE942ELNS1_3gpuE9ELNS1_3repE0EEENS1_30default_config_static_selectorELNS0_4arch9wavefront6targetE0EEEvT1_,"axG",@progbits,_ZN7rocprim17ROCPRIM_400000_NS6detail17trampoline_kernelINS0_14default_configENS1_25transform_config_selectorIxLb0EEEZNS1_14transform_implILb0ES3_S5_NS0_18transform_iteratorINS0_17counting_iteratorImlEEZNS1_24adjacent_difference_implIS3_Lb1ELb0EPxN6thrust23THRUST_200600_302600_NS16discard_iteratorINSD_11use_defaultEEENSD_5minusIxEEEE10hipError_tPvRmT2_T3_mT4_P12ihipStream_tbEUlmE_xEESB_NS0_8identityIvEEEESJ_SM_SN_mSO_SQ_bEUlT_E_NS1_11comp_targetILNS1_3genE5ELNS1_11target_archE942ELNS1_3gpuE9ELNS1_3repE0EEENS1_30default_config_static_selectorELNS0_4arch9wavefront6targetE0EEEvT1_,comdat
.Lfunc_end859:
	.size	_ZN7rocprim17ROCPRIM_400000_NS6detail17trampoline_kernelINS0_14default_configENS1_25transform_config_selectorIxLb0EEEZNS1_14transform_implILb0ES3_S5_NS0_18transform_iteratorINS0_17counting_iteratorImlEEZNS1_24adjacent_difference_implIS3_Lb1ELb0EPxN6thrust23THRUST_200600_302600_NS16discard_iteratorINSD_11use_defaultEEENSD_5minusIxEEEE10hipError_tPvRmT2_T3_mT4_P12ihipStream_tbEUlmE_xEESB_NS0_8identityIvEEEESJ_SM_SN_mSO_SQ_bEUlT_E_NS1_11comp_targetILNS1_3genE5ELNS1_11target_archE942ELNS1_3gpuE9ELNS1_3repE0EEENS1_30default_config_static_selectorELNS0_4arch9wavefront6targetE0EEEvT1_, .Lfunc_end859-_ZN7rocprim17ROCPRIM_400000_NS6detail17trampoline_kernelINS0_14default_configENS1_25transform_config_selectorIxLb0EEEZNS1_14transform_implILb0ES3_S5_NS0_18transform_iteratorINS0_17counting_iteratorImlEEZNS1_24adjacent_difference_implIS3_Lb1ELb0EPxN6thrust23THRUST_200600_302600_NS16discard_iteratorINSD_11use_defaultEEENSD_5minusIxEEEE10hipError_tPvRmT2_T3_mT4_P12ihipStream_tbEUlmE_xEESB_NS0_8identityIvEEEESJ_SM_SN_mSO_SQ_bEUlT_E_NS1_11comp_targetILNS1_3genE5ELNS1_11target_archE942ELNS1_3gpuE9ELNS1_3repE0EEENS1_30default_config_static_selectorELNS0_4arch9wavefront6targetE0EEEvT1_
                                        ; -- End function
	.section	.AMDGPU.csdata,"",@progbits
; Kernel info:
; codeLenInByte = 0
; NumSgprs: 0
; NumVgprs: 0
; ScratchSize: 0
; MemoryBound: 0
; FloatMode: 240
; IeeeMode: 1
; LDSByteSize: 0 bytes/workgroup (compile time only)
; SGPRBlocks: 0
; VGPRBlocks: 0
; NumSGPRsForWavesPerEU: 1
; NumVGPRsForWavesPerEU: 1
; Occupancy: 16
; WaveLimiterHint : 0
; COMPUTE_PGM_RSRC2:SCRATCH_EN: 0
; COMPUTE_PGM_RSRC2:USER_SGPR: 15
; COMPUTE_PGM_RSRC2:TRAP_HANDLER: 0
; COMPUTE_PGM_RSRC2:TGID_X_EN: 1
; COMPUTE_PGM_RSRC2:TGID_Y_EN: 0
; COMPUTE_PGM_RSRC2:TGID_Z_EN: 0
; COMPUTE_PGM_RSRC2:TIDIG_COMP_CNT: 0
	.section	.text._ZN7rocprim17ROCPRIM_400000_NS6detail17trampoline_kernelINS0_14default_configENS1_25transform_config_selectorIxLb0EEEZNS1_14transform_implILb0ES3_S5_NS0_18transform_iteratorINS0_17counting_iteratorImlEEZNS1_24adjacent_difference_implIS3_Lb1ELb0EPxN6thrust23THRUST_200600_302600_NS16discard_iteratorINSD_11use_defaultEEENSD_5minusIxEEEE10hipError_tPvRmT2_T3_mT4_P12ihipStream_tbEUlmE_xEESB_NS0_8identityIvEEEESJ_SM_SN_mSO_SQ_bEUlT_E_NS1_11comp_targetILNS1_3genE4ELNS1_11target_archE910ELNS1_3gpuE8ELNS1_3repE0EEENS1_30default_config_static_selectorELNS0_4arch9wavefront6targetE0EEEvT1_,"axG",@progbits,_ZN7rocprim17ROCPRIM_400000_NS6detail17trampoline_kernelINS0_14default_configENS1_25transform_config_selectorIxLb0EEEZNS1_14transform_implILb0ES3_S5_NS0_18transform_iteratorINS0_17counting_iteratorImlEEZNS1_24adjacent_difference_implIS3_Lb1ELb0EPxN6thrust23THRUST_200600_302600_NS16discard_iteratorINSD_11use_defaultEEENSD_5minusIxEEEE10hipError_tPvRmT2_T3_mT4_P12ihipStream_tbEUlmE_xEESB_NS0_8identityIvEEEESJ_SM_SN_mSO_SQ_bEUlT_E_NS1_11comp_targetILNS1_3genE4ELNS1_11target_archE910ELNS1_3gpuE8ELNS1_3repE0EEENS1_30default_config_static_selectorELNS0_4arch9wavefront6targetE0EEEvT1_,comdat
	.protected	_ZN7rocprim17ROCPRIM_400000_NS6detail17trampoline_kernelINS0_14default_configENS1_25transform_config_selectorIxLb0EEEZNS1_14transform_implILb0ES3_S5_NS0_18transform_iteratorINS0_17counting_iteratorImlEEZNS1_24adjacent_difference_implIS3_Lb1ELb0EPxN6thrust23THRUST_200600_302600_NS16discard_iteratorINSD_11use_defaultEEENSD_5minusIxEEEE10hipError_tPvRmT2_T3_mT4_P12ihipStream_tbEUlmE_xEESB_NS0_8identityIvEEEESJ_SM_SN_mSO_SQ_bEUlT_E_NS1_11comp_targetILNS1_3genE4ELNS1_11target_archE910ELNS1_3gpuE8ELNS1_3repE0EEENS1_30default_config_static_selectorELNS0_4arch9wavefront6targetE0EEEvT1_ ; -- Begin function _ZN7rocprim17ROCPRIM_400000_NS6detail17trampoline_kernelINS0_14default_configENS1_25transform_config_selectorIxLb0EEEZNS1_14transform_implILb0ES3_S5_NS0_18transform_iteratorINS0_17counting_iteratorImlEEZNS1_24adjacent_difference_implIS3_Lb1ELb0EPxN6thrust23THRUST_200600_302600_NS16discard_iteratorINSD_11use_defaultEEENSD_5minusIxEEEE10hipError_tPvRmT2_T3_mT4_P12ihipStream_tbEUlmE_xEESB_NS0_8identityIvEEEESJ_SM_SN_mSO_SQ_bEUlT_E_NS1_11comp_targetILNS1_3genE4ELNS1_11target_archE910ELNS1_3gpuE8ELNS1_3repE0EEENS1_30default_config_static_selectorELNS0_4arch9wavefront6targetE0EEEvT1_
	.globl	_ZN7rocprim17ROCPRIM_400000_NS6detail17trampoline_kernelINS0_14default_configENS1_25transform_config_selectorIxLb0EEEZNS1_14transform_implILb0ES3_S5_NS0_18transform_iteratorINS0_17counting_iteratorImlEEZNS1_24adjacent_difference_implIS3_Lb1ELb0EPxN6thrust23THRUST_200600_302600_NS16discard_iteratorINSD_11use_defaultEEENSD_5minusIxEEEE10hipError_tPvRmT2_T3_mT4_P12ihipStream_tbEUlmE_xEESB_NS0_8identityIvEEEESJ_SM_SN_mSO_SQ_bEUlT_E_NS1_11comp_targetILNS1_3genE4ELNS1_11target_archE910ELNS1_3gpuE8ELNS1_3repE0EEENS1_30default_config_static_selectorELNS0_4arch9wavefront6targetE0EEEvT1_
	.p2align	8
	.type	_ZN7rocprim17ROCPRIM_400000_NS6detail17trampoline_kernelINS0_14default_configENS1_25transform_config_selectorIxLb0EEEZNS1_14transform_implILb0ES3_S5_NS0_18transform_iteratorINS0_17counting_iteratorImlEEZNS1_24adjacent_difference_implIS3_Lb1ELb0EPxN6thrust23THRUST_200600_302600_NS16discard_iteratorINSD_11use_defaultEEENSD_5minusIxEEEE10hipError_tPvRmT2_T3_mT4_P12ihipStream_tbEUlmE_xEESB_NS0_8identityIvEEEESJ_SM_SN_mSO_SQ_bEUlT_E_NS1_11comp_targetILNS1_3genE4ELNS1_11target_archE910ELNS1_3gpuE8ELNS1_3repE0EEENS1_30default_config_static_selectorELNS0_4arch9wavefront6targetE0EEEvT1_,@function
_ZN7rocprim17ROCPRIM_400000_NS6detail17trampoline_kernelINS0_14default_configENS1_25transform_config_selectorIxLb0EEEZNS1_14transform_implILb0ES3_S5_NS0_18transform_iteratorINS0_17counting_iteratorImlEEZNS1_24adjacent_difference_implIS3_Lb1ELb0EPxN6thrust23THRUST_200600_302600_NS16discard_iteratorINSD_11use_defaultEEENSD_5minusIxEEEE10hipError_tPvRmT2_T3_mT4_P12ihipStream_tbEUlmE_xEESB_NS0_8identityIvEEEESJ_SM_SN_mSO_SQ_bEUlT_E_NS1_11comp_targetILNS1_3genE4ELNS1_11target_archE910ELNS1_3gpuE8ELNS1_3repE0EEENS1_30default_config_static_selectorELNS0_4arch9wavefront6targetE0EEEvT1_: ; @_ZN7rocprim17ROCPRIM_400000_NS6detail17trampoline_kernelINS0_14default_configENS1_25transform_config_selectorIxLb0EEEZNS1_14transform_implILb0ES3_S5_NS0_18transform_iteratorINS0_17counting_iteratorImlEEZNS1_24adjacent_difference_implIS3_Lb1ELb0EPxN6thrust23THRUST_200600_302600_NS16discard_iteratorINSD_11use_defaultEEENSD_5minusIxEEEE10hipError_tPvRmT2_T3_mT4_P12ihipStream_tbEUlmE_xEESB_NS0_8identityIvEEEESJ_SM_SN_mSO_SQ_bEUlT_E_NS1_11comp_targetILNS1_3genE4ELNS1_11target_archE910ELNS1_3gpuE8ELNS1_3repE0EEENS1_30default_config_static_selectorELNS0_4arch9wavefront6targetE0EEEvT1_
; %bb.0:
	.section	.rodata,"a",@progbits
	.p2align	6, 0x0
	.amdhsa_kernel _ZN7rocprim17ROCPRIM_400000_NS6detail17trampoline_kernelINS0_14default_configENS1_25transform_config_selectorIxLb0EEEZNS1_14transform_implILb0ES3_S5_NS0_18transform_iteratorINS0_17counting_iteratorImlEEZNS1_24adjacent_difference_implIS3_Lb1ELb0EPxN6thrust23THRUST_200600_302600_NS16discard_iteratorINSD_11use_defaultEEENSD_5minusIxEEEE10hipError_tPvRmT2_T3_mT4_P12ihipStream_tbEUlmE_xEESB_NS0_8identityIvEEEESJ_SM_SN_mSO_SQ_bEUlT_E_NS1_11comp_targetILNS1_3genE4ELNS1_11target_archE910ELNS1_3gpuE8ELNS1_3repE0EEENS1_30default_config_static_selectorELNS0_4arch9wavefront6targetE0EEEvT1_
		.amdhsa_group_segment_fixed_size 0
		.amdhsa_private_segment_fixed_size 0
		.amdhsa_kernarg_size 56
		.amdhsa_user_sgpr_count 15
		.amdhsa_user_sgpr_dispatch_ptr 0
		.amdhsa_user_sgpr_queue_ptr 0
		.amdhsa_user_sgpr_kernarg_segment_ptr 1
		.amdhsa_user_sgpr_dispatch_id 0
		.amdhsa_user_sgpr_private_segment_size 0
		.amdhsa_wavefront_size32 1
		.amdhsa_uses_dynamic_stack 0
		.amdhsa_enable_private_segment 0
		.amdhsa_system_sgpr_workgroup_id_x 1
		.amdhsa_system_sgpr_workgroup_id_y 0
		.amdhsa_system_sgpr_workgroup_id_z 0
		.amdhsa_system_sgpr_workgroup_info 0
		.amdhsa_system_vgpr_workitem_id 0
		.amdhsa_next_free_vgpr 1
		.amdhsa_next_free_sgpr 1
		.amdhsa_reserve_vcc 0
		.amdhsa_float_round_mode_32 0
		.amdhsa_float_round_mode_16_64 0
		.amdhsa_float_denorm_mode_32 3
		.amdhsa_float_denorm_mode_16_64 3
		.amdhsa_dx10_clamp 1
		.amdhsa_ieee_mode 1
		.amdhsa_fp16_overflow 0
		.amdhsa_workgroup_processor_mode 1
		.amdhsa_memory_ordered 1
		.amdhsa_forward_progress 0
		.amdhsa_shared_vgpr_count 0
		.amdhsa_exception_fp_ieee_invalid_op 0
		.amdhsa_exception_fp_denorm_src 0
		.amdhsa_exception_fp_ieee_div_zero 0
		.amdhsa_exception_fp_ieee_overflow 0
		.amdhsa_exception_fp_ieee_underflow 0
		.amdhsa_exception_fp_ieee_inexact 0
		.amdhsa_exception_int_div_zero 0
	.end_amdhsa_kernel
	.section	.text._ZN7rocprim17ROCPRIM_400000_NS6detail17trampoline_kernelINS0_14default_configENS1_25transform_config_selectorIxLb0EEEZNS1_14transform_implILb0ES3_S5_NS0_18transform_iteratorINS0_17counting_iteratorImlEEZNS1_24adjacent_difference_implIS3_Lb1ELb0EPxN6thrust23THRUST_200600_302600_NS16discard_iteratorINSD_11use_defaultEEENSD_5minusIxEEEE10hipError_tPvRmT2_T3_mT4_P12ihipStream_tbEUlmE_xEESB_NS0_8identityIvEEEESJ_SM_SN_mSO_SQ_bEUlT_E_NS1_11comp_targetILNS1_3genE4ELNS1_11target_archE910ELNS1_3gpuE8ELNS1_3repE0EEENS1_30default_config_static_selectorELNS0_4arch9wavefront6targetE0EEEvT1_,"axG",@progbits,_ZN7rocprim17ROCPRIM_400000_NS6detail17trampoline_kernelINS0_14default_configENS1_25transform_config_selectorIxLb0EEEZNS1_14transform_implILb0ES3_S5_NS0_18transform_iteratorINS0_17counting_iteratorImlEEZNS1_24adjacent_difference_implIS3_Lb1ELb0EPxN6thrust23THRUST_200600_302600_NS16discard_iteratorINSD_11use_defaultEEENSD_5minusIxEEEE10hipError_tPvRmT2_T3_mT4_P12ihipStream_tbEUlmE_xEESB_NS0_8identityIvEEEESJ_SM_SN_mSO_SQ_bEUlT_E_NS1_11comp_targetILNS1_3genE4ELNS1_11target_archE910ELNS1_3gpuE8ELNS1_3repE0EEENS1_30default_config_static_selectorELNS0_4arch9wavefront6targetE0EEEvT1_,comdat
.Lfunc_end860:
	.size	_ZN7rocprim17ROCPRIM_400000_NS6detail17trampoline_kernelINS0_14default_configENS1_25transform_config_selectorIxLb0EEEZNS1_14transform_implILb0ES3_S5_NS0_18transform_iteratorINS0_17counting_iteratorImlEEZNS1_24adjacent_difference_implIS3_Lb1ELb0EPxN6thrust23THRUST_200600_302600_NS16discard_iteratorINSD_11use_defaultEEENSD_5minusIxEEEE10hipError_tPvRmT2_T3_mT4_P12ihipStream_tbEUlmE_xEESB_NS0_8identityIvEEEESJ_SM_SN_mSO_SQ_bEUlT_E_NS1_11comp_targetILNS1_3genE4ELNS1_11target_archE910ELNS1_3gpuE8ELNS1_3repE0EEENS1_30default_config_static_selectorELNS0_4arch9wavefront6targetE0EEEvT1_, .Lfunc_end860-_ZN7rocprim17ROCPRIM_400000_NS6detail17trampoline_kernelINS0_14default_configENS1_25transform_config_selectorIxLb0EEEZNS1_14transform_implILb0ES3_S5_NS0_18transform_iteratorINS0_17counting_iteratorImlEEZNS1_24adjacent_difference_implIS3_Lb1ELb0EPxN6thrust23THRUST_200600_302600_NS16discard_iteratorINSD_11use_defaultEEENSD_5minusIxEEEE10hipError_tPvRmT2_T3_mT4_P12ihipStream_tbEUlmE_xEESB_NS0_8identityIvEEEESJ_SM_SN_mSO_SQ_bEUlT_E_NS1_11comp_targetILNS1_3genE4ELNS1_11target_archE910ELNS1_3gpuE8ELNS1_3repE0EEENS1_30default_config_static_selectorELNS0_4arch9wavefront6targetE0EEEvT1_
                                        ; -- End function
	.section	.AMDGPU.csdata,"",@progbits
; Kernel info:
; codeLenInByte = 0
; NumSgprs: 0
; NumVgprs: 0
; ScratchSize: 0
; MemoryBound: 0
; FloatMode: 240
; IeeeMode: 1
; LDSByteSize: 0 bytes/workgroup (compile time only)
; SGPRBlocks: 0
; VGPRBlocks: 0
; NumSGPRsForWavesPerEU: 1
; NumVGPRsForWavesPerEU: 1
; Occupancy: 16
; WaveLimiterHint : 0
; COMPUTE_PGM_RSRC2:SCRATCH_EN: 0
; COMPUTE_PGM_RSRC2:USER_SGPR: 15
; COMPUTE_PGM_RSRC2:TRAP_HANDLER: 0
; COMPUTE_PGM_RSRC2:TGID_X_EN: 1
; COMPUTE_PGM_RSRC2:TGID_Y_EN: 0
; COMPUTE_PGM_RSRC2:TGID_Z_EN: 0
; COMPUTE_PGM_RSRC2:TIDIG_COMP_CNT: 0
	.section	.text._ZN7rocprim17ROCPRIM_400000_NS6detail17trampoline_kernelINS0_14default_configENS1_25transform_config_selectorIxLb0EEEZNS1_14transform_implILb0ES3_S5_NS0_18transform_iteratorINS0_17counting_iteratorImlEEZNS1_24adjacent_difference_implIS3_Lb1ELb0EPxN6thrust23THRUST_200600_302600_NS16discard_iteratorINSD_11use_defaultEEENSD_5minusIxEEEE10hipError_tPvRmT2_T3_mT4_P12ihipStream_tbEUlmE_xEESB_NS0_8identityIvEEEESJ_SM_SN_mSO_SQ_bEUlT_E_NS1_11comp_targetILNS1_3genE3ELNS1_11target_archE908ELNS1_3gpuE7ELNS1_3repE0EEENS1_30default_config_static_selectorELNS0_4arch9wavefront6targetE0EEEvT1_,"axG",@progbits,_ZN7rocprim17ROCPRIM_400000_NS6detail17trampoline_kernelINS0_14default_configENS1_25transform_config_selectorIxLb0EEEZNS1_14transform_implILb0ES3_S5_NS0_18transform_iteratorINS0_17counting_iteratorImlEEZNS1_24adjacent_difference_implIS3_Lb1ELb0EPxN6thrust23THRUST_200600_302600_NS16discard_iteratorINSD_11use_defaultEEENSD_5minusIxEEEE10hipError_tPvRmT2_T3_mT4_P12ihipStream_tbEUlmE_xEESB_NS0_8identityIvEEEESJ_SM_SN_mSO_SQ_bEUlT_E_NS1_11comp_targetILNS1_3genE3ELNS1_11target_archE908ELNS1_3gpuE7ELNS1_3repE0EEENS1_30default_config_static_selectorELNS0_4arch9wavefront6targetE0EEEvT1_,comdat
	.protected	_ZN7rocprim17ROCPRIM_400000_NS6detail17trampoline_kernelINS0_14default_configENS1_25transform_config_selectorIxLb0EEEZNS1_14transform_implILb0ES3_S5_NS0_18transform_iteratorINS0_17counting_iteratorImlEEZNS1_24adjacent_difference_implIS3_Lb1ELb0EPxN6thrust23THRUST_200600_302600_NS16discard_iteratorINSD_11use_defaultEEENSD_5minusIxEEEE10hipError_tPvRmT2_T3_mT4_P12ihipStream_tbEUlmE_xEESB_NS0_8identityIvEEEESJ_SM_SN_mSO_SQ_bEUlT_E_NS1_11comp_targetILNS1_3genE3ELNS1_11target_archE908ELNS1_3gpuE7ELNS1_3repE0EEENS1_30default_config_static_selectorELNS0_4arch9wavefront6targetE0EEEvT1_ ; -- Begin function _ZN7rocprim17ROCPRIM_400000_NS6detail17trampoline_kernelINS0_14default_configENS1_25transform_config_selectorIxLb0EEEZNS1_14transform_implILb0ES3_S5_NS0_18transform_iteratorINS0_17counting_iteratorImlEEZNS1_24adjacent_difference_implIS3_Lb1ELb0EPxN6thrust23THRUST_200600_302600_NS16discard_iteratorINSD_11use_defaultEEENSD_5minusIxEEEE10hipError_tPvRmT2_T3_mT4_P12ihipStream_tbEUlmE_xEESB_NS0_8identityIvEEEESJ_SM_SN_mSO_SQ_bEUlT_E_NS1_11comp_targetILNS1_3genE3ELNS1_11target_archE908ELNS1_3gpuE7ELNS1_3repE0EEENS1_30default_config_static_selectorELNS0_4arch9wavefront6targetE0EEEvT1_
	.globl	_ZN7rocprim17ROCPRIM_400000_NS6detail17trampoline_kernelINS0_14default_configENS1_25transform_config_selectorIxLb0EEEZNS1_14transform_implILb0ES3_S5_NS0_18transform_iteratorINS0_17counting_iteratorImlEEZNS1_24adjacent_difference_implIS3_Lb1ELb0EPxN6thrust23THRUST_200600_302600_NS16discard_iteratorINSD_11use_defaultEEENSD_5minusIxEEEE10hipError_tPvRmT2_T3_mT4_P12ihipStream_tbEUlmE_xEESB_NS0_8identityIvEEEESJ_SM_SN_mSO_SQ_bEUlT_E_NS1_11comp_targetILNS1_3genE3ELNS1_11target_archE908ELNS1_3gpuE7ELNS1_3repE0EEENS1_30default_config_static_selectorELNS0_4arch9wavefront6targetE0EEEvT1_
	.p2align	8
	.type	_ZN7rocprim17ROCPRIM_400000_NS6detail17trampoline_kernelINS0_14default_configENS1_25transform_config_selectorIxLb0EEEZNS1_14transform_implILb0ES3_S5_NS0_18transform_iteratorINS0_17counting_iteratorImlEEZNS1_24adjacent_difference_implIS3_Lb1ELb0EPxN6thrust23THRUST_200600_302600_NS16discard_iteratorINSD_11use_defaultEEENSD_5minusIxEEEE10hipError_tPvRmT2_T3_mT4_P12ihipStream_tbEUlmE_xEESB_NS0_8identityIvEEEESJ_SM_SN_mSO_SQ_bEUlT_E_NS1_11comp_targetILNS1_3genE3ELNS1_11target_archE908ELNS1_3gpuE7ELNS1_3repE0EEENS1_30default_config_static_selectorELNS0_4arch9wavefront6targetE0EEEvT1_,@function
_ZN7rocprim17ROCPRIM_400000_NS6detail17trampoline_kernelINS0_14default_configENS1_25transform_config_selectorIxLb0EEEZNS1_14transform_implILb0ES3_S5_NS0_18transform_iteratorINS0_17counting_iteratorImlEEZNS1_24adjacent_difference_implIS3_Lb1ELb0EPxN6thrust23THRUST_200600_302600_NS16discard_iteratorINSD_11use_defaultEEENSD_5minusIxEEEE10hipError_tPvRmT2_T3_mT4_P12ihipStream_tbEUlmE_xEESB_NS0_8identityIvEEEESJ_SM_SN_mSO_SQ_bEUlT_E_NS1_11comp_targetILNS1_3genE3ELNS1_11target_archE908ELNS1_3gpuE7ELNS1_3repE0EEENS1_30default_config_static_selectorELNS0_4arch9wavefront6targetE0EEEvT1_: ; @_ZN7rocprim17ROCPRIM_400000_NS6detail17trampoline_kernelINS0_14default_configENS1_25transform_config_selectorIxLb0EEEZNS1_14transform_implILb0ES3_S5_NS0_18transform_iteratorINS0_17counting_iteratorImlEEZNS1_24adjacent_difference_implIS3_Lb1ELb0EPxN6thrust23THRUST_200600_302600_NS16discard_iteratorINSD_11use_defaultEEENSD_5minusIxEEEE10hipError_tPvRmT2_T3_mT4_P12ihipStream_tbEUlmE_xEESB_NS0_8identityIvEEEESJ_SM_SN_mSO_SQ_bEUlT_E_NS1_11comp_targetILNS1_3genE3ELNS1_11target_archE908ELNS1_3gpuE7ELNS1_3repE0EEENS1_30default_config_static_selectorELNS0_4arch9wavefront6targetE0EEEvT1_
; %bb.0:
	.section	.rodata,"a",@progbits
	.p2align	6, 0x0
	.amdhsa_kernel _ZN7rocprim17ROCPRIM_400000_NS6detail17trampoline_kernelINS0_14default_configENS1_25transform_config_selectorIxLb0EEEZNS1_14transform_implILb0ES3_S5_NS0_18transform_iteratorINS0_17counting_iteratorImlEEZNS1_24adjacent_difference_implIS3_Lb1ELb0EPxN6thrust23THRUST_200600_302600_NS16discard_iteratorINSD_11use_defaultEEENSD_5minusIxEEEE10hipError_tPvRmT2_T3_mT4_P12ihipStream_tbEUlmE_xEESB_NS0_8identityIvEEEESJ_SM_SN_mSO_SQ_bEUlT_E_NS1_11comp_targetILNS1_3genE3ELNS1_11target_archE908ELNS1_3gpuE7ELNS1_3repE0EEENS1_30default_config_static_selectorELNS0_4arch9wavefront6targetE0EEEvT1_
		.amdhsa_group_segment_fixed_size 0
		.amdhsa_private_segment_fixed_size 0
		.amdhsa_kernarg_size 56
		.amdhsa_user_sgpr_count 15
		.amdhsa_user_sgpr_dispatch_ptr 0
		.amdhsa_user_sgpr_queue_ptr 0
		.amdhsa_user_sgpr_kernarg_segment_ptr 1
		.amdhsa_user_sgpr_dispatch_id 0
		.amdhsa_user_sgpr_private_segment_size 0
		.amdhsa_wavefront_size32 1
		.amdhsa_uses_dynamic_stack 0
		.amdhsa_enable_private_segment 0
		.amdhsa_system_sgpr_workgroup_id_x 1
		.amdhsa_system_sgpr_workgroup_id_y 0
		.amdhsa_system_sgpr_workgroup_id_z 0
		.amdhsa_system_sgpr_workgroup_info 0
		.amdhsa_system_vgpr_workitem_id 0
		.amdhsa_next_free_vgpr 1
		.amdhsa_next_free_sgpr 1
		.amdhsa_reserve_vcc 0
		.amdhsa_float_round_mode_32 0
		.amdhsa_float_round_mode_16_64 0
		.amdhsa_float_denorm_mode_32 3
		.amdhsa_float_denorm_mode_16_64 3
		.amdhsa_dx10_clamp 1
		.amdhsa_ieee_mode 1
		.amdhsa_fp16_overflow 0
		.amdhsa_workgroup_processor_mode 1
		.amdhsa_memory_ordered 1
		.amdhsa_forward_progress 0
		.amdhsa_shared_vgpr_count 0
		.amdhsa_exception_fp_ieee_invalid_op 0
		.amdhsa_exception_fp_denorm_src 0
		.amdhsa_exception_fp_ieee_div_zero 0
		.amdhsa_exception_fp_ieee_overflow 0
		.amdhsa_exception_fp_ieee_underflow 0
		.amdhsa_exception_fp_ieee_inexact 0
		.amdhsa_exception_int_div_zero 0
	.end_amdhsa_kernel
	.section	.text._ZN7rocprim17ROCPRIM_400000_NS6detail17trampoline_kernelINS0_14default_configENS1_25transform_config_selectorIxLb0EEEZNS1_14transform_implILb0ES3_S5_NS0_18transform_iteratorINS0_17counting_iteratorImlEEZNS1_24adjacent_difference_implIS3_Lb1ELb0EPxN6thrust23THRUST_200600_302600_NS16discard_iteratorINSD_11use_defaultEEENSD_5minusIxEEEE10hipError_tPvRmT2_T3_mT4_P12ihipStream_tbEUlmE_xEESB_NS0_8identityIvEEEESJ_SM_SN_mSO_SQ_bEUlT_E_NS1_11comp_targetILNS1_3genE3ELNS1_11target_archE908ELNS1_3gpuE7ELNS1_3repE0EEENS1_30default_config_static_selectorELNS0_4arch9wavefront6targetE0EEEvT1_,"axG",@progbits,_ZN7rocprim17ROCPRIM_400000_NS6detail17trampoline_kernelINS0_14default_configENS1_25transform_config_selectorIxLb0EEEZNS1_14transform_implILb0ES3_S5_NS0_18transform_iteratorINS0_17counting_iteratorImlEEZNS1_24adjacent_difference_implIS3_Lb1ELb0EPxN6thrust23THRUST_200600_302600_NS16discard_iteratorINSD_11use_defaultEEENSD_5minusIxEEEE10hipError_tPvRmT2_T3_mT4_P12ihipStream_tbEUlmE_xEESB_NS0_8identityIvEEEESJ_SM_SN_mSO_SQ_bEUlT_E_NS1_11comp_targetILNS1_3genE3ELNS1_11target_archE908ELNS1_3gpuE7ELNS1_3repE0EEENS1_30default_config_static_selectorELNS0_4arch9wavefront6targetE0EEEvT1_,comdat
.Lfunc_end861:
	.size	_ZN7rocprim17ROCPRIM_400000_NS6detail17trampoline_kernelINS0_14default_configENS1_25transform_config_selectorIxLb0EEEZNS1_14transform_implILb0ES3_S5_NS0_18transform_iteratorINS0_17counting_iteratorImlEEZNS1_24adjacent_difference_implIS3_Lb1ELb0EPxN6thrust23THRUST_200600_302600_NS16discard_iteratorINSD_11use_defaultEEENSD_5minusIxEEEE10hipError_tPvRmT2_T3_mT4_P12ihipStream_tbEUlmE_xEESB_NS0_8identityIvEEEESJ_SM_SN_mSO_SQ_bEUlT_E_NS1_11comp_targetILNS1_3genE3ELNS1_11target_archE908ELNS1_3gpuE7ELNS1_3repE0EEENS1_30default_config_static_selectorELNS0_4arch9wavefront6targetE0EEEvT1_, .Lfunc_end861-_ZN7rocprim17ROCPRIM_400000_NS6detail17trampoline_kernelINS0_14default_configENS1_25transform_config_selectorIxLb0EEEZNS1_14transform_implILb0ES3_S5_NS0_18transform_iteratorINS0_17counting_iteratorImlEEZNS1_24adjacent_difference_implIS3_Lb1ELb0EPxN6thrust23THRUST_200600_302600_NS16discard_iteratorINSD_11use_defaultEEENSD_5minusIxEEEE10hipError_tPvRmT2_T3_mT4_P12ihipStream_tbEUlmE_xEESB_NS0_8identityIvEEEESJ_SM_SN_mSO_SQ_bEUlT_E_NS1_11comp_targetILNS1_3genE3ELNS1_11target_archE908ELNS1_3gpuE7ELNS1_3repE0EEENS1_30default_config_static_selectorELNS0_4arch9wavefront6targetE0EEEvT1_
                                        ; -- End function
	.section	.AMDGPU.csdata,"",@progbits
; Kernel info:
; codeLenInByte = 0
; NumSgprs: 0
; NumVgprs: 0
; ScratchSize: 0
; MemoryBound: 0
; FloatMode: 240
; IeeeMode: 1
; LDSByteSize: 0 bytes/workgroup (compile time only)
; SGPRBlocks: 0
; VGPRBlocks: 0
; NumSGPRsForWavesPerEU: 1
; NumVGPRsForWavesPerEU: 1
; Occupancy: 16
; WaveLimiterHint : 0
; COMPUTE_PGM_RSRC2:SCRATCH_EN: 0
; COMPUTE_PGM_RSRC2:USER_SGPR: 15
; COMPUTE_PGM_RSRC2:TRAP_HANDLER: 0
; COMPUTE_PGM_RSRC2:TGID_X_EN: 1
; COMPUTE_PGM_RSRC2:TGID_Y_EN: 0
; COMPUTE_PGM_RSRC2:TGID_Z_EN: 0
; COMPUTE_PGM_RSRC2:TIDIG_COMP_CNT: 0
	.section	.text._ZN7rocprim17ROCPRIM_400000_NS6detail17trampoline_kernelINS0_14default_configENS1_25transform_config_selectorIxLb0EEEZNS1_14transform_implILb0ES3_S5_NS0_18transform_iteratorINS0_17counting_iteratorImlEEZNS1_24adjacent_difference_implIS3_Lb1ELb0EPxN6thrust23THRUST_200600_302600_NS16discard_iteratorINSD_11use_defaultEEENSD_5minusIxEEEE10hipError_tPvRmT2_T3_mT4_P12ihipStream_tbEUlmE_xEESB_NS0_8identityIvEEEESJ_SM_SN_mSO_SQ_bEUlT_E_NS1_11comp_targetILNS1_3genE2ELNS1_11target_archE906ELNS1_3gpuE6ELNS1_3repE0EEENS1_30default_config_static_selectorELNS0_4arch9wavefront6targetE0EEEvT1_,"axG",@progbits,_ZN7rocprim17ROCPRIM_400000_NS6detail17trampoline_kernelINS0_14default_configENS1_25transform_config_selectorIxLb0EEEZNS1_14transform_implILb0ES3_S5_NS0_18transform_iteratorINS0_17counting_iteratorImlEEZNS1_24adjacent_difference_implIS3_Lb1ELb0EPxN6thrust23THRUST_200600_302600_NS16discard_iteratorINSD_11use_defaultEEENSD_5minusIxEEEE10hipError_tPvRmT2_T3_mT4_P12ihipStream_tbEUlmE_xEESB_NS0_8identityIvEEEESJ_SM_SN_mSO_SQ_bEUlT_E_NS1_11comp_targetILNS1_3genE2ELNS1_11target_archE906ELNS1_3gpuE6ELNS1_3repE0EEENS1_30default_config_static_selectorELNS0_4arch9wavefront6targetE0EEEvT1_,comdat
	.protected	_ZN7rocprim17ROCPRIM_400000_NS6detail17trampoline_kernelINS0_14default_configENS1_25transform_config_selectorIxLb0EEEZNS1_14transform_implILb0ES3_S5_NS0_18transform_iteratorINS0_17counting_iteratorImlEEZNS1_24adjacent_difference_implIS3_Lb1ELb0EPxN6thrust23THRUST_200600_302600_NS16discard_iteratorINSD_11use_defaultEEENSD_5minusIxEEEE10hipError_tPvRmT2_T3_mT4_P12ihipStream_tbEUlmE_xEESB_NS0_8identityIvEEEESJ_SM_SN_mSO_SQ_bEUlT_E_NS1_11comp_targetILNS1_3genE2ELNS1_11target_archE906ELNS1_3gpuE6ELNS1_3repE0EEENS1_30default_config_static_selectorELNS0_4arch9wavefront6targetE0EEEvT1_ ; -- Begin function _ZN7rocprim17ROCPRIM_400000_NS6detail17trampoline_kernelINS0_14default_configENS1_25transform_config_selectorIxLb0EEEZNS1_14transform_implILb0ES3_S5_NS0_18transform_iteratorINS0_17counting_iteratorImlEEZNS1_24adjacent_difference_implIS3_Lb1ELb0EPxN6thrust23THRUST_200600_302600_NS16discard_iteratorINSD_11use_defaultEEENSD_5minusIxEEEE10hipError_tPvRmT2_T3_mT4_P12ihipStream_tbEUlmE_xEESB_NS0_8identityIvEEEESJ_SM_SN_mSO_SQ_bEUlT_E_NS1_11comp_targetILNS1_3genE2ELNS1_11target_archE906ELNS1_3gpuE6ELNS1_3repE0EEENS1_30default_config_static_selectorELNS0_4arch9wavefront6targetE0EEEvT1_
	.globl	_ZN7rocprim17ROCPRIM_400000_NS6detail17trampoline_kernelINS0_14default_configENS1_25transform_config_selectorIxLb0EEEZNS1_14transform_implILb0ES3_S5_NS0_18transform_iteratorINS0_17counting_iteratorImlEEZNS1_24adjacent_difference_implIS3_Lb1ELb0EPxN6thrust23THRUST_200600_302600_NS16discard_iteratorINSD_11use_defaultEEENSD_5minusIxEEEE10hipError_tPvRmT2_T3_mT4_P12ihipStream_tbEUlmE_xEESB_NS0_8identityIvEEEESJ_SM_SN_mSO_SQ_bEUlT_E_NS1_11comp_targetILNS1_3genE2ELNS1_11target_archE906ELNS1_3gpuE6ELNS1_3repE0EEENS1_30default_config_static_selectorELNS0_4arch9wavefront6targetE0EEEvT1_
	.p2align	8
	.type	_ZN7rocprim17ROCPRIM_400000_NS6detail17trampoline_kernelINS0_14default_configENS1_25transform_config_selectorIxLb0EEEZNS1_14transform_implILb0ES3_S5_NS0_18transform_iteratorINS0_17counting_iteratorImlEEZNS1_24adjacent_difference_implIS3_Lb1ELb0EPxN6thrust23THRUST_200600_302600_NS16discard_iteratorINSD_11use_defaultEEENSD_5minusIxEEEE10hipError_tPvRmT2_T3_mT4_P12ihipStream_tbEUlmE_xEESB_NS0_8identityIvEEEESJ_SM_SN_mSO_SQ_bEUlT_E_NS1_11comp_targetILNS1_3genE2ELNS1_11target_archE906ELNS1_3gpuE6ELNS1_3repE0EEENS1_30default_config_static_selectorELNS0_4arch9wavefront6targetE0EEEvT1_,@function
_ZN7rocprim17ROCPRIM_400000_NS6detail17trampoline_kernelINS0_14default_configENS1_25transform_config_selectorIxLb0EEEZNS1_14transform_implILb0ES3_S5_NS0_18transform_iteratorINS0_17counting_iteratorImlEEZNS1_24adjacent_difference_implIS3_Lb1ELb0EPxN6thrust23THRUST_200600_302600_NS16discard_iteratorINSD_11use_defaultEEENSD_5minusIxEEEE10hipError_tPvRmT2_T3_mT4_P12ihipStream_tbEUlmE_xEESB_NS0_8identityIvEEEESJ_SM_SN_mSO_SQ_bEUlT_E_NS1_11comp_targetILNS1_3genE2ELNS1_11target_archE906ELNS1_3gpuE6ELNS1_3repE0EEENS1_30default_config_static_selectorELNS0_4arch9wavefront6targetE0EEEvT1_: ; @_ZN7rocprim17ROCPRIM_400000_NS6detail17trampoline_kernelINS0_14default_configENS1_25transform_config_selectorIxLb0EEEZNS1_14transform_implILb0ES3_S5_NS0_18transform_iteratorINS0_17counting_iteratorImlEEZNS1_24adjacent_difference_implIS3_Lb1ELb0EPxN6thrust23THRUST_200600_302600_NS16discard_iteratorINSD_11use_defaultEEENSD_5minusIxEEEE10hipError_tPvRmT2_T3_mT4_P12ihipStream_tbEUlmE_xEESB_NS0_8identityIvEEEESJ_SM_SN_mSO_SQ_bEUlT_E_NS1_11comp_targetILNS1_3genE2ELNS1_11target_archE906ELNS1_3gpuE6ELNS1_3repE0EEENS1_30default_config_static_selectorELNS0_4arch9wavefront6targetE0EEEvT1_
; %bb.0:
	.section	.rodata,"a",@progbits
	.p2align	6, 0x0
	.amdhsa_kernel _ZN7rocprim17ROCPRIM_400000_NS6detail17trampoline_kernelINS0_14default_configENS1_25transform_config_selectorIxLb0EEEZNS1_14transform_implILb0ES3_S5_NS0_18transform_iteratorINS0_17counting_iteratorImlEEZNS1_24adjacent_difference_implIS3_Lb1ELb0EPxN6thrust23THRUST_200600_302600_NS16discard_iteratorINSD_11use_defaultEEENSD_5minusIxEEEE10hipError_tPvRmT2_T3_mT4_P12ihipStream_tbEUlmE_xEESB_NS0_8identityIvEEEESJ_SM_SN_mSO_SQ_bEUlT_E_NS1_11comp_targetILNS1_3genE2ELNS1_11target_archE906ELNS1_3gpuE6ELNS1_3repE0EEENS1_30default_config_static_selectorELNS0_4arch9wavefront6targetE0EEEvT1_
		.amdhsa_group_segment_fixed_size 0
		.amdhsa_private_segment_fixed_size 0
		.amdhsa_kernarg_size 56
		.amdhsa_user_sgpr_count 15
		.amdhsa_user_sgpr_dispatch_ptr 0
		.amdhsa_user_sgpr_queue_ptr 0
		.amdhsa_user_sgpr_kernarg_segment_ptr 1
		.amdhsa_user_sgpr_dispatch_id 0
		.amdhsa_user_sgpr_private_segment_size 0
		.amdhsa_wavefront_size32 1
		.amdhsa_uses_dynamic_stack 0
		.amdhsa_enable_private_segment 0
		.amdhsa_system_sgpr_workgroup_id_x 1
		.amdhsa_system_sgpr_workgroup_id_y 0
		.amdhsa_system_sgpr_workgroup_id_z 0
		.amdhsa_system_sgpr_workgroup_info 0
		.amdhsa_system_vgpr_workitem_id 0
		.amdhsa_next_free_vgpr 1
		.amdhsa_next_free_sgpr 1
		.amdhsa_reserve_vcc 0
		.amdhsa_float_round_mode_32 0
		.amdhsa_float_round_mode_16_64 0
		.amdhsa_float_denorm_mode_32 3
		.amdhsa_float_denorm_mode_16_64 3
		.amdhsa_dx10_clamp 1
		.amdhsa_ieee_mode 1
		.amdhsa_fp16_overflow 0
		.amdhsa_workgroup_processor_mode 1
		.amdhsa_memory_ordered 1
		.amdhsa_forward_progress 0
		.amdhsa_shared_vgpr_count 0
		.amdhsa_exception_fp_ieee_invalid_op 0
		.amdhsa_exception_fp_denorm_src 0
		.amdhsa_exception_fp_ieee_div_zero 0
		.amdhsa_exception_fp_ieee_overflow 0
		.amdhsa_exception_fp_ieee_underflow 0
		.amdhsa_exception_fp_ieee_inexact 0
		.amdhsa_exception_int_div_zero 0
	.end_amdhsa_kernel
	.section	.text._ZN7rocprim17ROCPRIM_400000_NS6detail17trampoline_kernelINS0_14default_configENS1_25transform_config_selectorIxLb0EEEZNS1_14transform_implILb0ES3_S5_NS0_18transform_iteratorINS0_17counting_iteratorImlEEZNS1_24adjacent_difference_implIS3_Lb1ELb0EPxN6thrust23THRUST_200600_302600_NS16discard_iteratorINSD_11use_defaultEEENSD_5minusIxEEEE10hipError_tPvRmT2_T3_mT4_P12ihipStream_tbEUlmE_xEESB_NS0_8identityIvEEEESJ_SM_SN_mSO_SQ_bEUlT_E_NS1_11comp_targetILNS1_3genE2ELNS1_11target_archE906ELNS1_3gpuE6ELNS1_3repE0EEENS1_30default_config_static_selectorELNS0_4arch9wavefront6targetE0EEEvT1_,"axG",@progbits,_ZN7rocprim17ROCPRIM_400000_NS6detail17trampoline_kernelINS0_14default_configENS1_25transform_config_selectorIxLb0EEEZNS1_14transform_implILb0ES3_S5_NS0_18transform_iteratorINS0_17counting_iteratorImlEEZNS1_24adjacent_difference_implIS3_Lb1ELb0EPxN6thrust23THRUST_200600_302600_NS16discard_iteratorINSD_11use_defaultEEENSD_5minusIxEEEE10hipError_tPvRmT2_T3_mT4_P12ihipStream_tbEUlmE_xEESB_NS0_8identityIvEEEESJ_SM_SN_mSO_SQ_bEUlT_E_NS1_11comp_targetILNS1_3genE2ELNS1_11target_archE906ELNS1_3gpuE6ELNS1_3repE0EEENS1_30default_config_static_selectorELNS0_4arch9wavefront6targetE0EEEvT1_,comdat
.Lfunc_end862:
	.size	_ZN7rocprim17ROCPRIM_400000_NS6detail17trampoline_kernelINS0_14default_configENS1_25transform_config_selectorIxLb0EEEZNS1_14transform_implILb0ES3_S5_NS0_18transform_iteratorINS0_17counting_iteratorImlEEZNS1_24adjacent_difference_implIS3_Lb1ELb0EPxN6thrust23THRUST_200600_302600_NS16discard_iteratorINSD_11use_defaultEEENSD_5minusIxEEEE10hipError_tPvRmT2_T3_mT4_P12ihipStream_tbEUlmE_xEESB_NS0_8identityIvEEEESJ_SM_SN_mSO_SQ_bEUlT_E_NS1_11comp_targetILNS1_3genE2ELNS1_11target_archE906ELNS1_3gpuE6ELNS1_3repE0EEENS1_30default_config_static_selectorELNS0_4arch9wavefront6targetE0EEEvT1_, .Lfunc_end862-_ZN7rocprim17ROCPRIM_400000_NS6detail17trampoline_kernelINS0_14default_configENS1_25transform_config_selectorIxLb0EEEZNS1_14transform_implILb0ES3_S5_NS0_18transform_iteratorINS0_17counting_iteratorImlEEZNS1_24adjacent_difference_implIS3_Lb1ELb0EPxN6thrust23THRUST_200600_302600_NS16discard_iteratorINSD_11use_defaultEEENSD_5minusIxEEEE10hipError_tPvRmT2_T3_mT4_P12ihipStream_tbEUlmE_xEESB_NS0_8identityIvEEEESJ_SM_SN_mSO_SQ_bEUlT_E_NS1_11comp_targetILNS1_3genE2ELNS1_11target_archE906ELNS1_3gpuE6ELNS1_3repE0EEENS1_30default_config_static_selectorELNS0_4arch9wavefront6targetE0EEEvT1_
                                        ; -- End function
	.section	.AMDGPU.csdata,"",@progbits
; Kernel info:
; codeLenInByte = 0
; NumSgprs: 0
; NumVgprs: 0
; ScratchSize: 0
; MemoryBound: 0
; FloatMode: 240
; IeeeMode: 1
; LDSByteSize: 0 bytes/workgroup (compile time only)
; SGPRBlocks: 0
; VGPRBlocks: 0
; NumSGPRsForWavesPerEU: 1
; NumVGPRsForWavesPerEU: 1
; Occupancy: 16
; WaveLimiterHint : 0
; COMPUTE_PGM_RSRC2:SCRATCH_EN: 0
; COMPUTE_PGM_RSRC2:USER_SGPR: 15
; COMPUTE_PGM_RSRC2:TRAP_HANDLER: 0
; COMPUTE_PGM_RSRC2:TGID_X_EN: 1
; COMPUTE_PGM_RSRC2:TGID_Y_EN: 0
; COMPUTE_PGM_RSRC2:TGID_Z_EN: 0
; COMPUTE_PGM_RSRC2:TIDIG_COMP_CNT: 0
	.section	.text._ZN7rocprim17ROCPRIM_400000_NS6detail17trampoline_kernelINS0_14default_configENS1_25transform_config_selectorIxLb0EEEZNS1_14transform_implILb0ES3_S5_NS0_18transform_iteratorINS0_17counting_iteratorImlEEZNS1_24adjacent_difference_implIS3_Lb1ELb0EPxN6thrust23THRUST_200600_302600_NS16discard_iteratorINSD_11use_defaultEEENSD_5minusIxEEEE10hipError_tPvRmT2_T3_mT4_P12ihipStream_tbEUlmE_xEESB_NS0_8identityIvEEEESJ_SM_SN_mSO_SQ_bEUlT_E_NS1_11comp_targetILNS1_3genE10ELNS1_11target_archE1201ELNS1_3gpuE5ELNS1_3repE0EEENS1_30default_config_static_selectorELNS0_4arch9wavefront6targetE0EEEvT1_,"axG",@progbits,_ZN7rocprim17ROCPRIM_400000_NS6detail17trampoline_kernelINS0_14default_configENS1_25transform_config_selectorIxLb0EEEZNS1_14transform_implILb0ES3_S5_NS0_18transform_iteratorINS0_17counting_iteratorImlEEZNS1_24adjacent_difference_implIS3_Lb1ELb0EPxN6thrust23THRUST_200600_302600_NS16discard_iteratorINSD_11use_defaultEEENSD_5minusIxEEEE10hipError_tPvRmT2_T3_mT4_P12ihipStream_tbEUlmE_xEESB_NS0_8identityIvEEEESJ_SM_SN_mSO_SQ_bEUlT_E_NS1_11comp_targetILNS1_3genE10ELNS1_11target_archE1201ELNS1_3gpuE5ELNS1_3repE0EEENS1_30default_config_static_selectorELNS0_4arch9wavefront6targetE0EEEvT1_,comdat
	.protected	_ZN7rocprim17ROCPRIM_400000_NS6detail17trampoline_kernelINS0_14default_configENS1_25transform_config_selectorIxLb0EEEZNS1_14transform_implILb0ES3_S5_NS0_18transform_iteratorINS0_17counting_iteratorImlEEZNS1_24adjacent_difference_implIS3_Lb1ELb0EPxN6thrust23THRUST_200600_302600_NS16discard_iteratorINSD_11use_defaultEEENSD_5minusIxEEEE10hipError_tPvRmT2_T3_mT4_P12ihipStream_tbEUlmE_xEESB_NS0_8identityIvEEEESJ_SM_SN_mSO_SQ_bEUlT_E_NS1_11comp_targetILNS1_3genE10ELNS1_11target_archE1201ELNS1_3gpuE5ELNS1_3repE0EEENS1_30default_config_static_selectorELNS0_4arch9wavefront6targetE0EEEvT1_ ; -- Begin function _ZN7rocprim17ROCPRIM_400000_NS6detail17trampoline_kernelINS0_14default_configENS1_25transform_config_selectorIxLb0EEEZNS1_14transform_implILb0ES3_S5_NS0_18transform_iteratorINS0_17counting_iteratorImlEEZNS1_24adjacent_difference_implIS3_Lb1ELb0EPxN6thrust23THRUST_200600_302600_NS16discard_iteratorINSD_11use_defaultEEENSD_5minusIxEEEE10hipError_tPvRmT2_T3_mT4_P12ihipStream_tbEUlmE_xEESB_NS0_8identityIvEEEESJ_SM_SN_mSO_SQ_bEUlT_E_NS1_11comp_targetILNS1_3genE10ELNS1_11target_archE1201ELNS1_3gpuE5ELNS1_3repE0EEENS1_30default_config_static_selectorELNS0_4arch9wavefront6targetE0EEEvT1_
	.globl	_ZN7rocprim17ROCPRIM_400000_NS6detail17trampoline_kernelINS0_14default_configENS1_25transform_config_selectorIxLb0EEEZNS1_14transform_implILb0ES3_S5_NS0_18transform_iteratorINS0_17counting_iteratorImlEEZNS1_24adjacent_difference_implIS3_Lb1ELb0EPxN6thrust23THRUST_200600_302600_NS16discard_iteratorINSD_11use_defaultEEENSD_5minusIxEEEE10hipError_tPvRmT2_T3_mT4_P12ihipStream_tbEUlmE_xEESB_NS0_8identityIvEEEESJ_SM_SN_mSO_SQ_bEUlT_E_NS1_11comp_targetILNS1_3genE10ELNS1_11target_archE1201ELNS1_3gpuE5ELNS1_3repE0EEENS1_30default_config_static_selectorELNS0_4arch9wavefront6targetE0EEEvT1_
	.p2align	8
	.type	_ZN7rocprim17ROCPRIM_400000_NS6detail17trampoline_kernelINS0_14default_configENS1_25transform_config_selectorIxLb0EEEZNS1_14transform_implILb0ES3_S5_NS0_18transform_iteratorINS0_17counting_iteratorImlEEZNS1_24adjacent_difference_implIS3_Lb1ELb0EPxN6thrust23THRUST_200600_302600_NS16discard_iteratorINSD_11use_defaultEEENSD_5minusIxEEEE10hipError_tPvRmT2_T3_mT4_P12ihipStream_tbEUlmE_xEESB_NS0_8identityIvEEEESJ_SM_SN_mSO_SQ_bEUlT_E_NS1_11comp_targetILNS1_3genE10ELNS1_11target_archE1201ELNS1_3gpuE5ELNS1_3repE0EEENS1_30default_config_static_selectorELNS0_4arch9wavefront6targetE0EEEvT1_,@function
_ZN7rocprim17ROCPRIM_400000_NS6detail17trampoline_kernelINS0_14default_configENS1_25transform_config_selectorIxLb0EEEZNS1_14transform_implILb0ES3_S5_NS0_18transform_iteratorINS0_17counting_iteratorImlEEZNS1_24adjacent_difference_implIS3_Lb1ELb0EPxN6thrust23THRUST_200600_302600_NS16discard_iteratorINSD_11use_defaultEEENSD_5minusIxEEEE10hipError_tPvRmT2_T3_mT4_P12ihipStream_tbEUlmE_xEESB_NS0_8identityIvEEEESJ_SM_SN_mSO_SQ_bEUlT_E_NS1_11comp_targetILNS1_3genE10ELNS1_11target_archE1201ELNS1_3gpuE5ELNS1_3repE0EEENS1_30default_config_static_selectorELNS0_4arch9wavefront6targetE0EEEvT1_: ; @_ZN7rocprim17ROCPRIM_400000_NS6detail17trampoline_kernelINS0_14default_configENS1_25transform_config_selectorIxLb0EEEZNS1_14transform_implILb0ES3_S5_NS0_18transform_iteratorINS0_17counting_iteratorImlEEZNS1_24adjacent_difference_implIS3_Lb1ELb0EPxN6thrust23THRUST_200600_302600_NS16discard_iteratorINSD_11use_defaultEEENSD_5minusIxEEEE10hipError_tPvRmT2_T3_mT4_P12ihipStream_tbEUlmE_xEESB_NS0_8identityIvEEEESJ_SM_SN_mSO_SQ_bEUlT_E_NS1_11comp_targetILNS1_3genE10ELNS1_11target_archE1201ELNS1_3gpuE5ELNS1_3repE0EEENS1_30default_config_static_selectorELNS0_4arch9wavefront6targetE0EEEvT1_
; %bb.0:
	.section	.rodata,"a",@progbits
	.p2align	6, 0x0
	.amdhsa_kernel _ZN7rocprim17ROCPRIM_400000_NS6detail17trampoline_kernelINS0_14default_configENS1_25transform_config_selectorIxLb0EEEZNS1_14transform_implILb0ES3_S5_NS0_18transform_iteratorINS0_17counting_iteratorImlEEZNS1_24adjacent_difference_implIS3_Lb1ELb0EPxN6thrust23THRUST_200600_302600_NS16discard_iteratorINSD_11use_defaultEEENSD_5minusIxEEEE10hipError_tPvRmT2_T3_mT4_P12ihipStream_tbEUlmE_xEESB_NS0_8identityIvEEEESJ_SM_SN_mSO_SQ_bEUlT_E_NS1_11comp_targetILNS1_3genE10ELNS1_11target_archE1201ELNS1_3gpuE5ELNS1_3repE0EEENS1_30default_config_static_selectorELNS0_4arch9wavefront6targetE0EEEvT1_
		.amdhsa_group_segment_fixed_size 0
		.amdhsa_private_segment_fixed_size 0
		.amdhsa_kernarg_size 56
		.amdhsa_user_sgpr_count 15
		.amdhsa_user_sgpr_dispatch_ptr 0
		.amdhsa_user_sgpr_queue_ptr 0
		.amdhsa_user_sgpr_kernarg_segment_ptr 1
		.amdhsa_user_sgpr_dispatch_id 0
		.amdhsa_user_sgpr_private_segment_size 0
		.amdhsa_wavefront_size32 1
		.amdhsa_uses_dynamic_stack 0
		.amdhsa_enable_private_segment 0
		.amdhsa_system_sgpr_workgroup_id_x 1
		.amdhsa_system_sgpr_workgroup_id_y 0
		.amdhsa_system_sgpr_workgroup_id_z 0
		.amdhsa_system_sgpr_workgroup_info 0
		.amdhsa_system_vgpr_workitem_id 0
		.amdhsa_next_free_vgpr 1
		.amdhsa_next_free_sgpr 1
		.amdhsa_reserve_vcc 0
		.amdhsa_float_round_mode_32 0
		.amdhsa_float_round_mode_16_64 0
		.amdhsa_float_denorm_mode_32 3
		.amdhsa_float_denorm_mode_16_64 3
		.amdhsa_dx10_clamp 1
		.amdhsa_ieee_mode 1
		.amdhsa_fp16_overflow 0
		.amdhsa_workgroup_processor_mode 1
		.amdhsa_memory_ordered 1
		.amdhsa_forward_progress 0
		.amdhsa_shared_vgpr_count 0
		.amdhsa_exception_fp_ieee_invalid_op 0
		.amdhsa_exception_fp_denorm_src 0
		.amdhsa_exception_fp_ieee_div_zero 0
		.amdhsa_exception_fp_ieee_overflow 0
		.amdhsa_exception_fp_ieee_underflow 0
		.amdhsa_exception_fp_ieee_inexact 0
		.amdhsa_exception_int_div_zero 0
	.end_amdhsa_kernel
	.section	.text._ZN7rocprim17ROCPRIM_400000_NS6detail17trampoline_kernelINS0_14default_configENS1_25transform_config_selectorIxLb0EEEZNS1_14transform_implILb0ES3_S5_NS0_18transform_iteratorINS0_17counting_iteratorImlEEZNS1_24adjacent_difference_implIS3_Lb1ELb0EPxN6thrust23THRUST_200600_302600_NS16discard_iteratorINSD_11use_defaultEEENSD_5minusIxEEEE10hipError_tPvRmT2_T3_mT4_P12ihipStream_tbEUlmE_xEESB_NS0_8identityIvEEEESJ_SM_SN_mSO_SQ_bEUlT_E_NS1_11comp_targetILNS1_3genE10ELNS1_11target_archE1201ELNS1_3gpuE5ELNS1_3repE0EEENS1_30default_config_static_selectorELNS0_4arch9wavefront6targetE0EEEvT1_,"axG",@progbits,_ZN7rocprim17ROCPRIM_400000_NS6detail17trampoline_kernelINS0_14default_configENS1_25transform_config_selectorIxLb0EEEZNS1_14transform_implILb0ES3_S5_NS0_18transform_iteratorINS0_17counting_iteratorImlEEZNS1_24adjacent_difference_implIS3_Lb1ELb0EPxN6thrust23THRUST_200600_302600_NS16discard_iteratorINSD_11use_defaultEEENSD_5minusIxEEEE10hipError_tPvRmT2_T3_mT4_P12ihipStream_tbEUlmE_xEESB_NS0_8identityIvEEEESJ_SM_SN_mSO_SQ_bEUlT_E_NS1_11comp_targetILNS1_3genE10ELNS1_11target_archE1201ELNS1_3gpuE5ELNS1_3repE0EEENS1_30default_config_static_selectorELNS0_4arch9wavefront6targetE0EEEvT1_,comdat
.Lfunc_end863:
	.size	_ZN7rocprim17ROCPRIM_400000_NS6detail17trampoline_kernelINS0_14default_configENS1_25transform_config_selectorIxLb0EEEZNS1_14transform_implILb0ES3_S5_NS0_18transform_iteratorINS0_17counting_iteratorImlEEZNS1_24adjacent_difference_implIS3_Lb1ELb0EPxN6thrust23THRUST_200600_302600_NS16discard_iteratorINSD_11use_defaultEEENSD_5minusIxEEEE10hipError_tPvRmT2_T3_mT4_P12ihipStream_tbEUlmE_xEESB_NS0_8identityIvEEEESJ_SM_SN_mSO_SQ_bEUlT_E_NS1_11comp_targetILNS1_3genE10ELNS1_11target_archE1201ELNS1_3gpuE5ELNS1_3repE0EEENS1_30default_config_static_selectorELNS0_4arch9wavefront6targetE0EEEvT1_, .Lfunc_end863-_ZN7rocprim17ROCPRIM_400000_NS6detail17trampoline_kernelINS0_14default_configENS1_25transform_config_selectorIxLb0EEEZNS1_14transform_implILb0ES3_S5_NS0_18transform_iteratorINS0_17counting_iteratorImlEEZNS1_24adjacent_difference_implIS3_Lb1ELb0EPxN6thrust23THRUST_200600_302600_NS16discard_iteratorINSD_11use_defaultEEENSD_5minusIxEEEE10hipError_tPvRmT2_T3_mT4_P12ihipStream_tbEUlmE_xEESB_NS0_8identityIvEEEESJ_SM_SN_mSO_SQ_bEUlT_E_NS1_11comp_targetILNS1_3genE10ELNS1_11target_archE1201ELNS1_3gpuE5ELNS1_3repE0EEENS1_30default_config_static_selectorELNS0_4arch9wavefront6targetE0EEEvT1_
                                        ; -- End function
	.section	.AMDGPU.csdata,"",@progbits
; Kernel info:
; codeLenInByte = 0
; NumSgprs: 0
; NumVgprs: 0
; ScratchSize: 0
; MemoryBound: 0
; FloatMode: 240
; IeeeMode: 1
; LDSByteSize: 0 bytes/workgroup (compile time only)
; SGPRBlocks: 0
; VGPRBlocks: 0
; NumSGPRsForWavesPerEU: 1
; NumVGPRsForWavesPerEU: 1
; Occupancy: 16
; WaveLimiterHint : 0
; COMPUTE_PGM_RSRC2:SCRATCH_EN: 0
; COMPUTE_PGM_RSRC2:USER_SGPR: 15
; COMPUTE_PGM_RSRC2:TRAP_HANDLER: 0
; COMPUTE_PGM_RSRC2:TGID_X_EN: 1
; COMPUTE_PGM_RSRC2:TGID_Y_EN: 0
; COMPUTE_PGM_RSRC2:TGID_Z_EN: 0
; COMPUTE_PGM_RSRC2:TIDIG_COMP_CNT: 0
	.section	.text._ZN7rocprim17ROCPRIM_400000_NS6detail17trampoline_kernelINS0_14default_configENS1_25transform_config_selectorIxLb0EEEZNS1_14transform_implILb0ES3_S5_NS0_18transform_iteratorINS0_17counting_iteratorImlEEZNS1_24adjacent_difference_implIS3_Lb1ELb0EPxN6thrust23THRUST_200600_302600_NS16discard_iteratorINSD_11use_defaultEEENSD_5minusIxEEEE10hipError_tPvRmT2_T3_mT4_P12ihipStream_tbEUlmE_xEESB_NS0_8identityIvEEEESJ_SM_SN_mSO_SQ_bEUlT_E_NS1_11comp_targetILNS1_3genE10ELNS1_11target_archE1200ELNS1_3gpuE4ELNS1_3repE0EEENS1_30default_config_static_selectorELNS0_4arch9wavefront6targetE0EEEvT1_,"axG",@progbits,_ZN7rocprim17ROCPRIM_400000_NS6detail17trampoline_kernelINS0_14default_configENS1_25transform_config_selectorIxLb0EEEZNS1_14transform_implILb0ES3_S5_NS0_18transform_iteratorINS0_17counting_iteratorImlEEZNS1_24adjacent_difference_implIS3_Lb1ELb0EPxN6thrust23THRUST_200600_302600_NS16discard_iteratorINSD_11use_defaultEEENSD_5minusIxEEEE10hipError_tPvRmT2_T3_mT4_P12ihipStream_tbEUlmE_xEESB_NS0_8identityIvEEEESJ_SM_SN_mSO_SQ_bEUlT_E_NS1_11comp_targetILNS1_3genE10ELNS1_11target_archE1200ELNS1_3gpuE4ELNS1_3repE0EEENS1_30default_config_static_selectorELNS0_4arch9wavefront6targetE0EEEvT1_,comdat
	.protected	_ZN7rocprim17ROCPRIM_400000_NS6detail17trampoline_kernelINS0_14default_configENS1_25transform_config_selectorIxLb0EEEZNS1_14transform_implILb0ES3_S5_NS0_18transform_iteratorINS0_17counting_iteratorImlEEZNS1_24adjacent_difference_implIS3_Lb1ELb0EPxN6thrust23THRUST_200600_302600_NS16discard_iteratorINSD_11use_defaultEEENSD_5minusIxEEEE10hipError_tPvRmT2_T3_mT4_P12ihipStream_tbEUlmE_xEESB_NS0_8identityIvEEEESJ_SM_SN_mSO_SQ_bEUlT_E_NS1_11comp_targetILNS1_3genE10ELNS1_11target_archE1200ELNS1_3gpuE4ELNS1_3repE0EEENS1_30default_config_static_selectorELNS0_4arch9wavefront6targetE0EEEvT1_ ; -- Begin function _ZN7rocprim17ROCPRIM_400000_NS6detail17trampoline_kernelINS0_14default_configENS1_25transform_config_selectorIxLb0EEEZNS1_14transform_implILb0ES3_S5_NS0_18transform_iteratorINS0_17counting_iteratorImlEEZNS1_24adjacent_difference_implIS3_Lb1ELb0EPxN6thrust23THRUST_200600_302600_NS16discard_iteratorINSD_11use_defaultEEENSD_5minusIxEEEE10hipError_tPvRmT2_T3_mT4_P12ihipStream_tbEUlmE_xEESB_NS0_8identityIvEEEESJ_SM_SN_mSO_SQ_bEUlT_E_NS1_11comp_targetILNS1_3genE10ELNS1_11target_archE1200ELNS1_3gpuE4ELNS1_3repE0EEENS1_30default_config_static_selectorELNS0_4arch9wavefront6targetE0EEEvT1_
	.globl	_ZN7rocprim17ROCPRIM_400000_NS6detail17trampoline_kernelINS0_14default_configENS1_25transform_config_selectorIxLb0EEEZNS1_14transform_implILb0ES3_S5_NS0_18transform_iteratorINS0_17counting_iteratorImlEEZNS1_24adjacent_difference_implIS3_Lb1ELb0EPxN6thrust23THRUST_200600_302600_NS16discard_iteratorINSD_11use_defaultEEENSD_5minusIxEEEE10hipError_tPvRmT2_T3_mT4_P12ihipStream_tbEUlmE_xEESB_NS0_8identityIvEEEESJ_SM_SN_mSO_SQ_bEUlT_E_NS1_11comp_targetILNS1_3genE10ELNS1_11target_archE1200ELNS1_3gpuE4ELNS1_3repE0EEENS1_30default_config_static_selectorELNS0_4arch9wavefront6targetE0EEEvT1_
	.p2align	8
	.type	_ZN7rocprim17ROCPRIM_400000_NS6detail17trampoline_kernelINS0_14default_configENS1_25transform_config_selectorIxLb0EEEZNS1_14transform_implILb0ES3_S5_NS0_18transform_iteratorINS0_17counting_iteratorImlEEZNS1_24adjacent_difference_implIS3_Lb1ELb0EPxN6thrust23THRUST_200600_302600_NS16discard_iteratorINSD_11use_defaultEEENSD_5minusIxEEEE10hipError_tPvRmT2_T3_mT4_P12ihipStream_tbEUlmE_xEESB_NS0_8identityIvEEEESJ_SM_SN_mSO_SQ_bEUlT_E_NS1_11comp_targetILNS1_3genE10ELNS1_11target_archE1200ELNS1_3gpuE4ELNS1_3repE0EEENS1_30default_config_static_selectorELNS0_4arch9wavefront6targetE0EEEvT1_,@function
_ZN7rocprim17ROCPRIM_400000_NS6detail17trampoline_kernelINS0_14default_configENS1_25transform_config_selectorIxLb0EEEZNS1_14transform_implILb0ES3_S5_NS0_18transform_iteratorINS0_17counting_iteratorImlEEZNS1_24adjacent_difference_implIS3_Lb1ELb0EPxN6thrust23THRUST_200600_302600_NS16discard_iteratorINSD_11use_defaultEEENSD_5minusIxEEEE10hipError_tPvRmT2_T3_mT4_P12ihipStream_tbEUlmE_xEESB_NS0_8identityIvEEEESJ_SM_SN_mSO_SQ_bEUlT_E_NS1_11comp_targetILNS1_3genE10ELNS1_11target_archE1200ELNS1_3gpuE4ELNS1_3repE0EEENS1_30default_config_static_selectorELNS0_4arch9wavefront6targetE0EEEvT1_: ; @_ZN7rocprim17ROCPRIM_400000_NS6detail17trampoline_kernelINS0_14default_configENS1_25transform_config_selectorIxLb0EEEZNS1_14transform_implILb0ES3_S5_NS0_18transform_iteratorINS0_17counting_iteratorImlEEZNS1_24adjacent_difference_implIS3_Lb1ELb0EPxN6thrust23THRUST_200600_302600_NS16discard_iteratorINSD_11use_defaultEEENSD_5minusIxEEEE10hipError_tPvRmT2_T3_mT4_P12ihipStream_tbEUlmE_xEESB_NS0_8identityIvEEEESJ_SM_SN_mSO_SQ_bEUlT_E_NS1_11comp_targetILNS1_3genE10ELNS1_11target_archE1200ELNS1_3gpuE4ELNS1_3repE0EEENS1_30default_config_static_selectorELNS0_4arch9wavefront6targetE0EEEvT1_
; %bb.0:
	.section	.rodata,"a",@progbits
	.p2align	6, 0x0
	.amdhsa_kernel _ZN7rocprim17ROCPRIM_400000_NS6detail17trampoline_kernelINS0_14default_configENS1_25transform_config_selectorIxLb0EEEZNS1_14transform_implILb0ES3_S5_NS0_18transform_iteratorINS0_17counting_iteratorImlEEZNS1_24adjacent_difference_implIS3_Lb1ELb0EPxN6thrust23THRUST_200600_302600_NS16discard_iteratorINSD_11use_defaultEEENSD_5minusIxEEEE10hipError_tPvRmT2_T3_mT4_P12ihipStream_tbEUlmE_xEESB_NS0_8identityIvEEEESJ_SM_SN_mSO_SQ_bEUlT_E_NS1_11comp_targetILNS1_3genE10ELNS1_11target_archE1200ELNS1_3gpuE4ELNS1_3repE0EEENS1_30default_config_static_selectorELNS0_4arch9wavefront6targetE0EEEvT1_
		.amdhsa_group_segment_fixed_size 0
		.amdhsa_private_segment_fixed_size 0
		.amdhsa_kernarg_size 56
		.amdhsa_user_sgpr_count 15
		.amdhsa_user_sgpr_dispatch_ptr 0
		.amdhsa_user_sgpr_queue_ptr 0
		.amdhsa_user_sgpr_kernarg_segment_ptr 1
		.amdhsa_user_sgpr_dispatch_id 0
		.amdhsa_user_sgpr_private_segment_size 0
		.amdhsa_wavefront_size32 1
		.amdhsa_uses_dynamic_stack 0
		.amdhsa_enable_private_segment 0
		.amdhsa_system_sgpr_workgroup_id_x 1
		.amdhsa_system_sgpr_workgroup_id_y 0
		.amdhsa_system_sgpr_workgroup_id_z 0
		.amdhsa_system_sgpr_workgroup_info 0
		.amdhsa_system_vgpr_workitem_id 0
		.amdhsa_next_free_vgpr 1
		.amdhsa_next_free_sgpr 1
		.amdhsa_reserve_vcc 0
		.amdhsa_float_round_mode_32 0
		.amdhsa_float_round_mode_16_64 0
		.amdhsa_float_denorm_mode_32 3
		.amdhsa_float_denorm_mode_16_64 3
		.amdhsa_dx10_clamp 1
		.amdhsa_ieee_mode 1
		.amdhsa_fp16_overflow 0
		.amdhsa_workgroup_processor_mode 1
		.amdhsa_memory_ordered 1
		.amdhsa_forward_progress 0
		.amdhsa_shared_vgpr_count 0
		.amdhsa_exception_fp_ieee_invalid_op 0
		.amdhsa_exception_fp_denorm_src 0
		.amdhsa_exception_fp_ieee_div_zero 0
		.amdhsa_exception_fp_ieee_overflow 0
		.amdhsa_exception_fp_ieee_underflow 0
		.amdhsa_exception_fp_ieee_inexact 0
		.amdhsa_exception_int_div_zero 0
	.end_amdhsa_kernel
	.section	.text._ZN7rocprim17ROCPRIM_400000_NS6detail17trampoline_kernelINS0_14default_configENS1_25transform_config_selectorIxLb0EEEZNS1_14transform_implILb0ES3_S5_NS0_18transform_iteratorINS0_17counting_iteratorImlEEZNS1_24adjacent_difference_implIS3_Lb1ELb0EPxN6thrust23THRUST_200600_302600_NS16discard_iteratorINSD_11use_defaultEEENSD_5minusIxEEEE10hipError_tPvRmT2_T3_mT4_P12ihipStream_tbEUlmE_xEESB_NS0_8identityIvEEEESJ_SM_SN_mSO_SQ_bEUlT_E_NS1_11comp_targetILNS1_3genE10ELNS1_11target_archE1200ELNS1_3gpuE4ELNS1_3repE0EEENS1_30default_config_static_selectorELNS0_4arch9wavefront6targetE0EEEvT1_,"axG",@progbits,_ZN7rocprim17ROCPRIM_400000_NS6detail17trampoline_kernelINS0_14default_configENS1_25transform_config_selectorIxLb0EEEZNS1_14transform_implILb0ES3_S5_NS0_18transform_iteratorINS0_17counting_iteratorImlEEZNS1_24adjacent_difference_implIS3_Lb1ELb0EPxN6thrust23THRUST_200600_302600_NS16discard_iteratorINSD_11use_defaultEEENSD_5minusIxEEEE10hipError_tPvRmT2_T3_mT4_P12ihipStream_tbEUlmE_xEESB_NS0_8identityIvEEEESJ_SM_SN_mSO_SQ_bEUlT_E_NS1_11comp_targetILNS1_3genE10ELNS1_11target_archE1200ELNS1_3gpuE4ELNS1_3repE0EEENS1_30default_config_static_selectorELNS0_4arch9wavefront6targetE0EEEvT1_,comdat
.Lfunc_end864:
	.size	_ZN7rocprim17ROCPRIM_400000_NS6detail17trampoline_kernelINS0_14default_configENS1_25transform_config_selectorIxLb0EEEZNS1_14transform_implILb0ES3_S5_NS0_18transform_iteratorINS0_17counting_iteratorImlEEZNS1_24adjacent_difference_implIS3_Lb1ELb0EPxN6thrust23THRUST_200600_302600_NS16discard_iteratorINSD_11use_defaultEEENSD_5minusIxEEEE10hipError_tPvRmT2_T3_mT4_P12ihipStream_tbEUlmE_xEESB_NS0_8identityIvEEEESJ_SM_SN_mSO_SQ_bEUlT_E_NS1_11comp_targetILNS1_3genE10ELNS1_11target_archE1200ELNS1_3gpuE4ELNS1_3repE0EEENS1_30default_config_static_selectorELNS0_4arch9wavefront6targetE0EEEvT1_, .Lfunc_end864-_ZN7rocprim17ROCPRIM_400000_NS6detail17trampoline_kernelINS0_14default_configENS1_25transform_config_selectorIxLb0EEEZNS1_14transform_implILb0ES3_S5_NS0_18transform_iteratorINS0_17counting_iteratorImlEEZNS1_24adjacent_difference_implIS3_Lb1ELb0EPxN6thrust23THRUST_200600_302600_NS16discard_iteratorINSD_11use_defaultEEENSD_5minusIxEEEE10hipError_tPvRmT2_T3_mT4_P12ihipStream_tbEUlmE_xEESB_NS0_8identityIvEEEESJ_SM_SN_mSO_SQ_bEUlT_E_NS1_11comp_targetILNS1_3genE10ELNS1_11target_archE1200ELNS1_3gpuE4ELNS1_3repE0EEENS1_30default_config_static_selectorELNS0_4arch9wavefront6targetE0EEEvT1_
                                        ; -- End function
	.section	.AMDGPU.csdata,"",@progbits
; Kernel info:
; codeLenInByte = 0
; NumSgprs: 0
; NumVgprs: 0
; ScratchSize: 0
; MemoryBound: 0
; FloatMode: 240
; IeeeMode: 1
; LDSByteSize: 0 bytes/workgroup (compile time only)
; SGPRBlocks: 0
; VGPRBlocks: 0
; NumSGPRsForWavesPerEU: 1
; NumVGPRsForWavesPerEU: 1
; Occupancy: 16
; WaveLimiterHint : 0
; COMPUTE_PGM_RSRC2:SCRATCH_EN: 0
; COMPUTE_PGM_RSRC2:USER_SGPR: 15
; COMPUTE_PGM_RSRC2:TRAP_HANDLER: 0
; COMPUTE_PGM_RSRC2:TGID_X_EN: 1
; COMPUTE_PGM_RSRC2:TGID_Y_EN: 0
; COMPUTE_PGM_RSRC2:TGID_Z_EN: 0
; COMPUTE_PGM_RSRC2:TIDIG_COMP_CNT: 0
	.section	.text._ZN7rocprim17ROCPRIM_400000_NS6detail17trampoline_kernelINS0_14default_configENS1_25transform_config_selectorIxLb0EEEZNS1_14transform_implILb0ES3_S5_NS0_18transform_iteratorINS0_17counting_iteratorImlEEZNS1_24adjacent_difference_implIS3_Lb1ELb0EPxN6thrust23THRUST_200600_302600_NS16discard_iteratorINSD_11use_defaultEEENSD_5minusIxEEEE10hipError_tPvRmT2_T3_mT4_P12ihipStream_tbEUlmE_xEESB_NS0_8identityIvEEEESJ_SM_SN_mSO_SQ_bEUlT_E_NS1_11comp_targetILNS1_3genE9ELNS1_11target_archE1100ELNS1_3gpuE3ELNS1_3repE0EEENS1_30default_config_static_selectorELNS0_4arch9wavefront6targetE0EEEvT1_,"axG",@progbits,_ZN7rocprim17ROCPRIM_400000_NS6detail17trampoline_kernelINS0_14default_configENS1_25transform_config_selectorIxLb0EEEZNS1_14transform_implILb0ES3_S5_NS0_18transform_iteratorINS0_17counting_iteratorImlEEZNS1_24adjacent_difference_implIS3_Lb1ELb0EPxN6thrust23THRUST_200600_302600_NS16discard_iteratorINSD_11use_defaultEEENSD_5minusIxEEEE10hipError_tPvRmT2_T3_mT4_P12ihipStream_tbEUlmE_xEESB_NS0_8identityIvEEEESJ_SM_SN_mSO_SQ_bEUlT_E_NS1_11comp_targetILNS1_3genE9ELNS1_11target_archE1100ELNS1_3gpuE3ELNS1_3repE0EEENS1_30default_config_static_selectorELNS0_4arch9wavefront6targetE0EEEvT1_,comdat
	.protected	_ZN7rocprim17ROCPRIM_400000_NS6detail17trampoline_kernelINS0_14default_configENS1_25transform_config_selectorIxLb0EEEZNS1_14transform_implILb0ES3_S5_NS0_18transform_iteratorINS0_17counting_iteratorImlEEZNS1_24adjacent_difference_implIS3_Lb1ELb0EPxN6thrust23THRUST_200600_302600_NS16discard_iteratorINSD_11use_defaultEEENSD_5minusIxEEEE10hipError_tPvRmT2_T3_mT4_P12ihipStream_tbEUlmE_xEESB_NS0_8identityIvEEEESJ_SM_SN_mSO_SQ_bEUlT_E_NS1_11comp_targetILNS1_3genE9ELNS1_11target_archE1100ELNS1_3gpuE3ELNS1_3repE0EEENS1_30default_config_static_selectorELNS0_4arch9wavefront6targetE0EEEvT1_ ; -- Begin function _ZN7rocprim17ROCPRIM_400000_NS6detail17trampoline_kernelINS0_14default_configENS1_25transform_config_selectorIxLb0EEEZNS1_14transform_implILb0ES3_S5_NS0_18transform_iteratorINS0_17counting_iteratorImlEEZNS1_24adjacent_difference_implIS3_Lb1ELb0EPxN6thrust23THRUST_200600_302600_NS16discard_iteratorINSD_11use_defaultEEENSD_5minusIxEEEE10hipError_tPvRmT2_T3_mT4_P12ihipStream_tbEUlmE_xEESB_NS0_8identityIvEEEESJ_SM_SN_mSO_SQ_bEUlT_E_NS1_11comp_targetILNS1_3genE9ELNS1_11target_archE1100ELNS1_3gpuE3ELNS1_3repE0EEENS1_30default_config_static_selectorELNS0_4arch9wavefront6targetE0EEEvT1_
	.globl	_ZN7rocprim17ROCPRIM_400000_NS6detail17trampoline_kernelINS0_14default_configENS1_25transform_config_selectorIxLb0EEEZNS1_14transform_implILb0ES3_S5_NS0_18transform_iteratorINS0_17counting_iteratorImlEEZNS1_24adjacent_difference_implIS3_Lb1ELb0EPxN6thrust23THRUST_200600_302600_NS16discard_iteratorINSD_11use_defaultEEENSD_5minusIxEEEE10hipError_tPvRmT2_T3_mT4_P12ihipStream_tbEUlmE_xEESB_NS0_8identityIvEEEESJ_SM_SN_mSO_SQ_bEUlT_E_NS1_11comp_targetILNS1_3genE9ELNS1_11target_archE1100ELNS1_3gpuE3ELNS1_3repE0EEENS1_30default_config_static_selectorELNS0_4arch9wavefront6targetE0EEEvT1_
	.p2align	8
	.type	_ZN7rocprim17ROCPRIM_400000_NS6detail17trampoline_kernelINS0_14default_configENS1_25transform_config_selectorIxLb0EEEZNS1_14transform_implILb0ES3_S5_NS0_18transform_iteratorINS0_17counting_iteratorImlEEZNS1_24adjacent_difference_implIS3_Lb1ELb0EPxN6thrust23THRUST_200600_302600_NS16discard_iteratorINSD_11use_defaultEEENSD_5minusIxEEEE10hipError_tPvRmT2_T3_mT4_P12ihipStream_tbEUlmE_xEESB_NS0_8identityIvEEEESJ_SM_SN_mSO_SQ_bEUlT_E_NS1_11comp_targetILNS1_3genE9ELNS1_11target_archE1100ELNS1_3gpuE3ELNS1_3repE0EEENS1_30default_config_static_selectorELNS0_4arch9wavefront6targetE0EEEvT1_,@function
_ZN7rocprim17ROCPRIM_400000_NS6detail17trampoline_kernelINS0_14default_configENS1_25transform_config_selectorIxLb0EEEZNS1_14transform_implILb0ES3_S5_NS0_18transform_iteratorINS0_17counting_iteratorImlEEZNS1_24adjacent_difference_implIS3_Lb1ELb0EPxN6thrust23THRUST_200600_302600_NS16discard_iteratorINSD_11use_defaultEEENSD_5minusIxEEEE10hipError_tPvRmT2_T3_mT4_P12ihipStream_tbEUlmE_xEESB_NS0_8identityIvEEEESJ_SM_SN_mSO_SQ_bEUlT_E_NS1_11comp_targetILNS1_3genE9ELNS1_11target_archE1100ELNS1_3gpuE3ELNS1_3repE0EEENS1_30default_config_static_selectorELNS0_4arch9wavefront6targetE0EEEvT1_: ; @_ZN7rocprim17ROCPRIM_400000_NS6detail17trampoline_kernelINS0_14default_configENS1_25transform_config_selectorIxLb0EEEZNS1_14transform_implILb0ES3_S5_NS0_18transform_iteratorINS0_17counting_iteratorImlEEZNS1_24adjacent_difference_implIS3_Lb1ELb0EPxN6thrust23THRUST_200600_302600_NS16discard_iteratorINSD_11use_defaultEEENSD_5minusIxEEEE10hipError_tPvRmT2_T3_mT4_P12ihipStream_tbEUlmE_xEESB_NS0_8identityIvEEEESJ_SM_SN_mSO_SQ_bEUlT_E_NS1_11comp_targetILNS1_3genE9ELNS1_11target_archE1100ELNS1_3gpuE3ELNS1_3repE0EEENS1_30default_config_static_selectorELNS0_4arch9wavefront6targetE0EEEvT1_
; %bb.0:
	s_clause 0x4
	s_load_b128 s[4:7], s[0:1], 0x0
	s_load_b64 s[2:3], s[0:1], 0x18
	s_load_b64 s[12:13], s[0:1], 0x28
	s_load_b32 s11, s[0:1], 0x38
	s_load_b32 s8, s[0:1], 0x10
	s_waitcnt lgkmcnt(0)
	s_add_u32 s9, s2, s4
	s_addc_u32 s10, s3, s5
	s_lshl_b64 s[2:3], s[2:3], 3
	s_delay_alu instid0(SALU_CYCLE_1)
	s_add_u32 s4, s12, s2
	s_addc_u32 s5, s13, s3
	s_add_i32 s11, s11, -1
	s_lshl_b32 s2, s15, 9
	s_mov_b32 s3, 0
	s_cmp_lg_u32 s15, s11
	s_mov_b32 s11, -1
	s_cbranch_scc0 .LBB865_2
; %bb.1:
	s_add_u32 s11, s9, s2
	s_addc_u32 s12, s10, 0
	v_add_co_u32 v3, s11, s11, v0
	s_delay_alu instid0(VALU_DEP_1) | instskip(SKIP_1) | instid1(VALU_DEP_2)
	v_add_co_ci_u32_e64 v5, null, s12, 0, s11
	s_lshl_b64 s[12:13], s[2:3], 3
	v_mad_u64_u32 v[1:2], null, v3, s8, 0
	s_add_u32 s12, s4, s12
	s_addc_u32 s13, s5, s13
	s_mov_b32 s11, s3
	s_delay_alu instid0(VALU_DEP_1) | instskip(NEXT) | instid1(VALU_DEP_1)
	v_mad_u64_u32 v[3:4], null, v5, s8, v[2:3]
	v_dual_mov_b32 v2, v3 :: v_dual_lshlrev_b32 v3, 3, v0
	s_delay_alu instid0(VALU_DEP_1) | instskip(NEXT) | instid1(VALU_DEP_1)
	v_lshlrev_b64 v[1:2], 3, v[1:2]
	v_add_co_u32 v1, vcc_lo, s6, v1
	s_delay_alu instid0(VALU_DEP_2)
	v_add_co_ci_u32_e32 v2, vcc_lo, s7, v2, vcc_lo
	global_load_b64 v[1:2], v[1:2], off
	s_waitcnt vmcnt(0)
	global_store_b64 v3, v[1:2], s[12:13]
.LBB865_2:
	s_and_not1_b32 vcc_lo, exec_lo, s11
	s_cbranch_vccnz .LBB865_7
; %bb.3:
	s_load_b32 s0, s[0:1], 0x20
                                        ; implicit-def: $vgpr1_vgpr2
	s_waitcnt lgkmcnt(0)
	s_sub_i32 s0, s0, s2
	s_delay_alu instid0(SALU_CYCLE_1)
	v_cmp_gt_u32_e32 vcc_lo, s0, v0
	s_and_saveexec_b32 s1, vcc_lo
	s_cbranch_execz .LBB865_5
; %bb.4:
	s_add_u32 s0, s9, s2
	s_addc_u32 s9, s10, 0
	v_add_co_u32 v3, s0, s0, v0
	s_delay_alu instid0(VALU_DEP_1) | instskip(NEXT) | instid1(VALU_DEP_2)
	v_add_co_ci_u32_e64 v5, null, s9, 0, s0
	v_mad_u64_u32 v[1:2], null, v3, s8, 0
	s_delay_alu instid0(VALU_DEP_1) | instskip(NEXT) | instid1(VALU_DEP_1)
	v_mad_u64_u32 v[3:4], null, v5, s8, v[2:3]
	v_mov_b32_e32 v2, v3
	s_delay_alu instid0(VALU_DEP_1) | instskip(NEXT) | instid1(VALU_DEP_1)
	v_lshlrev_b64 v[1:2], 3, v[1:2]
	v_add_co_u32 v1, s0, s6, v1
	s_delay_alu instid0(VALU_DEP_1)
	v_add_co_ci_u32_e64 v2, s0, s7, v2, s0
	global_load_b64 v[1:2], v[1:2], off
.LBB865_5:
	s_or_b32 exec_lo, exec_lo, s1
	s_and_saveexec_b32 s0, vcc_lo
	s_cbranch_execz .LBB865_7
; %bb.6:
	s_lshl_b64 s[0:1], s[2:3], 3
	v_lshlrev_b32_e32 v0, 3, v0
	s_add_u32 s0, s4, s0
	s_addc_u32 s1, s5, s1
	s_waitcnt vmcnt(0)
	global_store_b64 v0, v[1:2], s[0:1]
.LBB865_7:
	s_nop 0
	s_sendmsg sendmsg(MSG_DEALLOC_VGPRS)
	s_endpgm
	.section	.rodata,"a",@progbits
	.p2align	6, 0x0
	.amdhsa_kernel _ZN7rocprim17ROCPRIM_400000_NS6detail17trampoline_kernelINS0_14default_configENS1_25transform_config_selectorIxLb0EEEZNS1_14transform_implILb0ES3_S5_NS0_18transform_iteratorINS0_17counting_iteratorImlEEZNS1_24adjacent_difference_implIS3_Lb1ELb0EPxN6thrust23THRUST_200600_302600_NS16discard_iteratorINSD_11use_defaultEEENSD_5minusIxEEEE10hipError_tPvRmT2_T3_mT4_P12ihipStream_tbEUlmE_xEESB_NS0_8identityIvEEEESJ_SM_SN_mSO_SQ_bEUlT_E_NS1_11comp_targetILNS1_3genE9ELNS1_11target_archE1100ELNS1_3gpuE3ELNS1_3repE0EEENS1_30default_config_static_selectorELNS0_4arch9wavefront6targetE0EEEvT1_
		.amdhsa_group_segment_fixed_size 0
		.amdhsa_private_segment_fixed_size 0
		.amdhsa_kernarg_size 312
		.amdhsa_user_sgpr_count 15
		.amdhsa_user_sgpr_dispatch_ptr 0
		.amdhsa_user_sgpr_queue_ptr 0
		.amdhsa_user_sgpr_kernarg_segment_ptr 1
		.amdhsa_user_sgpr_dispatch_id 0
		.amdhsa_user_sgpr_private_segment_size 0
		.amdhsa_wavefront_size32 1
		.amdhsa_uses_dynamic_stack 0
		.amdhsa_enable_private_segment 0
		.amdhsa_system_sgpr_workgroup_id_x 1
		.amdhsa_system_sgpr_workgroup_id_y 0
		.amdhsa_system_sgpr_workgroup_id_z 0
		.amdhsa_system_sgpr_workgroup_info 0
		.amdhsa_system_vgpr_workitem_id 0
		.amdhsa_next_free_vgpr 6
		.amdhsa_next_free_sgpr 16
		.amdhsa_reserve_vcc 1
		.amdhsa_float_round_mode_32 0
		.amdhsa_float_round_mode_16_64 0
		.amdhsa_float_denorm_mode_32 3
		.amdhsa_float_denorm_mode_16_64 3
		.amdhsa_dx10_clamp 1
		.amdhsa_ieee_mode 1
		.amdhsa_fp16_overflow 0
		.amdhsa_workgroup_processor_mode 1
		.amdhsa_memory_ordered 1
		.amdhsa_forward_progress 0
		.amdhsa_shared_vgpr_count 0
		.amdhsa_exception_fp_ieee_invalid_op 0
		.amdhsa_exception_fp_denorm_src 0
		.amdhsa_exception_fp_ieee_div_zero 0
		.amdhsa_exception_fp_ieee_overflow 0
		.amdhsa_exception_fp_ieee_underflow 0
		.amdhsa_exception_fp_ieee_inexact 0
		.amdhsa_exception_int_div_zero 0
	.end_amdhsa_kernel
	.section	.text._ZN7rocprim17ROCPRIM_400000_NS6detail17trampoline_kernelINS0_14default_configENS1_25transform_config_selectorIxLb0EEEZNS1_14transform_implILb0ES3_S5_NS0_18transform_iteratorINS0_17counting_iteratorImlEEZNS1_24adjacent_difference_implIS3_Lb1ELb0EPxN6thrust23THRUST_200600_302600_NS16discard_iteratorINSD_11use_defaultEEENSD_5minusIxEEEE10hipError_tPvRmT2_T3_mT4_P12ihipStream_tbEUlmE_xEESB_NS0_8identityIvEEEESJ_SM_SN_mSO_SQ_bEUlT_E_NS1_11comp_targetILNS1_3genE9ELNS1_11target_archE1100ELNS1_3gpuE3ELNS1_3repE0EEENS1_30default_config_static_selectorELNS0_4arch9wavefront6targetE0EEEvT1_,"axG",@progbits,_ZN7rocprim17ROCPRIM_400000_NS6detail17trampoline_kernelINS0_14default_configENS1_25transform_config_selectorIxLb0EEEZNS1_14transform_implILb0ES3_S5_NS0_18transform_iteratorINS0_17counting_iteratorImlEEZNS1_24adjacent_difference_implIS3_Lb1ELb0EPxN6thrust23THRUST_200600_302600_NS16discard_iteratorINSD_11use_defaultEEENSD_5minusIxEEEE10hipError_tPvRmT2_T3_mT4_P12ihipStream_tbEUlmE_xEESB_NS0_8identityIvEEEESJ_SM_SN_mSO_SQ_bEUlT_E_NS1_11comp_targetILNS1_3genE9ELNS1_11target_archE1100ELNS1_3gpuE3ELNS1_3repE0EEENS1_30default_config_static_selectorELNS0_4arch9wavefront6targetE0EEEvT1_,comdat
.Lfunc_end865:
	.size	_ZN7rocprim17ROCPRIM_400000_NS6detail17trampoline_kernelINS0_14default_configENS1_25transform_config_selectorIxLb0EEEZNS1_14transform_implILb0ES3_S5_NS0_18transform_iteratorINS0_17counting_iteratorImlEEZNS1_24adjacent_difference_implIS3_Lb1ELb0EPxN6thrust23THRUST_200600_302600_NS16discard_iteratorINSD_11use_defaultEEENSD_5minusIxEEEE10hipError_tPvRmT2_T3_mT4_P12ihipStream_tbEUlmE_xEESB_NS0_8identityIvEEEESJ_SM_SN_mSO_SQ_bEUlT_E_NS1_11comp_targetILNS1_3genE9ELNS1_11target_archE1100ELNS1_3gpuE3ELNS1_3repE0EEENS1_30default_config_static_selectorELNS0_4arch9wavefront6targetE0EEEvT1_, .Lfunc_end865-_ZN7rocprim17ROCPRIM_400000_NS6detail17trampoline_kernelINS0_14default_configENS1_25transform_config_selectorIxLb0EEEZNS1_14transform_implILb0ES3_S5_NS0_18transform_iteratorINS0_17counting_iteratorImlEEZNS1_24adjacent_difference_implIS3_Lb1ELb0EPxN6thrust23THRUST_200600_302600_NS16discard_iteratorINSD_11use_defaultEEENSD_5minusIxEEEE10hipError_tPvRmT2_T3_mT4_P12ihipStream_tbEUlmE_xEESB_NS0_8identityIvEEEESJ_SM_SN_mSO_SQ_bEUlT_E_NS1_11comp_targetILNS1_3genE9ELNS1_11target_archE1100ELNS1_3gpuE3ELNS1_3repE0EEENS1_30default_config_static_selectorELNS0_4arch9wavefront6targetE0EEEvT1_
                                        ; -- End function
	.section	.AMDGPU.csdata,"",@progbits
; Kernel info:
; codeLenInByte = 400
; NumSgprs: 18
; NumVgprs: 6
; ScratchSize: 0
; MemoryBound: 0
; FloatMode: 240
; IeeeMode: 1
; LDSByteSize: 0 bytes/workgroup (compile time only)
; SGPRBlocks: 2
; VGPRBlocks: 0
; NumSGPRsForWavesPerEU: 18
; NumVGPRsForWavesPerEU: 6
; Occupancy: 16
; WaveLimiterHint : 0
; COMPUTE_PGM_RSRC2:SCRATCH_EN: 0
; COMPUTE_PGM_RSRC2:USER_SGPR: 15
; COMPUTE_PGM_RSRC2:TRAP_HANDLER: 0
; COMPUTE_PGM_RSRC2:TGID_X_EN: 1
; COMPUTE_PGM_RSRC2:TGID_Y_EN: 0
; COMPUTE_PGM_RSRC2:TGID_Z_EN: 0
; COMPUTE_PGM_RSRC2:TIDIG_COMP_CNT: 0
	.section	.text._ZN7rocprim17ROCPRIM_400000_NS6detail17trampoline_kernelINS0_14default_configENS1_25transform_config_selectorIxLb0EEEZNS1_14transform_implILb0ES3_S5_NS0_18transform_iteratorINS0_17counting_iteratorImlEEZNS1_24adjacent_difference_implIS3_Lb1ELb0EPxN6thrust23THRUST_200600_302600_NS16discard_iteratorINSD_11use_defaultEEENSD_5minusIxEEEE10hipError_tPvRmT2_T3_mT4_P12ihipStream_tbEUlmE_xEESB_NS0_8identityIvEEEESJ_SM_SN_mSO_SQ_bEUlT_E_NS1_11comp_targetILNS1_3genE8ELNS1_11target_archE1030ELNS1_3gpuE2ELNS1_3repE0EEENS1_30default_config_static_selectorELNS0_4arch9wavefront6targetE0EEEvT1_,"axG",@progbits,_ZN7rocprim17ROCPRIM_400000_NS6detail17trampoline_kernelINS0_14default_configENS1_25transform_config_selectorIxLb0EEEZNS1_14transform_implILb0ES3_S5_NS0_18transform_iteratorINS0_17counting_iteratorImlEEZNS1_24adjacent_difference_implIS3_Lb1ELb0EPxN6thrust23THRUST_200600_302600_NS16discard_iteratorINSD_11use_defaultEEENSD_5minusIxEEEE10hipError_tPvRmT2_T3_mT4_P12ihipStream_tbEUlmE_xEESB_NS0_8identityIvEEEESJ_SM_SN_mSO_SQ_bEUlT_E_NS1_11comp_targetILNS1_3genE8ELNS1_11target_archE1030ELNS1_3gpuE2ELNS1_3repE0EEENS1_30default_config_static_selectorELNS0_4arch9wavefront6targetE0EEEvT1_,comdat
	.protected	_ZN7rocprim17ROCPRIM_400000_NS6detail17trampoline_kernelINS0_14default_configENS1_25transform_config_selectorIxLb0EEEZNS1_14transform_implILb0ES3_S5_NS0_18transform_iteratorINS0_17counting_iteratorImlEEZNS1_24adjacent_difference_implIS3_Lb1ELb0EPxN6thrust23THRUST_200600_302600_NS16discard_iteratorINSD_11use_defaultEEENSD_5minusIxEEEE10hipError_tPvRmT2_T3_mT4_P12ihipStream_tbEUlmE_xEESB_NS0_8identityIvEEEESJ_SM_SN_mSO_SQ_bEUlT_E_NS1_11comp_targetILNS1_3genE8ELNS1_11target_archE1030ELNS1_3gpuE2ELNS1_3repE0EEENS1_30default_config_static_selectorELNS0_4arch9wavefront6targetE0EEEvT1_ ; -- Begin function _ZN7rocprim17ROCPRIM_400000_NS6detail17trampoline_kernelINS0_14default_configENS1_25transform_config_selectorIxLb0EEEZNS1_14transform_implILb0ES3_S5_NS0_18transform_iteratorINS0_17counting_iteratorImlEEZNS1_24adjacent_difference_implIS3_Lb1ELb0EPxN6thrust23THRUST_200600_302600_NS16discard_iteratorINSD_11use_defaultEEENSD_5minusIxEEEE10hipError_tPvRmT2_T3_mT4_P12ihipStream_tbEUlmE_xEESB_NS0_8identityIvEEEESJ_SM_SN_mSO_SQ_bEUlT_E_NS1_11comp_targetILNS1_3genE8ELNS1_11target_archE1030ELNS1_3gpuE2ELNS1_3repE0EEENS1_30default_config_static_selectorELNS0_4arch9wavefront6targetE0EEEvT1_
	.globl	_ZN7rocprim17ROCPRIM_400000_NS6detail17trampoline_kernelINS0_14default_configENS1_25transform_config_selectorIxLb0EEEZNS1_14transform_implILb0ES3_S5_NS0_18transform_iteratorINS0_17counting_iteratorImlEEZNS1_24adjacent_difference_implIS3_Lb1ELb0EPxN6thrust23THRUST_200600_302600_NS16discard_iteratorINSD_11use_defaultEEENSD_5minusIxEEEE10hipError_tPvRmT2_T3_mT4_P12ihipStream_tbEUlmE_xEESB_NS0_8identityIvEEEESJ_SM_SN_mSO_SQ_bEUlT_E_NS1_11comp_targetILNS1_3genE8ELNS1_11target_archE1030ELNS1_3gpuE2ELNS1_3repE0EEENS1_30default_config_static_selectorELNS0_4arch9wavefront6targetE0EEEvT1_
	.p2align	8
	.type	_ZN7rocprim17ROCPRIM_400000_NS6detail17trampoline_kernelINS0_14default_configENS1_25transform_config_selectorIxLb0EEEZNS1_14transform_implILb0ES3_S5_NS0_18transform_iteratorINS0_17counting_iteratorImlEEZNS1_24adjacent_difference_implIS3_Lb1ELb0EPxN6thrust23THRUST_200600_302600_NS16discard_iteratorINSD_11use_defaultEEENSD_5minusIxEEEE10hipError_tPvRmT2_T3_mT4_P12ihipStream_tbEUlmE_xEESB_NS0_8identityIvEEEESJ_SM_SN_mSO_SQ_bEUlT_E_NS1_11comp_targetILNS1_3genE8ELNS1_11target_archE1030ELNS1_3gpuE2ELNS1_3repE0EEENS1_30default_config_static_selectorELNS0_4arch9wavefront6targetE0EEEvT1_,@function
_ZN7rocprim17ROCPRIM_400000_NS6detail17trampoline_kernelINS0_14default_configENS1_25transform_config_selectorIxLb0EEEZNS1_14transform_implILb0ES3_S5_NS0_18transform_iteratorINS0_17counting_iteratorImlEEZNS1_24adjacent_difference_implIS3_Lb1ELb0EPxN6thrust23THRUST_200600_302600_NS16discard_iteratorINSD_11use_defaultEEENSD_5minusIxEEEE10hipError_tPvRmT2_T3_mT4_P12ihipStream_tbEUlmE_xEESB_NS0_8identityIvEEEESJ_SM_SN_mSO_SQ_bEUlT_E_NS1_11comp_targetILNS1_3genE8ELNS1_11target_archE1030ELNS1_3gpuE2ELNS1_3repE0EEENS1_30default_config_static_selectorELNS0_4arch9wavefront6targetE0EEEvT1_: ; @_ZN7rocprim17ROCPRIM_400000_NS6detail17trampoline_kernelINS0_14default_configENS1_25transform_config_selectorIxLb0EEEZNS1_14transform_implILb0ES3_S5_NS0_18transform_iteratorINS0_17counting_iteratorImlEEZNS1_24adjacent_difference_implIS3_Lb1ELb0EPxN6thrust23THRUST_200600_302600_NS16discard_iteratorINSD_11use_defaultEEENSD_5minusIxEEEE10hipError_tPvRmT2_T3_mT4_P12ihipStream_tbEUlmE_xEESB_NS0_8identityIvEEEESJ_SM_SN_mSO_SQ_bEUlT_E_NS1_11comp_targetILNS1_3genE8ELNS1_11target_archE1030ELNS1_3gpuE2ELNS1_3repE0EEENS1_30default_config_static_selectorELNS0_4arch9wavefront6targetE0EEEvT1_
; %bb.0:
	.section	.rodata,"a",@progbits
	.p2align	6, 0x0
	.amdhsa_kernel _ZN7rocprim17ROCPRIM_400000_NS6detail17trampoline_kernelINS0_14default_configENS1_25transform_config_selectorIxLb0EEEZNS1_14transform_implILb0ES3_S5_NS0_18transform_iteratorINS0_17counting_iteratorImlEEZNS1_24adjacent_difference_implIS3_Lb1ELb0EPxN6thrust23THRUST_200600_302600_NS16discard_iteratorINSD_11use_defaultEEENSD_5minusIxEEEE10hipError_tPvRmT2_T3_mT4_P12ihipStream_tbEUlmE_xEESB_NS0_8identityIvEEEESJ_SM_SN_mSO_SQ_bEUlT_E_NS1_11comp_targetILNS1_3genE8ELNS1_11target_archE1030ELNS1_3gpuE2ELNS1_3repE0EEENS1_30default_config_static_selectorELNS0_4arch9wavefront6targetE0EEEvT1_
		.amdhsa_group_segment_fixed_size 0
		.amdhsa_private_segment_fixed_size 0
		.amdhsa_kernarg_size 56
		.amdhsa_user_sgpr_count 15
		.amdhsa_user_sgpr_dispatch_ptr 0
		.amdhsa_user_sgpr_queue_ptr 0
		.amdhsa_user_sgpr_kernarg_segment_ptr 1
		.amdhsa_user_sgpr_dispatch_id 0
		.amdhsa_user_sgpr_private_segment_size 0
		.amdhsa_wavefront_size32 1
		.amdhsa_uses_dynamic_stack 0
		.amdhsa_enable_private_segment 0
		.amdhsa_system_sgpr_workgroup_id_x 1
		.amdhsa_system_sgpr_workgroup_id_y 0
		.amdhsa_system_sgpr_workgroup_id_z 0
		.amdhsa_system_sgpr_workgroup_info 0
		.amdhsa_system_vgpr_workitem_id 0
		.amdhsa_next_free_vgpr 1
		.amdhsa_next_free_sgpr 1
		.amdhsa_reserve_vcc 0
		.amdhsa_float_round_mode_32 0
		.amdhsa_float_round_mode_16_64 0
		.amdhsa_float_denorm_mode_32 3
		.amdhsa_float_denorm_mode_16_64 3
		.amdhsa_dx10_clamp 1
		.amdhsa_ieee_mode 1
		.amdhsa_fp16_overflow 0
		.amdhsa_workgroup_processor_mode 1
		.amdhsa_memory_ordered 1
		.amdhsa_forward_progress 0
		.amdhsa_shared_vgpr_count 0
		.amdhsa_exception_fp_ieee_invalid_op 0
		.amdhsa_exception_fp_denorm_src 0
		.amdhsa_exception_fp_ieee_div_zero 0
		.amdhsa_exception_fp_ieee_overflow 0
		.amdhsa_exception_fp_ieee_underflow 0
		.amdhsa_exception_fp_ieee_inexact 0
		.amdhsa_exception_int_div_zero 0
	.end_amdhsa_kernel
	.section	.text._ZN7rocprim17ROCPRIM_400000_NS6detail17trampoline_kernelINS0_14default_configENS1_25transform_config_selectorIxLb0EEEZNS1_14transform_implILb0ES3_S5_NS0_18transform_iteratorINS0_17counting_iteratorImlEEZNS1_24adjacent_difference_implIS3_Lb1ELb0EPxN6thrust23THRUST_200600_302600_NS16discard_iteratorINSD_11use_defaultEEENSD_5minusIxEEEE10hipError_tPvRmT2_T3_mT4_P12ihipStream_tbEUlmE_xEESB_NS0_8identityIvEEEESJ_SM_SN_mSO_SQ_bEUlT_E_NS1_11comp_targetILNS1_3genE8ELNS1_11target_archE1030ELNS1_3gpuE2ELNS1_3repE0EEENS1_30default_config_static_selectorELNS0_4arch9wavefront6targetE0EEEvT1_,"axG",@progbits,_ZN7rocprim17ROCPRIM_400000_NS6detail17trampoline_kernelINS0_14default_configENS1_25transform_config_selectorIxLb0EEEZNS1_14transform_implILb0ES3_S5_NS0_18transform_iteratorINS0_17counting_iteratorImlEEZNS1_24adjacent_difference_implIS3_Lb1ELb0EPxN6thrust23THRUST_200600_302600_NS16discard_iteratorINSD_11use_defaultEEENSD_5minusIxEEEE10hipError_tPvRmT2_T3_mT4_P12ihipStream_tbEUlmE_xEESB_NS0_8identityIvEEEESJ_SM_SN_mSO_SQ_bEUlT_E_NS1_11comp_targetILNS1_3genE8ELNS1_11target_archE1030ELNS1_3gpuE2ELNS1_3repE0EEENS1_30default_config_static_selectorELNS0_4arch9wavefront6targetE0EEEvT1_,comdat
.Lfunc_end866:
	.size	_ZN7rocprim17ROCPRIM_400000_NS6detail17trampoline_kernelINS0_14default_configENS1_25transform_config_selectorIxLb0EEEZNS1_14transform_implILb0ES3_S5_NS0_18transform_iteratorINS0_17counting_iteratorImlEEZNS1_24adjacent_difference_implIS3_Lb1ELb0EPxN6thrust23THRUST_200600_302600_NS16discard_iteratorINSD_11use_defaultEEENSD_5minusIxEEEE10hipError_tPvRmT2_T3_mT4_P12ihipStream_tbEUlmE_xEESB_NS0_8identityIvEEEESJ_SM_SN_mSO_SQ_bEUlT_E_NS1_11comp_targetILNS1_3genE8ELNS1_11target_archE1030ELNS1_3gpuE2ELNS1_3repE0EEENS1_30default_config_static_selectorELNS0_4arch9wavefront6targetE0EEEvT1_, .Lfunc_end866-_ZN7rocprim17ROCPRIM_400000_NS6detail17trampoline_kernelINS0_14default_configENS1_25transform_config_selectorIxLb0EEEZNS1_14transform_implILb0ES3_S5_NS0_18transform_iteratorINS0_17counting_iteratorImlEEZNS1_24adjacent_difference_implIS3_Lb1ELb0EPxN6thrust23THRUST_200600_302600_NS16discard_iteratorINSD_11use_defaultEEENSD_5minusIxEEEE10hipError_tPvRmT2_T3_mT4_P12ihipStream_tbEUlmE_xEESB_NS0_8identityIvEEEESJ_SM_SN_mSO_SQ_bEUlT_E_NS1_11comp_targetILNS1_3genE8ELNS1_11target_archE1030ELNS1_3gpuE2ELNS1_3repE0EEENS1_30default_config_static_selectorELNS0_4arch9wavefront6targetE0EEEvT1_
                                        ; -- End function
	.section	.AMDGPU.csdata,"",@progbits
; Kernel info:
; codeLenInByte = 0
; NumSgprs: 0
; NumVgprs: 0
; ScratchSize: 0
; MemoryBound: 0
; FloatMode: 240
; IeeeMode: 1
; LDSByteSize: 0 bytes/workgroup (compile time only)
; SGPRBlocks: 0
; VGPRBlocks: 0
; NumSGPRsForWavesPerEU: 1
; NumVGPRsForWavesPerEU: 1
; Occupancy: 16
; WaveLimiterHint : 0
; COMPUTE_PGM_RSRC2:SCRATCH_EN: 0
; COMPUTE_PGM_RSRC2:USER_SGPR: 15
; COMPUTE_PGM_RSRC2:TRAP_HANDLER: 0
; COMPUTE_PGM_RSRC2:TGID_X_EN: 1
; COMPUTE_PGM_RSRC2:TGID_Y_EN: 0
; COMPUTE_PGM_RSRC2:TGID_Z_EN: 0
; COMPUTE_PGM_RSRC2:TIDIG_COMP_CNT: 0
	.section	.text._ZN7rocprim17ROCPRIM_400000_NS6detail17trampoline_kernelINS0_14default_configENS1_35adjacent_difference_config_selectorILb1ExEEZNS1_24adjacent_difference_implIS3_Lb1ELb0EPxN6thrust23THRUST_200600_302600_NS16discard_iteratorINS9_11use_defaultEEENS9_5minusIxEEEE10hipError_tPvRmT2_T3_mT4_P12ihipStream_tbEUlT_E_NS1_11comp_targetILNS1_3genE0ELNS1_11target_archE4294967295ELNS1_3gpuE0ELNS1_3repE0EEENS1_30default_config_static_selectorELNS0_4arch9wavefront6targetE0EEEvT1_,"axG",@progbits,_ZN7rocprim17ROCPRIM_400000_NS6detail17trampoline_kernelINS0_14default_configENS1_35adjacent_difference_config_selectorILb1ExEEZNS1_24adjacent_difference_implIS3_Lb1ELb0EPxN6thrust23THRUST_200600_302600_NS16discard_iteratorINS9_11use_defaultEEENS9_5minusIxEEEE10hipError_tPvRmT2_T3_mT4_P12ihipStream_tbEUlT_E_NS1_11comp_targetILNS1_3genE0ELNS1_11target_archE4294967295ELNS1_3gpuE0ELNS1_3repE0EEENS1_30default_config_static_selectorELNS0_4arch9wavefront6targetE0EEEvT1_,comdat
	.protected	_ZN7rocprim17ROCPRIM_400000_NS6detail17trampoline_kernelINS0_14default_configENS1_35adjacent_difference_config_selectorILb1ExEEZNS1_24adjacent_difference_implIS3_Lb1ELb0EPxN6thrust23THRUST_200600_302600_NS16discard_iteratorINS9_11use_defaultEEENS9_5minusIxEEEE10hipError_tPvRmT2_T3_mT4_P12ihipStream_tbEUlT_E_NS1_11comp_targetILNS1_3genE0ELNS1_11target_archE4294967295ELNS1_3gpuE0ELNS1_3repE0EEENS1_30default_config_static_selectorELNS0_4arch9wavefront6targetE0EEEvT1_ ; -- Begin function _ZN7rocprim17ROCPRIM_400000_NS6detail17trampoline_kernelINS0_14default_configENS1_35adjacent_difference_config_selectorILb1ExEEZNS1_24adjacent_difference_implIS3_Lb1ELb0EPxN6thrust23THRUST_200600_302600_NS16discard_iteratorINS9_11use_defaultEEENS9_5minusIxEEEE10hipError_tPvRmT2_T3_mT4_P12ihipStream_tbEUlT_E_NS1_11comp_targetILNS1_3genE0ELNS1_11target_archE4294967295ELNS1_3gpuE0ELNS1_3repE0EEENS1_30default_config_static_selectorELNS0_4arch9wavefront6targetE0EEEvT1_
	.globl	_ZN7rocprim17ROCPRIM_400000_NS6detail17trampoline_kernelINS0_14default_configENS1_35adjacent_difference_config_selectorILb1ExEEZNS1_24adjacent_difference_implIS3_Lb1ELb0EPxN6thrust23THRUST_200600_302600_NS16discard_iteratorINS9_11use_defaultEEENS9_5minusIxEEEE10hipError_tPvRmT2_T3_mT4_P12ihipStream_tbEUlT_E_NS1_11comp_targetILNS1_3genE0ELNS1_11target_archE4294967295ELNS1_3gpuE0ELNS1_3repE0EEENS1_30default_config_static_selectorELNS0_4arch9wavefront6targetE0EEEvT1_
	.p2align	8
	.type	_ZN7rocprim17ROCPRIM_400000_NS6detail17trampoline_kernelINS0_14default_configENS1_35adjacent_difference_config_selectorILb1ExEEZNS1_24adjacent_difference_implIS3_Lb1ELb0EPxN6thrust23THRUST_200600_302600_NS16discard_iteratorINS9_11use_defaultEEENS9_5minusIxEEEE10hipError_tPvRmT2_T3_mT4_P12ihipStream_tbEUlT_E_NS1_11comp_targetILNS1_3genE0ELNS1_11target_archE4294967295ELNS1_3gpuE0ELNS1_3repE0EEENS1_30default_config_static_selectorELNS0_4arch9wavefront6targetE0EEEvT1_,@function
_ZN7rocprim17ROCPRIM_400000_NS6detail17trampoline_kernelINS0_14default_configENS1_35adjacent_difference_config_selectorILb1ExEEZNS1_24adjacent_difference_implIS3_Lb1ELb0EPxN6thrust23THRUST_200600_302600_NS16discard_iteratorINS9_11use_defaultEEENS9_5minusIxEEEE10hipError_tPvRmT2_T3_mT4_P12ihipStream_tbEUlT_E_NS1_11comp_targetILNS1_3genE0ELNS1_11target_archE4294967295ELNS1_3gpuE0ELNS1_3repE0EEENS1_30default_config_static_selectorELNS0_4arch9wavefront6targetE0EEEvT1_: ; @_ZN7rocprim17ROCPRIM_400000_NS6detail17trampoline_kernelINS0_14default_configENS1_35adjacent_difference_config_selectorILb1ExEEZNS1_24adjacent_difference_implIS3_Lb1ELb0EPxN6thrust23THRUST_200600_302600_NS16discard_iteratorINS9_11use_defaultEEENS9_5minusIxEEEE10hipError_tPvRmT2_T3_mT4_P12ihipStream_tbEUlT_E_NS1_11comp_targetILNS1_3genE0ELNS1_11target_archE4294967295ELNS1_3gpuE0ELNS1_3repE0EEENS1_30default_config_static_selectorELNS0_4arch9wavefront6targetE0EEEvT1_
; %bb.0:
	.section	.rodata,"a",@progbits
	.p2align	6, 0x0
	.amdhsa_kernel _ZN7rocprim17ROCPRIM_400000_NS6detail17trampoline_kernelINS0_14default_configENS1_35adjacent_difference_config_selectorILb1ExEEZNS1_24adjacent_difference_implIS3_Lb1ELb0EPxN6thrust23THRUST_200600_302600_NS16discard_iteratorINS9_11use_defaultEEENS9_5minusIxEEEE10hipError_tPvRmT2_T3_mT4_P12ihipStream_tbEUlT_E_NS1_11comp_targetILNS1_3genE0ELNS1_11target_archE4294967295ELNS1_3gpuE0ELNS1_3repE0EEENS1_30default_config_static_selectorELNS0_4arch9wavefront6targetE0EEEvT1_
		.amdhsa_group_segment_fixed_size 0
		.amdhsa_private_segment_fixed_size 0
		.amdhsa_kernarg_size 64
		.amdhsa_user_sgpr_count 15
		.amdhsa_user_sgpr_dispatch_ptr 0
		.amdhsa_user_sgpr_queue_ptr 0
		.amdhsa_user_sgpr_kernarg_segment_ptr 1
		.amdhsa_user_sgpr_dispatch_id 0
		.amdhsa_user_sgpr_private_segment_size 0
		.amdhsa_wavefront_size32 1
		.amdhsa_uses_dynamic_stack 0
		.amdhsa_enable_private_segment 0
		.amdhsa_system_sgpr_workgroup_id_x 1
		.amdhsa_system_sgpr_workgroup_id_y 0
		.amdhsa_system_sgpr_workgroup_id_z 0
		.amdhsa_system_sgpr_workgroup_info 0
		.amdhsa_system_vgpr_workitem_id 0
		.amdhsa_next_free_vgpr 1
		.amdhsa_next_free_sgpr 1
		.amdhsa_reserve_vcc 0
		.amdhsa_float_round_mode_32 0
		.amdhsa_float_round_mode_16_64 0
		.amdhsa_float_denorm_mode_32 3
		.amdhsa_float_denorm_mode_16_64 3
		.amdhsa_dx10_clamp 1
		.amdhsa_ieee_mode 1
		.amdhsa_fp16_overflow 0
		.amdhsa_workgroup_processor_mode 1
		.amdhsa_memory_ordered 1
		.amdhsa_forward_progress 0
		.amdhsa_shared_vgpr_count 0
		.amdhsa_exception_fp_ieee_invalid_op 0
		.amdhsa_exception_fp_denorm_src 0
		.amdhsa_exception_fp_ieee_div_zero 0
		.amdhsa_exception_fp_ieee_overflow 0
		.amdhsa_exception_fp_ieee_underflow 0
		.amdhsa_exception_fp_ieee_inexact 0
		.amdhsa_exception_int_div_zero 0
	.end_amdhsa_kernel
	.section	.text._ZN7rocprim17ROCPRIM_400000_NS6detail17trampoline_kernelINS0_14default_configENS1_35adjacent_difference_config_selectorILb1ExEEZNS1_24adjacent_difference_implIS3_Lb1ELb0EPxN6thrust23THRUST_200600_302600_NS16discard_iteratorINS9_11use_defaultEEENS9_5minusIxEEEE10hipError_tPvRmT2_T3_mT4_P12ihipStream_tbEUlT_E_NS1_11comp_targetILNS1_3genE0ELNS1_11target_archE4294967295ELNS1_3gpuE0ELNS1_3repE0EEENS1_30default_config_static_selectorELNS0_4arch9wavefront6targetE0EEEvT1_,"axG",@progbits,_ZN7rocprim17ROCPRIM_400000_NS6detail17trampoline_kernelINS0_14default_configENS1_35adjacent_difference_config_selectorILb1ExEEZNS1_24adjacent_difference_implIS3_Lb1ELb0EPxN6thrust23THRUST_200600_302600_NS16discard_iteratorINS9_11use_defaultEEENS9_5minusIxEEEE10hipError_tPvRmT2_T3_mT4_P12ihipStream_tbEUlT_E_NS1_11comp_targetILNS1_3genE0ELNS1_11target_archE4294967295ELNS1_3gpuE0ELNS1_3repE0EEENS1_30default_config_static_selectorELNS0_4arch9wavefront6targetE0EEEvT1_,comdat
.Lfunc_end867:
	.size	_ZN7rocprim17ROCPRIM_400000_NS6detail17trampoline_kernelINS0_14default_configENS1_35adjacent_difference_config_selectorILb1ExEEZNS1_24adjacent_difference_implIS3_Lb1ELb0EPxN6thrust23THRUST_200600_302600_NS16discard_iteratorINS9_11use_defaultEEENS9_5minusIxEEEE10hipError_tPvRmT2_T3_mT4_P12ihipStream_tbEUlT_E_NS1_11comp_targetILNS1_3genE0ELNS1_11target_archE4294967295ELNS1_3gpuE0ELNS1_3repE0EEENS1_30default_config_static_selectorELNS0_4arch9wavefront6targetE0EEEvT1_, .Lfunc_end867-_ZN7rocprim17ROCPRIM_400000_NS6detail17trampoline_kernelINS0_14default_configENS1_35adjacent_difference_config_selectorILb1ExEEZNS1_24adjacent_difference_implIS3_Lb1ELb0EPxN6thrust23THRUST_200600_302600_NS16discard_iteratorINS9_11use_defaultEEENS9_5minusIxEEEE10hipError_tPvRmT2_T3_mT4_P12ihipStream_tbEUlT_E_NS1_11comp_targetILNS1_3genE0ELNS1_11target_archE4294967295ELNS1_3gpuE0ELNS1_3repE0EEENS1_30default_config_static_selectorELNS0_4arch9wavefront6targetE0EEEvT1_
                                        ; -- End function
	.section	.AMDGPU.csdata,"",@progbits
; Kernel info:
; codeLenInByte = 0
; NumSgprs: 0
; NumVgprs: 0
; ScratchSize: 0
; MemoryBound: 0
; FloatMode: 240
; IeeeMode: 1
; LDSByteSize: 0 bytes/workgroup (compile time only)
; SGPRBlocks: 0
; VGPRBlocks: 0
; NumSGPRsForWavesPerEU: 1
; NumVGPRsForWavesPerEU: 1
; Occupancy: 16
; WaveLimiterHint : 0
; COMPUTE_PGM_RSRC2:SCRATCH_EN: 0
; COMPUTE_PGM_RSRC2:USER_SGPR: 15
; COMPUTE_PGM_RSRC2:TRAP_HANDLER: 0
; COMPUTE_PGM_RSRC2:TGID_X_EN: 1
; COMPUTE_PGM_RSRC2:TGID_Y_EN: 0
; COMPUTE_PGM_RSRC2:TGID_Z_EN: 0
; COMPUTE_PGM_RSRC2:TIDIG_COMP_CNT: 0
	.section	.text._ZN7rocprim17ROCPRIM_400000_NS6detail17trampoline_kernelINS0_14default_configENS1_35adjacent_difference_config_selectorILb1ExEEZNS1_24adjacent_difference_implIS3_Lb1ELb0EPxN6thrust23THRUST_200600_302600_NS16discard_iteratorINS9_11use_defaultEEENS9_5minusIxEEEE10hipError_tPvRmT2_T3_mT4_P12ihipStream_tbEUlT_E_NS1_11comp_targetILNS1_3genE10ELNS1_11target_archE1201ELNS1_3gpuE5ELNS1_3repE0EEENS1_30default_config_static_selectorELNS0_4arch9wavefront6targetE0EEEvT1_,"axG",@progbits,_ZN7rocprim17ROCPRIM_400000_NS6detail17trampoline_kernelINS0_14default_configENS1_35adjacent_difference_config_selectorILb1ExEEZNS1_24adjacent_difference_implIS3_Lb1ELb0EPxN6thrust23THRUST_200600_302600_NS16discard_iteratorINS9_11use_defaultEEENS9_5minusIxEEEE10hipError_tPvRmT2_T3_mT4_P12ihipStream_tbEUlT_E_NS1_11comp_targetILNS1_3genE10ELNS1_11target_archE1201ELNS1_3gpuE5ELNS1_3repE0EEENS1_30default_config_static_selectorELNS0_4arch9wavefront6targetE0EEEvT1_,comdat
	.protected	_ZN7rocprim17ROCPRIM_400000_NS6detail17trampoline_kernelINS0_14default_configENS1_35adjacent_difference_config_selectorILb1ExEEZNS1_24adjacent_difference_implIS3_Lb1ELb0EPxN6thrust23THRUST_200600_302600_NS16discard_iteratorINS9_11use_defaultEEENS9_5minusIxEEEE10hipError_tPvRmT2_T3_mT4_P12ihipStream_tbEUlT_E_NS1_11comp_targetILNS1_3genE10ELNS1_11target_archE1201ELNS1_3gpuE5ELNS1_3repE0EEENS1_30default_config_static_selectorELNS0_4arch9wavefront6targetE0EEEvT1_ ; -- Begin function _ZN7rocprim17ROCPRIM_400000_NS6detail17trampoline_kernelINS0_14default_configENS1_35adjacent_difference_config_selectorILb1ExEEZNS1_24adjacent_difference_implIS3_Lb1ELb0EPxN6thrust23THRUST_200600_302600_NS16discard_iteratorINS9_11use_defaultEEENS9_5minusIxEEEE10hipError_tPvRmT2_T3_mT4_P12ihipStream_tbEUlT_E_NS1_11comp_targetILNS1_3genE10ELNS1_11target_archE1201ELNS1_3gpuE5ELNS1_3repE0EEENS1_30default_config_static_selectorELNS0_4arch9wavefront6targetE0EEEvT1_
	.globl	_ZN7rocprim17ROCPRIM_400000_NS6detail17trampoline_kernelINS0_14default_configENS1_35adjacent_difference_config_selectorILb1ExEEZNS1_24adjacent_difference_implIS3_Lb1ELb0EPxN6thrust23THRUST_200600_302600_NS16discard_iteratorINS9_11use_defaultEEENS9_5minusIxEEEE10hipError_tPvRmT2_T3_mT4_P12ihipStream_tbEUlT_E_NS1_11comp_targetILNS1_3genE10ELNS1_11target_archE1201ELNS1_3gpuE5ELNS1_3repE0EEENS1_30default_config_static_selectorELNS0_4arch9wavefront6targetE0EEEvT1_
	.p2align	8
	.type	_ZN7rocprim17ROCPRIM_400000_NS6detail17trampoline_kernelINS0_14default_configENS1_35adjacent_difference_config_selectorILb1ExEEZNS1_24adjacent_difference_implIS3_Lb1ELb0EPxN6thrust23THRUST_200600_302600_NS16discard_iteratorINS9_11use_defaultEEENS9_5minusIxEEEE10hipError_tPvRmT2_T3_mT4_P12ihipStream_tbEUlT_E_NS1_11comp_targetILNS1_3genE10ELNS1_11target_archE1201ELNS1_3gpuE5ELNS1_3repE0EEENS1_30default_config_static_selectorELNS0_4arch9wavefront6targetE0EEEvT1_,@function
_ZN7rocprim17ROCPRIM_400000_NS6detail17trampoline_kernelINS0_14default_configENS1_35adjacent_difference_config_selectorILb1ExEEZNS1_24adjacent_difference_implIS3_Lb1ELb0EPxN6thrust23THRUST_200600_302600_NS16discard_iteratorINS9_11use_defaultEEENS9_5minusIxEEEE10hipError_tPvRmT2_T3_mT4_P12ihipStream_tbEUlT_E_NS1_11comp_targetILNS1_3genE10ELNS1_11target_archE1201ELNS1_3gpuE5ELNS1_3repE0EEENS1_30default_config_static_selectorELNS0_4arch9wavefront6targetE0EEEvT1_: ; @_ZN7rocprim17ROCPRIM_400000_NS6detail17trampoline_kernelINS0_14default_configENS1_35adjacent_difference_config_selectorILb1ExEEZNS1_24adjacent_difference_implIS3_Lb1ELb0EPxN6thrust23THRUST_200600_302600_NS16discard_iteratorINS9_11use_defaultEEENS9_5minusIxEEEE10hipError_tPvRmT2_T3_mT4_P12ihipStream_tbEUlT_E_NS1_11comp_targetILNS1_3genE10ELNS1_11target_archE1201ELNS1_3gpuE5ELNS1_3repE0EEENS1_30default_config_static_selectorELNS0_4arch9wavefront6targetE0EEEvT1_
; %bb.0:
	.section	.rodata,"a",@progbits
	.p2align	6, 0x0
	.amdhsa_kernel _ZN7rocprim17ROCPRIM_400000_NS6detail17trampoline_kernelINS0_14default_configENS1_35adjacent_difference_config_selectorILb1ExEEZNS1_24adjacent_difference_implIS3_Lb1ELb0EPxN6thrust23THRUST_200600_302600_NS16discard_iteratorINS9_11use_defaultEEENS9_5minusIxEEEE10hipError_tPvRmT2_T3_mT4_P12ihipStream_tbEUlT_E_NS1_11comp_targetILNS1_3genE10ELNS1_11target_archE1201ELNS1_3gpuE5ELNS1_3repE0EEENS1_30default_config_static_selectorELNS0_4arch9wavefront6targetE0EEEvT1_
		.amdhsa_group_segment_fixed_size 0
		.amdhsa_private_segment_fixed_size 0
		.amdhsa_kernarg_size 64
		.amdhsa_user_sgpr_count 15
		.amdhsa_user_sgpr_dispatch_ptr 0
		.amdhsa_user_sgpr_queue_ptr 0
		.amdhsa_user_sgpr_kernarg_segment_ptr 1
		.amdhsa_user_sgpr_dispatch_id 0
		.amdhsa_user_sgpr_private_segment_size 0
		.amdhsa_wavefront_size32 1
		.amdhsa_uses_dynamic_stack 0
		.amdhsa_enable_private_segment 0
		.amdhsa_system_sgpr_workgroup_id_x 1
		.amdhsa_system_sgpr_workgroup_id_y 0
		.amdhsa_system_sgpr_workgroup_id_z 0
		.amdhsa_system_sgpr_workgroup_info 0
		.amdhsa_system_vgpr_workitem_id 0
		.amdhsa_next_free_vgpr 1
		.amdhsa_next_free_sgpr 1
		.amdhsa_reserve_vcc 0
		.amdhsa_float_round_mode_32 0
		.amdhsa_float_round_mode_16_64 0
		.amdhsa_float_denorm_mode_32 3
		.amdhsa_float_denorm_mode_16_64 3
		.amdhsa_dx10_clamp 1
		.amdhsa_ieee_mode 1
		.amdhsa_fp16_overflow 0
		.amdhsa_workgroup_processor_mode 1
		.amdhsa_memory_ordered 1
		.amdhsa_forward_progress 0
		.amdhsa_shared_vgpr_count 0
		.amdhsa_exception_fp_ieee_invalid_op 0
		.amdhsa_exception_fp_denorm_src 0
		.amdhsa_exception_fp_ieee_div_zero 0
		.amdhsa_exception_fp_ieee_overflow 0
		.amdhsa_exception_fp_ieee_underflow 0
		.amdhsa_exception_fp_ieee_inexact 0
		.amdhsa_exception_int_div_zero 0
	.end_amdhsa_kernel
	.section	.text._ZN7rocprim17ROCPRIM_400000_NS6detail17trampoline_kernelINS0_14default_configENS1_35adjacent_difference_config_selectorILb1ExEEZNS1_24adjacent_difference_implIS3_Lb1ELb0EPxN6thrust23THRUST_200600_302600_NS16discard_iteratorINS9_11use_defaultEEENS9_5minusIxEEEE10hipError_tPvRmT2_T3_mT4_P12ihipStream_tbEUlT_E_NS1_11comp_targetILNS1_3genE10ELNS1_11target_archE1201ELNS1_3gpuE5ELNS1_3repE0EEENS1_30default_config_static_selectorELNS0_4arch9wavefront6targetE0EEEvT1_,"axG",@progbits,_ZN7rocprim17ROCPRIM_400000_NS6detail17trampoline_kernelINS0_14default_configENS1_35adjacent_difference_config_selectorILb1ExEEZNS1_24adjacent_difference_implIS3_Lb1ELb0EPxN6thrust23THRUST_200600_302600_NS16discard_iteratorINS9_11use_defaultEEENS9_5minusIxEEEE10hipError_tPvRmT2_T3_mT4_P12ihipStream_tbEUlT_E_NS1_11comp_targetILNS1_3genE10ELNS1_11target_archE1201ELNS1_3gpuE5ELNS1_3repE0EEENS1_30default_config_static_selectorELNS0_4arch9wavefront6targetE0EEEvT1_,comdat
.Lfunc_end868:
	.size	_ZN7rocprim17ROCPRIM_400000_NS6detail17trampoline_kernelINS0_14default_configENS1_35adjacent_difference_config_selectorILb1ExEEZNS1_24adjacent_difference_implIS3_Lb1ELb0EPxN6thrust23THRUST_200600_302600_NS16discard_iteratorINS9_11use_defaultEEENS9_5minusIxEEEE10hipError_tPvRmT2_T3_mT4_P12ihipStream_tbEUlT_E_NS1_11comp_targetILNS1_3genE10ELNS1_11target_archE1201ELNS1_3gpuE5ELNS1_3repE0EEENS1_30default_config_static_selectorELNS0_4arch9wavefront6targetE0EEEvT1_, .Lfunc_end868-_ZN7rocprim17ROCPRIM_400000_NS6detail17trampoline_kernelINS0_14default_configENS1_35adjacent_difference_config_selectorILb1ExEEZNS1_24adjacent_difference_implIS3_Lb1ELb0EPxN6thrust23THRUST_200600_302600_NS16discard_iteratorINS9_11use_defaultEEENS9_5minusIxEEEE10hipError_tPvRmT2_T3_mT4_P12ihipStream_tbEUlT_E_NS1_11comp_targetILNS1_3genE10ELNS1_11target_archE1201ELNS1_3gpuE5ELNS1_3repE0EEENS1_30default_config_static_selectorELNS0_4arch9wavefront6targetE0EEEvT1_
                                        ; -- End function
	.section	.AMDGPU.csdata,"",@progbits
; Kernel info:
; codeLenInByte = 0
; NumSgprs: 0
; NumVgprs: 0
; ScratchSize: 0
; MemoryBound: 0
; FloatMode: 240
; IeeeMode: 1
; LDSByteSize: 0 bytes/workgroup (compile time only)
; SGPRBlocks: 0
; VGPRBlocks: 0
; NumSGPRsForWavesPerEU: 1
; NumVGPRsForWavesPerEU: 1
; Occupancy: 16
; WaveLimiterHint : 0
; COMPUTE_PGM_RSRC2:SCRATCH_EN: 0
; COMPUTE_PGM_RSRC2:USER_SGPR: 15
; COMPUTE_PGM_RSRC2:TRAP_HANDLER: 0
; COMPUTE_PGM_RSRC2:TGID_X_EN: 1
; COMPUTE_PGM_RSRC2:TGID_Y_EN: 0
; COMPUTE_PGM_RSRC2:TGID_Z_EN: 0
; COMPUTE_PGM_RSRC2:TIDIG_COMP_CNT: 0
	.section	.text._ZN7rocprim17ROCPRIM_400000_NS6detail17trampoline_kernelINS0_14default_configENS1_35adjacent_difference_config_selectorILb1ExEEZNS1_24adjacent_difference_implIS3_Lb1ELb0EPxN6thrust23THRUST_200600_302600_NS16discard_iteratorINS9_11use_defaultEEENS9_5minusIxEEEE10hipError_tPvRmT2_T3_mT4_P12ihipStream_tbEUlT_E_NS1_11comp_targetILNS1_3genE5ELNS1_11target_archE942ELNS1_3gpuE9ELNS1_3repE0EEENS1_30default_config_static_selectorELNS0_4arch9wavefront6targetE0EEEvT1_,"axG",@progbits,_ZN7rocprim17ROCPRIM_400000_NS6detail17trampoline_kernelINS0_14default_configENS1_35adjacent_difference_config_selectorILb1ExEEZNS1_24adjacent_difference_implIS3_Lb1ELb0EPxN6thrust23THRUST_200600_302600_NS16discard_iteratorINS9_11use_defaultEEENS9_5minusIxEEEE10hipError_tPvRmT2_T3_mT4_P12ihipStream_tbEUlT_E_NS1_11comp_targetILNS1_3genE5ELNS1_11target_archE942ELNS1_3gpuE9ELNS1_3repE0EEENS1_30default_config_static_selectorELNS0_4arch9wavefront6targetE0EEEvT1_,comdat
	.protected	_ZN7rocprim17ROCPRIM_400000_NS6detail17trampoline_kernelINS0_14default_configENS1_35adjacent_difference_config_selectorILb1ExEEZNS1_24adjacent_difference_implIS3_Lb1ELb0EPxN6thrust23THRUST_200600_302600_NS16discard_iteratorINS9_11use_defaultEEENS9_5minusIxEEEE10hipError_tPvRmT2_T3_mT4_P12ihipStream_tbEUlT_E_NS1_11comp_targetILNS1_3genE5ELNS1_11target_archE942ELNS1_3gpuE9ELNS1_3repE0EEENS1_30default_config_static_selectorELNS0_4arch9wavefront6targetE0EEEvT1_ ; -- Begin function _ZN7rocprim17ROCPRIM_400000_NS6detail17trampoline_kernelINS0_14default_configENS1_35adjacent_difference_config_selectorILb1ExEEZNS1_24adjacent_difference_implIS3_Lb1ELb0EPxN6thrust23THRUST_200600_302600_NS16discard_iteratorINS9_11use_defaultEEENS9_5minusIxEEEE10hipError_tPvRmT2_T3_mT4_P12ihipStream_tbEUlT_E_NS1_11comp_targetILNS1_3genE5ELNS1_11target_archE942ELNS1_3gpuE9ELNS1_3repE0EEENS1_30default_config_static_selectorELNS0_4arch9wavefront6targetE0EEEvT1_
	.globl	_ZN7rocprim17ROCPRIM_400000_NS6detail17trampoline_kernelINS0_14default_configENS1_35adjacent_difference_config_selectorILb1ExEEZNS1_24adjacent_difference_implIS3_Lb1ELb0EPxN6thrust23THRUST_200600_302600_NS16discard_iteratorINS9_11use_defaultEEENS9_5minusIxEEEE10hipError_tPvRmT2_T3_mT4_P12ihipStream_tbEUlT_E_NS1_11comp_targetILNS1_3genE5ELNS1_11target_archE942ELNS1_3gpuE9ELNS1_3repE0EEENS1_30default_config_static_selectorELNS0_4arch9wavefront6targetE0EEEvT1_
	.p2align	8
	.type	_ZN7rocprim17ROCPRIM_400000_NS6detail17trampoline_kernelINS0_14default_configENS1_35adjacent_difference_config_selectorILb1ExEEZNS1_24adjacent_difference_implIS3_Lb1ELb0EPxN6thrust23THRUST_200600_302600_NS16discard_iteratorINS9_11use_defaultEEENS9_5minusIxEEEE10hipError_tPvRmT2_T3_mT4_P12ihipStream_tbEUlT_E_NS1_11comp_targetILNS1_3genE5ELNS1_11target_archE942ELNS1_3gpuE9ELNS1_3repE0EEENS1_30default_config_static_selectorELNS0_4arch9wavefront6targetE0EEEvT1_,@function
_ZN7rocprim17ROCPRIM_400000_NS6detail17trampoline_kernelINS0_14default_configENS1_35adjacent_difference_config_selectorILb1ExEEZNS1_24adjacent_difference_implIS3_Lb1ELb0EPxN6thrust23THRUST_200600_302600_NS16discard_iteratorINS9_11use_defaultEEENS9_5minusIxEEEE10hipError_tPvRmT2_T3_mT4_P12ihipStream_tbEUlT_E_NS1_11comp_targetILNS1_3genE5ELNS1_11target_archE942ELNS1_3gpuE9ELNS1_3repE0EEENS1_30default_config_static_selectorELNS0_4arch9wavefront6targetE0EEEvT1_: ; @_ZN7rocprim17ROCPRIM_400000_NS6detail17trampoline_kernelINS0_14default_configENS1_35adjacent_difference_config_selectorILb1ExEEZNS1_24adjacent_difference_implIS3_Lb1ELb0EPxN6thrust23THRUST_200600_302600_NS16discard_iteratorINS9_11use_defaultEEENS9_5minusIxEEEE10hipError_tPvRmT2_T3_mT4_P12ihipStream_tbEUlT_E_NS1_11comp_targetILNS1_3genE5ELNS1_11target_archE942ELNS1_3gpuE9ELNS1_3repE0EEENS1_30default_config_static_selectorELNS0_4arch9wavefront6targetE0EEEvT1_
; %bb.0:
	.section	.rodata,"a",@progbits
	.p2align	6, 0x0
	.amdhsa_kernel _ZN7rocprim17ROCPRIM_400000_NS6detail17trampoline_kernelINS0_14default_configENS1_35adjacent_difference_config_selectorILb1ExEEZNS1_24adjacent_difference_implIS3_Lb1ELb0EPxN6thrust23THRUST_200600_302600_NS16discard_iteratorINS9_11use_defaultEEENS9_5minusIxEEEE10hipError_tPvRmT2_T3_mT4_P12ihipStream_tbEUlT_E_NS1_11comp_targetILNS1_3genE5ELNS1_11target_archE942ELNS1_3gpuE9ELNS1_3repE0EEENS1_30default_config_static_selectorELNS0_4arch9wavefront6targetE0EEEvT1_
		.amdhsa_group_segment_fixed_size 0
		.amdhsa_private_segment_fixed_size 0
		.amdhsa_kernarg_size 64
		.amdhsa_user_sgpr_count 15
		.amdhsa_user_sgpr_dispatch_ptr 0
		.amdhsa_user_sgpr_queue_ptr 0
		.amdhsa_user_sgpr_kernarg_segment_ptr 1
		.amdhsa_user_sgpr_dispatch_id 0
		.amdhsa_user_sgpr_private_segment_size 0
		.amdhsa_wavefront_size32 1
		.amdhsa_uses_dynamic_stack 0
		.amdhsa_enable_private_segment 0
		.amdhsa_system_sgpr_workgroup_id_x 1
		.amdhsa_system_sgpr_workgroup_id_y 0
		.amdhsa_system_sgpr_workgroup_id_z 0
		.amdhsa_system_sgpr_workgroup_info 0
		.amdhsa_system_vgpr_workitem_id 0
		.amdhsa_next_free_vgpr 1
		.amdhsa_next_free_sgpr 1
		.amdhsa_reserve_vcc 0
		.amdhsa_float_round_mode_32 0
		.amdhsa_float_round_mode_16_64 0
		.amdhsa_float_denorm_mode_32 3
		.amdhsa_float_denorm_mode_16_64 3
		.amdhsa_dx10_clamp 1
		.amdhsa_ieee_mode 1
		.amdhsa_fp16_overflow 0
		.amdhsa_workgroup_processor_mode 1
		.amdhsa_memory_ordered 1
		.amdhsa_forward_progress 0
		.amdhsa_shared_vgpr_count 0
		.amdhsa_exception_fp_ieee_invalid_op 0
		.amdhsa_exception_fp_denorm_src 0
		.amdhsa_exception_fp_ieee_div_zero 0
		.amdhsa_exception_fp_ieee_overflow 0
		.amdhsa_exception_fp_ieee_underflow 0
		.amdhsa_exception_fp_ieee_inexact 0
		.amdhsa_exception_int_div_zero 0
	.end_amdhsa_kernel
	.section	.text._ZN7rocprim17ROCPRIM_400000_NS6detail17trampoline_kernelINS0_14default_configENS1_35adjacent_difference_config_selectorILb1ExEEZNS1_24adjacent_difference_implIS3_Lb1ELb0EPxN6thrust23THRUST_200600_302600_NS16discard_iteratorINS9_11use_defaultEEENS9_5minusIxEEEE10hipError_tPvRmT2_T3_mT4_P12ihipStream_tbEUlT_E_NS1_11comp_targetILNS1_3genE5ELNS1_11target_archE942ELNS1_3gpuE9ELNS1_3repE0EEENS1_30default_config_static_selectorELNS0_4arch9wavefront6targetE0EEEvT1_,"axG",@progbits,_ZN7rocprim17ROCPRIM_400000_NS6detail17trampoline_kernelINS0_14default_configENS1_35adjacent_difference_config_selectorILb1ExEEZNS1_24adjacent_difference_implIS3_Lb1ELb0EPxN6thrust23THRUST_200600_302600_NS16discard_iteratorINS9_11use_defaultEEENS9_5minusIxEEEE10hipError_tPvRmT2_T3_mT4_P12ihipStream_tbEUlT_E_NS1_11comp_targetILNS1_3genE5ELNS1_11target_archE942ELNS1_3gpuE9ELNS1_3repE0EEENS1_30default_config_static_selectorELNS0_4arch9wavefront6targetE0EEEvT1_,comdat
.Lfunc_end869:
	.size	_ZN7rocprim17ROCPRIM_400000_NS6detail17trampoline_kernelINS0_14default_configENS1_35adjacent_difference_config_selectorILb1ExEEZNS1_24adjacent_difference_implIS3_Lb1ELb0EPxN6thrust23THRUST_200600_302600_NS16discard_iteratorINS9_11use_defaultEEENS9_5minusIxEEEE10hipError_tPvRmT2_T3_mT4_P12ihipStream_tbEUlT_E_NS1_11comp_targetILNS1_3genE5ELNS1_11target_archE942ELNS1_3gpuE9ELNS1_3repE0EEENS1_30default_config_static_selectorELNS0_4arch9wavefront6targetE0EEEvT1_, .Lfunc_end869-_ZN7rocprim17ROCPRIM_400000_NS6detail17trampoline_kernelINS0_14default_configENS1_35adjacent_difference_config_selectorILb1ExEEZNS1_24adjacent_difference_implIS3_Lb1ELb0EPxN6thrust23THRUST_200600_302600_NS16discard_iteratorINS9_11use_defaultEEENS9_5minusIxEEEE10hipError_tPvRmT2_T3_mT4_P12ihipStream_tbEUlT_E_NS1_11comp_targetILNS1_3genE5ELNS1_11target_archE942ELNS1_3gpuE9ELNS1_3repE0EEENS1_30default_config_static_selectorELNS0_4arch9wavefront6targetE0EEEvT1_
                                        ; -- End function
	.section	.AMDGPU.csdata,"",@progbits
; Kernel info:
; codeLenInByte = 0
; NumSgprs: 0
; NumVgprs: 0
; ScratchSize: 0
; MemoryBound: 0
; FloatMode: 240
; IeeeMode: 1
; LDSByteSize: 0 bytes/workgroup (compile time only)
; SGPRBlocks: 0
; VGPRBlocks: 0
; NumSGPRsForWavesPerEU: 1
; NumVGPRsForWavesPerEU: 1
; Occupancy: 16
; WaveLimiterHint : 0
; COMPUTE_PGM_RSRC2:SCRATCH_EN: 0
; COMPUTE_PGM_RSRC2:USER_SGPR: 15
; COMPUTE_PGM_RSRC2:TRAP_HANDLER: 0
; COMPUTE_PGM_RSRC2:TGID_X_EN: 1
; COMPUTE_PGM_RSRC2:TGID_Y_EN: 0
; COMPUTE_PGM_RSRC2:TGID_Z_EN: 0
; COMPUTE_PGM_RSRC2:TIDIG_COMP_CNT: 0
	.section	.text._ZN7rocprim17ROCPRIM_400000_NS6detail17trampoline_kernelINS0_14default_configENS1_35adjacent_difference_config_selectorILb1ExEEZNS1_24adjacent_difference_implIS3_Lb1ELb0EPxN6thrust23THRUST_200600_302600_NS16discard_iteratorINS9_11use_defaultEEENS9_5minusIxEEEE10hipError_tPvRmT2_T3_mT4_P12ihipStream_tbEUlT_E_NS1_11comp_targetILNS1_3genE4ELNS1_11target_archE910ELNS1_3gpuE8ELNS1_3repE0EEENS1_30default_config_static_selectorELNS0_4arch9wavefront6targetE0EEEvT1_,"axG",@progbits,_ZN7rocprim17ROCPRIM_400000_NS6detail17trampoline_kernelINS0_14default_configENS1_35adjacent_difference_config_selectorILb1ExEEZNS1_24adjacent_difference_implIS3_Lb1ELb0EPxN6thrust23THRUST_200600_302600_NS16discard_iteratorINS9_11use_defaultEEENS9_5minusIxEEEE10hipError_tPvRmT2_T3_mT4_P12ihipStream_tbEUlT_E_NS1_11comp_targetILNS1_3genE4ELNS1_11target_archE910ELNS1_3gpuE8ELNS1_3repE0EEENS1_30default_config_static_selectorELNS0_4arch9wavefront6targetE0EEEvT1_,comdat
	.protected	_ZN7rocprim17ROCPRIM_400000_NS6detail17trampoline_kernelINS0_14default_configENS1_35adjacent_difference_config_selectorILb1ExEEZNS1_24adjacent_difference_implIS3_Lb1ELb0EPxN6thrust23THRUST_200600_302600_NS16discard_iteratorINS9_11use_defaultEEENS9_5minusIxEEEE10hipError_tPvRmT2_T3_mT4_P12ihipStream_tbEUlT_E_NS1_11comp_targetILNS1_3genE4ELNS1_11target_archE910ELNS1_3gpuE8ELNS1_3repE0EEENS1_30default_config_static_selectorELNS0_4arch9wavefront6targetE0EEEvT1_ ; -- Begin function _ZN7rocprim17ROCPRIM_400000_NS6detail17trampoline_kernelINS0_14default_configENS1_35adjacent_difference_config_selectorILb1ExEEZNS1_24adjacent_difference_implIS3_Lb1ELb0EPxN6thrust23THRUST_200600_302600_NS16discard_iteratorINS9_11use_defaultEEENS9_5minusIxEEEE10hipError_tPvRmT2_T3_mT4_P12ihipStream_tbEUlT_E_NS1_11comp_targetILNS1_3genE4ELNS1_11target_archE910ELNS1_3gpuE8ELNS1_3repE0EEENS1_30default_config_static_selectorELNS0_4arch9wavefront6targetE0EEEvT1_
	.globl	_ZN7rocprim17ROCPRIM_400000_NS6detail17trampoline_kernelINS0_14default_configENS1_35adjacent_difference_config_selectorILb1ExEEZNS1_24adjacent_difference_implIS3_Lb1ELb0EPxN6thrust23THRUST_200600_302600_NS16discard_iteratorINS9_11use_defaultEEENS9_5minusIxEEEE10hipError_tPvRmT2_T3_mT4_P12ihipStream_tbEUlT_E_NS1_11comp_targetILNS1_3genE4ELNS1_11target_archE910ELNS1_3gpuE8ELNS1_3repE0EEENS1_30default_config_static_selectorELNS0_4arch9wavefront6targetE0EEEvT1_
	.p2align	8
	.type	_ZN7rocprim17ROCPRIM_400000_NS6detail17trampoline_kernelINS0_14default_configENS1_35adjacent_difference_config_selectorILb1ExEEZNS1_24adjacent_difference_implIS3_Lb1ELb0EPxN6thrust23THRUST_200600_302600_NS16discard_iteratorINS9_11use_defaultEEENS9_5minusIxEEEE10hipError_tPvRmT2_T3_mT4_P12ihipStream_tbEUlT_E_NS1_11comp_targetILNS1_3genE4ELNS1_11target_archE910ELNS1_3gpuE8ELNS1_3repE0EEENS1_30default_config_static_selectorELNS0_4arch9wavefront6targetE0EEEvT1_,@function
_ZN7rocprim17ROCPRIM_400000_NS6detail17trampoline_kernelINS0_14default_configENS1_35adjacent_difference_config_selectorILb1ExEEZNS1_24adjacent_difference_implIS3_Lb1ELb0EPxN6thrust23THRUST_200600_302600_NS16discard_iteratorINS9_11use_defaultEEENS9_5minusIxEEEE10hipError_tPvRmT2_T3_mT4_P12ihipStream_tbEUlT_E_NS1_11comp_targetILNS1_3genE4ELNS1_11target_archE910ELNS1_3gpuE8ELNS1_3repE0EEENS1_30default_config_static_selectorELNS0_4arch9wavefront6targetE0EEEvT1_: ; @_ZN7rocprim17ROCPRIM_400000_NS6detail17trampoline_kernelINS0_14default_configENS1_35adjacent_difference_config_selectorILb1ExEEZNS1_24adjacent_difference_implIS3_Lb1ELb0EPxN6thrust23THRUST_200600_302600_NS16discard_iteratorINS9_11use_defaultEEENS9_5minusIxEEEE10hipError_tPvRmT2_T3_mT4_P12ihipStream_tbEUlT_E_NS1_11comp_targetILNS1_3genE4ELNS1_11target_archE910ELNS1_3gpuE8ELNS1_3repE0EEENS1_30default_config_static_selectorELNS0_4arch9wavefront6targetE0EEEvT1_
; %bb.0:
	.section	.rodata,"a",@progbits
	.p2align	6, 0x0
	.amdhsa_kernel _ZN7rocprim17ROCPRIM_400000_NS6detail17trampoline_kernelINS0_14default_configENS1_35adjacent_difference_config_selectorILb1ExEEZNS1_24adjacent_difference_implIS3_Lb1ELb0EPxN6thrust23THRUST_200600_302600_NS16discard_iteratorINS9_11use_defaultEEENS9_5minusIxEEEE10hipError_tPvRmT2_T3_mT4_P12ihipStream_tbEUlT_E_NS1_11comp_targetILNS1_3genE4ELNS1_11target_archE910ELNS1_3gpuE8ELNS1_3repE0EEENS1_30default_config_static_selectorELNS0_4arch9wavefront6targetE0EEEvT1_
		.amdhsa_group_segment_fixed_size 0
		.amdhsa_private_segment_fixed_size 0
		.amdhsa_kernarg_size 64
		.amdhsa_user_sgpr_count 15
		.amdhsa_user_sgpr_dispatch_ptr 0
		.amdhsa_user_sgpr_queue_ptr 0
		.amdhsa_user_sgpr_kernarg_segment_ptr 1
		.amdhsa_user_sgpr_dispatch_id 0
		.amdhsa_user_sgpr_private_segment_size 0
		.amdhsa_wavefront_size32 1
		.amdhsa_uses_dynamic_stack 0
		.amdhsa_enable_private_segment 0
		.amdhsa_system_sgpr_workgroup_id_x 1
		.amdhsa_system_sgpr_workgroup_id_y 0
		.amdhsa_system_sgpr_workgroup_id_z 0
		.amdhsa_system_sgpr_workgroup_info 0
		.amdhsa_system_vgpr_workitem_id 0
		.amdhsa_next_free_vgpr 1
		.amdhsa_next_free_sgpr 1
		.amdhsa_reserve_vcc 0
		.amdhsa_float_round_mode_32 0
		.amdhsa_float_round_mode_16_64 0
		.amdhsa_float_denorm_mode_32 3
		.amdhsa_float_denorm_mode_16_64 3
		.amdhsa_dx10_clamp 1
		.amdhsa_ieee_mode 1
		.amdhsa_fp16_overflow 0
		.amdhsa_workgroup_processor_mode 1
		.amdhsa_memory_ordered 1
		.amdhsa_forward_progress 0
		.amdhsa_shared_vgpr_count 0
		.amdhsa_exception_fp_ieee_invalid_op 0
		.amdhsa_exception_fp_denorm_src 0
		.amdhsa_exception_fp_ieee_div_zero 0
		.amdhsa_exception_fp_ieee_overflow 0
		.amdhsa_exception_fp_ieee_underflow 0
		.amdhsa_exception_fp_ieee_inexact 0
		.amdhsa_exception_int_div_zero 0
	.end_amdhsa_kernel
	.section	.text._ZN7rocprim17ROCPRIM_400000_NS6detail17trampoline_kernelINS0_14default_configENS1_35adjacent_difference_config_selectorILb1ExEEZNS1_24adjacent_difference_implIS3_Lb1ELb0EPxN6thrust23THRUST_200600_302600_NS16discard_iteratorINS9_11use_defaultEEENS9_5minusIxEEEE10hipError_tPvRmT2_T3_mT4_P12ihipStream_tbEUlT_E_NS1_11comp_targetILNS1_3genE4ELNS1_11target_archE910ELNS1_3gpuE8ELNS1_3repE0EEENS1_30default_config_static_selectorELNS0_4arch9wavefront6targetE0EEEvT1_,"axG",@progbits,_ZN7rocprim17ROCPRIM_400000_NS6detail17trampoline_kernelINS0_14default_configENS1_35adjacent_difference_config_selectorILb1ExEEZNS1_24adjacent_difference_implIS3_Lb1ELb0EPxN6thrust23THRUST_200600_302600_NS16discard_iteratorINS9_11use_defaultEEENS9_5minusIxEEEE10hipError_tPvRmT2_T3_mT4_P12ihipStream_tbEUlT_E_NS1_11comp_targetILNS1_3genE4ELNS1_11target_archE910ELNS1_3gpuE8ELNS1_3repE0EEENS1_30default_config_static_selectorELNS0_4arch9wavefront6targetE0EEEvT1_,comdat
.Lfunc_end870:
	.size	_ZN7rocprim17ROCPRIM_400000_NS6detail17trampoline_kernelINS0_14default_configENS1_35adjacent_difference_config_selectorILb1ExEEZNS1_24adjacent_difference_implIS3_Lb1ELb0EPxN6thrust23THRUST_200600_302600_NS16discard_iteratorINS9_11use_defaultEEENS9_5minusIxEEEE10hipError_tPvRmT2_T3_mT4_P12ihipStream_tbEUlT_E_NS1_11comp_targetILNS1_3genE4ELNS1_11target_archE910ELNS1_3gpuE8ELNS1_3repE0EEENS1_30default_config_static_selectorELNS0_4arch9wavefront6targetE0EEEvT1_, .Lfunc_end870-_ZN7rocprim17ROCPRIM_400000_NS6detail17trampoline_kernelINS0_14default_configENS1_35adjacent_difference_config_selectorILb1ExEEZNS1_24adjacent_difference_implIS3_Lb1ELb0EPxN6thrust23THRUST_200600_302600_NS16discard_iteratorINS9_11use_defaultEEENS9_5minusIxEEEE10hipError_tPvRmT2_T3_mT4_P12ihipStream_tbEUlT_E_NS1_11comp_targetILNS1_3genE4ELNS1_11target_archE910ELNS1_3gpuE8ELNS1_3repE0EEENS1_30default_config_static_selectorELNS0_4arch9wavefront6targetE0EEEvT1_
                                        ; -- End function
	.section	.AMDGPU.csdata,"",@progbits
; Kernel info:
; codeLenInByte = 0
; NumSgprs: 0
; NumVgprs: 0
; ScratchSize: 0
; MemoryBound: 0
; FloatMode: 240
; IeeeMode: 1
; LDSByteSize: 0 bytes/workgroup (compile time only)
; SGPRBlocks: 0
; VGPRBlocks: 0
; NumSGPRsForWavesPerEU: 1
; NumVGPRsForWavesPerEU: 1
; Occupancy: 16
; WaveLimiterHint : 0
; COMPUTE_PGM_RSRC2:SCRATCH_EN: 0
; COMPUTE_PGM_RSRC2:USER_SGPR: 15
; COMPUTE_PGM_RSRC2:TRAP_HANDLER: 0
; COMPUTE_PGM_RSRC2:TGID_X_EN: 1
; COMPUTE_PGM_RSRC2:TGID_Y_EN: 0
; COMPUTE_PGM_RSRC2:TGID_Z_EN: 0
; COMPUTE_PGM_RSRC2:TIDIG_COMP_CNT: 0
	.section	.text._ZN7rocprim17ROCPRIM_400000_NS6detail17trampoline_kernelINS0_14default_configENS1_35adjacent_difference_config_selectorILb1ExEEZNS1_24adjacent_difference_implIS3_Lb1ELb0EPxN6thrust23THRUST_200600_302600_NS16discard_iteratorINS9_11use_defaultEEENS9_5minusIxEEEE10hipError_tPvRmT2_T3_mT4_P12ihipStream_tbEUlT_E_NS1_11comp_targetILNS1_3genE3ELNS1_11target_archE908ELNS1_3gpuE7ELNS1_3repE0EEENS1_30default_config_static_selectorELNS0_4arch9wavefront6targetE0EEEvT1_,"axG",@progbits,_ZN7rocprim17ROCPRIM_400000_NS6detail17trampoline_kernelINS0_14default_configENS1_35adjacent_difference_config_selectorILb1ExEEZNS1_24adjacent_difference_implIS3_Lb1ELb0EPxN6thrust23THRUST_200600_302600_NS16discard_iteratorINS9_11use_defaultEEENS9_5minusIxEEEE10hipError_tPvRmT2_T3_mT4_P12ihipStream_tbEUlT_E_NS1_11comp_targetILNS1_3genE3ELNS1_11target_archE908ELNS1_3gpuE7ELNS1_3repE0EEENS1_30default_config_static_selectorELNS0_4arch9wavefront6targetE0EEEvT1_,comdat
	.protected	_ZN7rocprim17ROCPRIM_400000_NS6detail17trampoline_kernelINS0_14default_configENS1_35adjacent_difference_config_selectorILb1ExEEZNS1_24adjacent_difference_implIS3_Lb1ELb0EPxN6thrust23THRUST_200600_302600_NS16discard_iteratorINS9_11use_defaultEEENS9_5minusIxEEEE10hipError_tPvRmT2_T3_mT4_P12ihipStream_tbEUlT_E_NS1_11comp_targetILNS1_3genE3ELNS1_11target_archE908ELNS1_3gpuE7ELNS1_3repE0EEENS1_30default_config_static_selectorELNS0_4arch9wavefront6targetE0EEEvT1_ ; -- Begin function _ZN7rocprim17ROCPRIM_400000_NS6detail17trampoline_kernelINS0_14default_configENS1_35adjacent_difference_config_selectorILb1ExEEZNS1_24adjacent_difference_implIS3_Lb1ELb0EPxN6thrust23THRUST_200600_302600_NS16discard_iteratorINS9_11use_defaultEEENS9_5minusIxEEEE10hipError_tPvRmT2_T3_mT4_P12ihipStream_tbEUlT_E_NS1_11comp_targetILNS1_3genE3ELNS1_11target_archE908ELNS1_3gpuE7ELNS1_3repE0EEENS1_30default_config_static_selectorELNS0_4arch9wavefront6targetE0EEEvT1_
	.globl	_ZN7rocprim17ROCPRIM_400000_NS6detail17trampoline_kernelINS0_14default_configENS1_35adjacent_difference_config_selectorILb1ExEEZNS1_24adjacent_difference_implIS3_Lb1ELb0EPxN6thrust23THRUST_200600_302600_NS16discard_iteratorINS9_11use_defaultEEENS9_5minusIxEEEE10hipError_tPvRmT2_T3_mT4_P12ihipStream_tbEUlT_E_NS1_11comp_targetILNS1_3genE3ELNS1_11target_archE908ELNS1_3gpuE7ELNS1_3repE0EEENS1_30default_config_static_selectorELNS0_4arch9wavefront6targetE0EEEvT1_
	.p2align	8
	.type	_ZN7rocprim17ROCPRIM_400000_NS6detail17trampoline_kernelINS0_14default_configENS1_35adjacent_difference_config_selectorILb1ExEEZNS1_24adjacent_difference_implIS3_Lb1ELb0EPxN6thrust23THRUST_200600_302600_NS16discard_iteratorINS9_11use_defaultEEENS9_5minusIxEEEE10hipError_tPvRmT2_T3_mT4_P12ihipStream_tbEUlT_E_NS1_11comp_targetILNS1_3genE3ELNS1_11target_archE908ELNS1_3gpuE7ELNS1_3repE0EEENS1_30default_config_static_selectorELNS0_4arch9wavefront6targetE0EEEvT1_,@function
_ZN7rocprim17ROCPRIM_400000_NS6detail17trampoline_kernelINS0_14default_configENS1_35adjacent_difference_config_selectorILb1ExEEZNS1_24adjacent_difference_implIS3_Lb1ELb0EPxN6thrust23THRUST_200600_302600_NS16discard_iteratorINS9_11use_defaultEEENS9_5minusIxEEEE10hipError_tPvRmT2_T3_mT4_P12ihipStream_tbEUlT_E_NS1_11comp_targetILNS1_3genE3ELNS1_11target_archE908ELNS1_3gpuE7ELNS1_3repE0EEENS1_30default_config_static_selectorELNS0_4arch9wavefront6targetE0EEEvT1_: ; @_ZN7rocprim17ROCPRIM_400000_NS6detail17trampoline_kernelINS0_14default_configENS1_35adjacent_difference_config_selectorILb1ExEEZNS1_24adjacent_difference_implIS3_Lb1ELb0EPxN6thrust23THRUST_200600_302600_NS16discard_iteratorINS9_11use_defaultEEENS9_5minusIxEEEE10hipError_tPvRmT2_T3_mT4_P12ihipStream_tbEUlT_E_NS1_11comp_targetILNS1_3genE3ELNS1_11target_archE908ELNS1_3gpuE7ELNS1_3repE0EEENS1_30default_config_static_selectorELNS0_4arch9wavefront6targetE0EEEvT1_
; %bb.0:
	.section	.rodata,"a",@progbits
	.p2align	6, 0x0
	.amdhsa_kernel _ZN7rocprim17ROCPRIM_400000_NS6detail17trampoline_kernelINS0_14default_configENS1_35adjacent_difference_config_selectorILb1ExEEZNS1_24adjacent_difference_implIS3_Lb1ELb0EPxN6thrust23THRUST_200600_302600_NS16discard_iteratorINS9_11use_defaultEEENS9_5minusIxEEEE10hipError_tPvRmT2_T3_mT4_P12ihipStream_tbEUlT_E_NS1_11comp_targetILNS1_3genE3ELNS1_11target_archE908ELNS1_3gpuE7ELNS1_3repE0EEENS1_30default_config_static_selectorELNS0_4arch9wavefront6targetE0EEEvT1_
		.amdhsa_group_segment_fixed_size 0
		.amdhsa_private_segment_fixed_size 0
		.amdhsa_kernarg_size 64
		.amdhsa_user_sgpr_count 15
		.amdhsa_user_sgpr_dispatch_ptr 0
		.amdhsa_user_sgpr_queue_ptr 0
		.amdhsa_user_sgpr_kernarg_segment_ptr 1
		.amdhsa_user_sgpr_dispatch_id 0
		.amdhsa_user_sgpr_private_segment_size 0
		.amdhsa_wavefront_size32 1
		.amdhsa_uses_dynamic_stack 0
		.amdhsa_enable_private_segment 0
		.amdhsa_system_sgpr_workgroup_id_x 1
		.amdhsa_system_sgpr_workgroup_id_y 0
		.amdhsa_system_sgpr_workgroup_id_z 0
		.amdhsa_system_sgpr_workgroup_info 0
		.amdhsa_system_vgpr_workitem_id 0
		.amdhsa_next_free_vgpr 1
		.amdhsa_next_free_sgpr 1
		.amdhsa_reserve_vcc 0
		.amdhsa_float_round_mode_32 0
		.amdhsa_float_round_mode_16_64 0
		.amdhsa_float_denorm_mode_32 3
		.amdhsa_float_denorm_mode_16_64 3
		.amdhsa_dx10_clamp 1
		.amdhsa_ieee_mode 1
		.amdhsa_fp16_overflow 0
		.amdhsa_workgroup_processor_mode 1
		.amdhsa_memory_ordered 1
		.amdhsa_forward_progress 0
		.amdhsa_shared_vgpr_count 0
		.amdhsa_exception_fp_ieee_invalid_op 0
		.amdhsa_exception_fp_denorm_src 0
		.amdhsa_exception_fp_ieee_div_zero 0
		.amdhsa_exception_fp_ieee_overflow 0
		.amdhsa_exception_fp_ieee_underflow 0
		.amdhsa_exception_fp_ieee_inexact 0
		.amdhsa_exception_int_div_zero 0
	.end_amdhsa_kernel
	.section	.text._ZN7rocprim17ROCPRIM_400000_NS6detail17trampoline_kernelINS0_14default_configENS1_35adjacent_difference_config_selectorILb1ExEEZNS1_24adjacent_difference_implIS3_Lb1ELb0EPxN6thrust23THRUST_200600_302600_NS16discard_iteratorINS9_11use_defaultEEENS9_5minusIxEEEE10hipError_tPvRmT2_T3_mT4_P12ihipStream_tbEUlT_E_NS1_11comp_targetILNS1_3genE3ELNS1_11target_archE908ELNS1_3gpuE7ELNS1_3repE0EEENS1_30default_config_static_selectorELNS0_4arch9wavefront6targetE0EEEvT1_,"axG",@progbits,_ZN7rocprim17ROCPRIM_400000_NS6detail17trampoline_kernelINS0_14default_configENS1_35adjacent_difference_config_selectorILb1ExEEZNS1_24adjacent_difference_implIS3_Lb1ELb0EPxN6thrust23THRUST_200600_302600_NS16discard_iteratorINS9_11use_defaultEEENS9_5minusIxEEEE10hipError_tPvRmT2_T3_mT4_P12ihipStream_tbEUlT_E_NS1_11comp_targetILNS1_3genE3ELNS1_11target_archE908ELNS1_3gpuE7ELNS1_3repE0EEENS1_30default_config_static_selectorELNS0_4arch9wavefront6targetE0EEEvT1_,comdat
.Lfunc_end871:
	.size	_ZN7rocprim17ROCPRIM_400000_NS6detail17trampoline_kernelINS0_14default_configENS1_35adjacent_difference_config_selectorILb1ExEEZNS1_24adjacent_difference_implIS3_Lb1ELb0EPxN6thrust23THRUST_200600_302600_NS16discard_iteratorINS9_11use_defaultEEENS9_5minusIxEEEE10hipError_tPvRmT2_T3_mT4_P12ihipStream_tbEUlT_E_NS1_11comp_targetILNS1_3genE3ELNS1_11target_archE908ELNS1_3gpuE7ELNS1_3repE0EEENS1_30default_config_static_selectorELNS0_4arch9wavefront6targetE0EEEvT1_, .Lfunc_end871-_ZN7rocprim17ROCPRIM_400000_NS6detail17trampoline_kernelINS0_14default_configENS1_35adjacent_difference_config_selectorILb1ExEEZNS1_24adjacent_difference_implIS3_Lb1ELb0EPxN6thrust23THRUST_200600_302600_NS16discard_iteratorINS9_11use_defaultEEENS9_5minusIxEEEE10hipError_tPvRmT2_T3_mT4_P12ihipStream_tbEUlT_E_NS1_11comp_targetILNS1_3genE3ELNS1_11target_archE908ELNS1_3gpuE7ELNS1_3repE0EEENS1_30default_config_static_selectorELNS0_4arch9wavefront6targetE0EEEvT1_
                                        ; -- End function
	.section	.AMDGPU.csdata,"",@progbits
; Kernel info:
; codeLenInByte = 0
; NumSgprs: 0
; NumVgprs: 0
; ScratchSize: 0
; MemoryBound: 0
; FloatMode: 240
; IeeeMode: 1
; LDSByteSize: 0 bytes/workgroup (compile time only)
; SGPRBlocks: 0
; VGPRBlocks: 0
; NumSGPRsForWavesPerEU: 1
; NumVGPRsForWavesPerEU: 1
; Occupancy: 16
; WaveLimiterHint : 0
; COMPUTE_PGM_RSRC2:SCRATCH_EN: 0
; COMPUTE_PGM_RSRC2:USER_SGPR: 15
; COMPUTE_PGM_RSRC2:TRAP_HANDLER: 0
; COMPUTE_PGM_RSRC2:TGID_X_EN: 1
; COMPUTE_PGM_RSRC2:TGID_Y_EN: 0
; COMPUTE_PGM_RSRC2:TGID_Z_EN: 0
; COMPUTE_PGM_RSRC2:TIDIG_COMP_CNT: 0
	.section	.text._ZN7rocprim17ROCPRIM_400000_NS6detail17trampoline_kernelINS0_14default_configENS1_35adjacent_difference_config_selectorILb1ExEEZNS1_24adjacent_difference_implIS3_Lb1ELb0EPxN6thrust23THRUST_200600_302600_NS16discard_iteratorINS9_11use_defaultEEENS9_5minusIxEEEE10hipError_tPvRmT2_T3_mT4_P12ihipStream_tbEUlT_E_NS1_11comp_targetILNS1_3genE2ELNS1_11target_archE906ELNS1_3gpuE6ELNS1_3repE0EEENS1_30default_config_static_selectorELNS0_4arch9wavefront6targetE0EEEvT1_,"axG",@progbits,_ZN7rocprim17ROCPRIM_400000_NS6detail17trampoline_kernelINS0_14default_configENS1_35adjacent_difference_config_selectorILb1ExEEZNS1_24adjacent_difference_implIS3_Lb1ELb0EPxN6thrust23THRUST_200600_302600_NS16discard_iteratorINS9_11use_defaultEEENS9_5minusIxEEEE10hipError_tPvRmT2_T3_mT4_P12ihipStream_tbEUlT_E_NS1_11comp_targetILNS1_3genE2ELNS1_11target_archE906ELNS1_3gpuE6ELNS1_3repE0EEENS1_30default_config_static_selectorELNS0_4arch9wavefront6targetE0EEEvT1_,comdat
	.protected	_ZN7rocprim17ROCPRIM_400000_NS6detail17trampoline_kernelINS0_14default_configENS1_35adjacent_difference_config_selectorILb1ExEEZNS1_24adjacent_difference_implIS3_Lb1ELb0EPxN6thrust23THRUST_200600_302600_NS16discard_iteratorINS9_11use_defaultEEENS9_5minusIxEEEE10hipError_tPvRmT2_T3_mT4_P12ihipStream_tbEUlT_E_NS1_11comp_targetILNS1_3genE2ELNS1_11target_archE906ELNS1_3gpuE6ELNS1_3repE0EEENS1_30default_config_static_selectorELNS0_4arch9wavefront6targetE0EEEvT1_ ; -- Begin function _ZN7rocprim17ROCPRIM_400000_NS6detail17trampoline_kernelINS0_14default_configENS1_35adjacent_difference_config_selectorILb1ExEEZNS1_24adjacent_difference_implIS3_Lb1ELb0EPxN6thrust23THRUST_200600_302600_NS16discard_iteratorINS9_11use_defaultEEENS9_5minusIxEEEE10hipError_tPvRmT2_T3_mT4_P12ihipStream_tbEUlT_E_NS1_11comp_targetILNS1_3genE2ELNS1_11target_archE906ELNS1_3gpuE6ELNS1_3repE0EEENS1_30default_config_static_selectorELNS0_4arch9wavefront6targetE0EEEvT1_
	.globl	_ZN7rocprim17ROCPRIM_400000_NS6detail17trampoline_kernelINS0_14default_configENS1_35adjacent_difference_config_selectorILb1ExEEZNS1_24adjacent_difference_implIS3_Lb1ELb0EPxN6thrust23THRUST_200600_302600_NS16discard_iteratorINS9_11use_defaultEEENS9_5minusIxEEEE10hipError_tPvRmT2_T3_mT4_P12ihipStream_tbEUlT_E_NS1_11comp_targetILNS1_3genE2ELNS1_11target_archE906ELNS1_3gpuE6ELNS1_3repE0EEENS1_30default_config_static_selectorELNS0_4arch9wavefront6targetE0EEEvT1_
	.p2align	8
	.type	_ZN7rocprim17ROCPRIM_400000_NS6detail17trampoline_kernelINS0_14default_configENS1_35adjacent_difference_config_selectorILb1ExEEZNS1_24adjacent_difference_implIS3_Lb1ELb0EPxN6thrust23THRUST_200600_302600_NS16discard_iteratorINS9_11use_defaultEEENS9_5minusIxEEEE10hipError_tPvRmT2_T3_mT4_P12ihipStream_tbEUlT_E_NS1_11comp_targetILNS1_3genE2ELNS1_11target_archE906ELNS1_3gpuE6ELNS1_3repE0EEENS1_30default_config_static_selectorELNS0_4arch9wavefront6targetE0EEEvT1_,@function
_ZN7rocprim17ROCPRIM_400000_NS6detail17trampoline_kernelINS0_14default_configENS1_35adjacent_difference_config_selectorILb1ExEEZNS1_24adjacent_difference_implIS3_Lb1ELb0EPxN6thrust23THRUST_200600_302600_NS16discard_iteratorINS9_11use_defaultEEENS9_5minusIxEEEE10hipError_tPvRmT2_T3_mT4_P12ihipStream_tbEUlT_E_NS1_11comp_targetILNS1_3genE2ELNS1_11target_archE906ELNS1_3gpuE6ELNS1_3repE0EEENS1_30default_config_static_selectorELNS0_4arch9wavefront6targetE0EEEvT1_: ; @_ZN7rocprim17ROCPRIM_400000_NS6detail17trampoline_kernelINS0_14default_configENS1_35adjacent_difference_config_selectorILb1ExEEZNS1_24adjacent_difference_implIS3_Lb1ELb0EPxN6thrust23THRUST_200600_302600_NS16discard_iteratorINS9_11use_defaultEEENS9_5minusIxEEEE10hipError_tPvRmT2_T3_mT4_P12ihipStream_tbEUlT_E_NS1_11comp_targetILNS1_3genE2ELNS1_11target_archE906ELNS1_3gpuE6ELNS1_3repE0EEENS1_30default_config_static_selectorELNS0_4arch9wavefront6targetE0EEEvT1_
; %bb.0:
	.section	.rodata,"a",@progbits
	.p2align	6, 0x0
	.amdhsa_kernel _ZN7rocprim17ROCPRIM_400000_NS6detail17trampoline_kernelINS0_14default_configENS1_35adjacent_difference_config_selectorILb1ExEEZNS1_24adjacent_difference_implIS3_Lb1ELb0EPxN6thrust23THRUST_200600_302600_NS16discard_iteratorINS9_11use_defaultEEENS9_5minusIxEEEE10hipError_tPvRmT2_T3_mT4_P12ihipStream_tbEUlT_E_NS1_11comp_targetILNS1_3genE2ELNS1_11target_archE906ELNS1_3gpuE6ELNS1_3repE0EEENS1_30default_config_static_selectorELNS0_4arch9wavefront6targetE0EEEvT1_
		.amdhsa_group_segment_fixed_size 0
		.amdhsa_private_segment_fixed_size 0
		.amdhsa_kernarg_size 64
		.amdhsa_user_sgpr_count 15
		.amdhsa_user_sgpr_dispatch_ptr 0
		.amdhsa_user_sgpr_queue_ptr 0
		.amdhsa_user_sgpr_kernarg_segment_ptr 1
		.amdhsa_user_sgpr_dispatch_id 0
		.amdhsa_user_sgpr_private_segment_size 0
		.amdhsa_wavefront_size32 1
		.amdhsa_uses_dynamic_stack 0
		.amdhsa_enable_private_segment 0
		.amdhsa_system_sgpr_workgroup_id_x 1
		.amdhsa_system_sgpr_workgroup_id_y 0
		.amdhsa_system_sgpr_workgroup_id_z 0
		.amdhsa_system_sgpr_workgroup_info 0
		.amdhsa_system_vgpr_workitem_id 0
		.amdhsa_next_free_vgpr 1
		.amdhsa_next_free_sgpr 1
		.amdhsa_reserve_vcc 0
		.amdhsa_float_round_mode_32 0
		.amdhsa_float_round_mode_16_64 0
		.amdhsa_float_denorm_mode_32 3
		.amdhsa_float_denorm_mode_16_64 3
		.amdhsa_dx10_clamp 1
		.amdhsa_ieee_mode 1
		.amdhsa_fp16_overflow 0
		.amdhsa_workgroup_processor_mode 1
		.amdhsa_memory_ordered 1
		.amdhsa_forward_progress 0
		.amdhsa_shared_vgpr_count 0
		.amdhsa_exception_fp_ieee_invalid_op 0
		.amdhsa_exception_fp_denorm_src 0
		.amdhsa_exception_fp_ieee_div_zero 0
		.amdhsa_exception_fp_ieee_overflow 0
		.amdhsa_exception_fp_ieee_underflow 0
		.amdhsa_exception_fp_ieee_inexact 0
		.amdhsa_exception_int_div_zero 0
	.end_amdhsa_kernel
	.section	.text._ZN7rocprim17ROCPRIM_400000_NS6detail17trampoline_kernelINS0_14default_configENS1_35adjacent_difference_config_selectorILb1ExEEZNS1_24adjacent_difference_implIS3_Lb1ELb0EPxN6thrust23THRUST_200600_302600_NS16discard_iteratorINS9_11use_defaultEEENS9_5minusIxEEEE10hipError_tPvRmT2_T3_mT4_P12ihipStream_tbEUlT_E_NS1_11comp_targetILNS1_3genE2ELNS1_11target_archE906ELNS1_3gpuE6ELNS1_3repE0EEENS1_30default_config_static_selectorELNS0_4arch9wavefront6targetE0EEEvT1_,"axG",@progbits,_ZN7rocprim17ROCPRIM_400000_NS6detail17trampoline_kernelINS0_14default_configENS1_35adjacent_difference_config_selectorILb1ExEEZNS1_24adjacent_difference_implIS3_Lb1ELb0EPxN6thrust23THRUST_200600_302600_NS16discard_iteratorINS9_11use_defaultEEENS9_5minusIxEEEE10hipError_tPvRmT2_T3_mT4_P12ihipStream_tbEUlT_E_NS1_11comp_targetILNS1_3genE2ELNS1_11target_archE906ELNS1_3gpuE6ELNS1_3repE0EEENS1_30default_config_static_selectorELNS0_4arch9wavefront6targetE0EEEvT1_,comdat
.Lfunc_end872:
	.size	_ZN7rocprim17ROCPRIM_400000_NS6detail17trampoline_kernelINS0_14default_configENS1_35adjacent_difference_config_selectorILb1ExEEZNS1_24adjacent_difference_implIS3_Lb1ELb0EPxN6thrust23THRUST_200600_302600_NS16discard_iteratorINS9_11use_defaultEEENS9_5minusIxEEEE10hipError_tPvRmT2_T3_mT4_P12ihipStream_tbEUlT_E_NS1_11comp_targetILNS1_3genE2ELNS1_11target_archE906ELNS1_3gpuE6ELNS1_3repE0EEENS1_30default_config_static_selectorELNS0_4arch9wavefront6targetE0EEEvT1_, .Lfunc_end872-_ZN7rocprim17ROCPRIM_400000_NS6detail17trampoline_kernelINS0_14default_configENS1_35adjacent_difference_config_selectorILb1ExEEZNS1_24adjacent_difference_implIS3_Lb1ELb0EPxN6thrust23THRUST_200600_302600_NS16discard_iteratorINS9_11use_defaultEEENS9_5minusIxEEEE10hipError_tPvRmT2_T3_mT4_P12ihipStream_tbEUlT_E_NS1_11comp_targetILNS1_3genE2ELNS1_11target_archE906ELNS1_3gpuE6ELNS1_3repE0EEENS1_30default_config_static_selectorELNS0_4arch9wavefront6targetE0EEEvT1_
                                        ; -- End function
	.section	.AMDGPU.csdata,"",@progbits
; Kernel info:
; codeLenInByte = 0
; NumSgprs: 0
; NumVgprs: 0
; ScratchSize: 0
; MemoryBound: 0
; FloatMode: 240
; IeeeMode: 1
; LDSByteSize: 0 bytes/workgroup (compile time only)
; SGPRBlocks: 0
; VGPRBlocks: 0
; NumSGPRsForWavesPerEU: 1
; NumVGPRsForWavesPerEU: 1
; Occupancy: 16
; WaveLimiterHint : 0
; COMPUTE_PGM_RSRC2:SCRATCH_EN: 0
; COMPUTE_PGM_RSRC2:USER_SGPR: 15
; COMPUTE_PGM_RSRC2:TRAP_HANDLER: 0
; COMPUTE_PGM_RSRC2:TGID_X_EN: 1
; COMPUTE_PGM_RSRC2:TGID_Y_EN: 0
; COMPUTE_PGM_RSRC2:TGID_Z_EN: 0
; COMPUTE_PGM_RSRC2:TIDIG_COMP_CNT: 0
	.section	.text._ZN7rocprim17ROCPRIM_400000_NS6detail17trampoline_kernelINS0_14default_configENS1_35adjacent_difference_config_selectorILb1ExEEZNS1_24adjacent_difference_implIS3_Lb1ELb0EPxN6thrust23THRUST_200600_302600_NS16discard_iteratorINS9_11use_defaultEEENS9_5minusIxEEEE10hipError_tPvRmT2_T3_mT4_P12ihipStream_tbEUlT_E_NS1_11comp_targetILNS1_3genE9ELNS1_11target_archE1100ELNS1_3gpuE3ELNS1_3repE0EEENS1_30default_config_static_selectorELNS0_4arch9wavefront6targetE0EEEvT1_,"axG",@progbits,_ZN7rocprim17ROCPRIM_400000_NS6detail17trampoline_kernelINS0_14default_configENS1_35adjacent_difference_config_selectorILb1ExEEZNS1_24adjacent_difference_implIS3_Lb1ELb0EPxN6thrust23THRUST_200600_302600_NS16discard_iteratorINS9_11use_defaultEEENS9_5minusIxEEEE10hipError_tPvRmT2_T3_mT4_P12ihipStream_tbEUlT_E_NS1_11comp_targetILNS1_3genE9ELNS1_11target_archE1100ELNS1_3gpuE3ELNS1_3repE0EEENS1_30default_config_static_selectorELNS0_4arch9wavefront6targetE0EEEvT1_,comdat
	.protected	_ZN7rocprim17ROCPRIM_400000_NS6detail17trampoline_kernelINS0_14default_configENS1_35adjacent_difference_config_selectorILb1ExEEZNS1_24adjacent_difference_implIS3_Lb1ELb0EPxN6thrust23THRUST_200600_302600_NS16discard_iteratorINS9_11use_defaultEEENS9_5minusIxEEEE10hipError_tPvRmT2_T3_mT4_P12ihipStream_tbEUlT_E_NS1_11comp_targetILNS1_3genE9ELNS1_11target_archE1100ELNS1_3gpuE3ELNS1_3repE0EEENS1_30default_config_static_selectorELNS0_4arch9wavefront6targetE0EEEvT1_ ; -- Begin function _ZN7rocprim17ROCPRIM_400000_NS6detail17trampoline_kernelINS0_14default_configENS1_35adjacent_difference_config_selectorILb1ExEEZNS1_24adjacent_difference_implIS3_Lb1ELb0EPxN6thrust23THRUST_200600_302600_NS16discard_iteratorINS9_11use_defaultEEENS9_5minusIxEEEE10hipError_tPvRmT2_T3_mT4_P12ihipStream_tbEUlT_E_NS1_11comp_targetILNS1_3genE9ELNS1_11target_archE1100ELNS1_3gpuE3ELNS1_3repE0EEENS1_30default_config_static_selectorELNS0_4arch9wavefront6targetE0EEEvT1_
	.globl	_ZN7rocprim17ROCPRIM_400000_NS6detail17trampoline_kernelINS0_14default_configENS1_35adjacent_difference_config_selectorILb1ExEEZNS1_24adjacent_difference_implIS3_Lb1ELb0EPxN6thrust23THRUST_200600_302600_NS16discard_iteratorINS9_11use_defaultEEENS9_5minusIxEEEE10hipError_tPvRmT2_T3_mT4_P12ihipStream_tbEUlT_E_NS1_11comp_targetILNS1_3genE9ELNS1_11target_archE1100ELNS1_3gpuE3ELNS1_3repE0EEENS1_30default_config_static_selectorELNS0_4arch9wavefront6targetE0EEEvT1_
	.p2align	8
	.type	_ZN7rocprim17ROCPRIM_400000_NS6detail17trampoline_kernelINS0_14default_configENS1_35adjacent_difference_config_selectorILb1ExEEZNS1_24adjacent_difference_implIS3_Lb1ELb0EPxN6thrust23THRUST_200600_302600_NS16discard_iteratorINS9_11use_defaultEEENS9_5minusIxEEEE10hipError_tPvRmT2_T3_mT4_P12ihipStream_tbEUlT_E_NS1_11comp_targetILNS1_3genE9ELNS1_11target_archE1100ELNS1_3gpuE3ELNS1_3repE0EEENS1_30default_config_static_selectorELNS0_4arch9wavefront6targetE0EEEvT1_,@function
_ZN7rocprim17ROCPRIM_400000_NS6detail17trampoline_kernelINS0_14default_configENS1_35adjacent_difference_config_selectorILb1ExEEZNS1_24adjacent_difference_implIS3_Lb1ELb0EPxN6thrust23THRUST_200600_302600_NS16discard_iteratorINS9_11use_defaultEEENS9_5minusIxEEEE10hipError_tPvRmT2_T3_mT4_P12ihipStream_tbEUlT_E_NS1_11comp_targetILNS1_3genE9ELNS1_11target_archE1100ELNS1_3gpuE3ELNS1_3repE0EEENS1_30default_config_static_selectorELNS0_4arch9wavefront6targetE0EEEvT1_: ; @_ZN7rocprim17ROCPRIM_400000_NS6detail17trampoline_kernelINS0_14default_configENS1_35adjacent_difference_config_selectorILb1ExEEZNS1_24adjacent_difference_implIS3_Lb1ELb0EPxN6thrust23THRUST_200600_302600_NS16discard_iteratorINS9_11use_defaultEEENS9_5minusIxEEEE10hipError_tPvRmT2_T3_mT4_P12ihipStream_tbEUlT_E_NS1_11comp_targetILNS1_3genE9ELNS1_11target_archE1100ELNS1_3gpuE3ELNS1_3repE0EEENS1_30default_config_static_selectorELNS0_4arch9wavefront6targetE0EEEvT1_
; %bb.0:
	s_clause 0x1
	s_load_b128 s[4:7], s[0:1], 0x0
	s_load_b64 s[8:9], s[0:1], 0x20
	s_mov_b32 s10, s15
	s_waitcnt lgkmcnt(0)
	s_lshl_b64 s[2:3], s[6:7], 3
	s_mov_b32 s6, 0x411a7a30
	s_add_u32 s16, s4, s2
	s_addc_u32 s17, s5, s3
	s_add_u32 s2, 0x76, s6
	s_addc_u32 s3, 0, 0
	v_add_co_u32 v1, s2, 0x20000000, s2
	s_delay_alu instid0(VALU_DEP_1) | instskip(SKIP_1) | instid1(VALU_DEP_1)
	s_cmp_lg_u32 s2, 0
	s_addc_u32 s3, s3, 0x11a7b9
	v_readfirstlane_b32 s2, v1
	s_mul_i32 s4, s3, 0xfffff180
	s_delay_alu instid0(VALU_DEP_1)
	s_mul_hi_u32 s5, s2, 0xfffff180
	s_mul_i32 s6, s2, 0xfffff180
	s_sub_i32 s5, s5, s2
	s_mul_hi_u32 s7, s2, s6
	s_add_i32 s5, s5, s4
	s_mul_hi_u32 s11, s3, s6
	s_mul_i32 s4, s3, s6
	s_mul_hi_u32 s6, s2, s5
	s_mul_i32 s2, s2, s5
	s_mul_hi_u32 s12, s3, s5
	s_add_u32 s2, s7, s2
	s_addc_u32 s6, 0, s6
	s_add_u32 s2, s2, s4
	s_mul_i32 s5, s3, s5
	s_addc_u32 s2, s6, s11
	s_addc_u32 s4, s12, 0
	s_add_u32 s2, s2, s5
	s_addc_u32 s4, 0, s4
	v_add_co_u32 v1, s2, v1, s2
	s_delay_alu instid0(VALU_DEP_1) | instskip(SKIP_1) | instid1(VALU_DEP_1)
	s_cmp_lg_u32 s2, 0
	s_addc_u32 s2, s3, s4
	v_readfirstlane_b32 s3, v1
	s_mul_i32 s5, s8, s2
	s_mul_hi_u32 s4, s8, s2
	s_mul_hi_u32 s6, s9, s2
	s_mul_i32 s2, s9, s2
	s_mul_hi_u32 s7, s8, s3
	s_mul_hi_u32 s11, s9, s3
	s_mul_i32 s3, s9, s3
	s_add_u32 s5, s7, s5
	s_addc_u32 s4, 0, s4
	s_add_u32 s3, s5, s3
	s_addc_u32 s3, s4, s11
	s_addc_u32 s4, s6, 0
	s_add_u32 s2, s3, s2
	s_addc_u32 s3, 0, s4
	s_mul_i32 s5, s2, 0xe80
	s_add_u32 s4, s2, 1
	v_sub_co_u32 v1, s5, s8, s5
	s_mul_hi_u32 s6, s2, 0xe80
	s_addc_u32 s7, s3, 0
	s_mul_i32 s11, s3, 0xe80
	s_delay_alu instid0(VALU_DEP_1)
	v_subrev_co_u32 v2, s12, 0xe80, v1
	s_add_u32 s13, s2, 2
	s_addc_u32 s14, s3, 0
	s_add_i32 s6, s6, s11
	s_cmp_lg_u32 s5, 0
	v_readfirstlane_b32 s5, v2
	s_subb_u32 s6, s9, s6
	s_cmp_lg_u32 s12, 0
	s_subb_u32 s11, s6, 0
	s_delay_alu instid0(VALU_DEP_1) | instskip(SKIP_4) | instid1(SALU_CYCLE_1)
	s_cmpk_gt_u32 s5, 0xe7f
	s_cselect_b32 s5, -1, 0
	s_cmp_eq_u32 s11, 0
	v_readfirstlane_b32 s11, v1
	s_cselect_b32 s5, s5, -1
	s_cmp_lg_u32 s5, 0
	s_cselect_b32 s12, s13, s4
	s_cselect_b32 s13, s14, s7
	s_cmpk_gt_u32 s11, 0xe7f
	s_cselect_b32 s4, -1, 0
	s_cmp_eq_u32 s6, 0
	s_cselect_b32 s4, s4, -1
	s_delay_alu instid0(SALU_CYCLE_1)
	s_cmp_lg_u32 s4, 0
	s_load_b128 s[4:7], s[0:1], 0x30
	s_cselect_b32 s3, s13, s3
	s_cselect_b32 s2, s12, s2
	s_mul_i32 s0, s3, 0xe80
	s_mul_hi_u32 s1, s2, 0xe80
	s_mul_i32 s11, s2, 0xe80
	s_add_i32 s1, s1, s0
	s_sub_u32 s0, s8, s11
	s_subb_u32 s1, s9, s1
	s_mul_i32 s12, s15, 0xe80
	s_cmp_lg_u64 s[0:1], 0
	s_mov_b32 s11, 0
	s_cselect_b32 s0, -1, 0
	s_mov_b32 s1, -1
	v_cndmask_b32_e64 v1, 0, 1, s0
	s_delay_alu instid0(VALU_DEP_1) | instskip(NEXT) | instid1(VALU_DEP_1)
	v_add_co_u32 v59, s0, s2, v1
	v_add_co_ci_u32_e64 v60, null, s3, 0, s0
	s_waitcnt lgkmcnt(0)
	s_add_u32 s2, s6, s15
	s_delay_alu instid0(VALU_DEP_2) | instskip(NEXT) | instid1(VALU_DEP_2)
	v_add_co_u32 v61, vcc_lo, v59, -1
	v_add_co_ci_u32_e32 v62, vcc_lo, -1, v60, vcc_lo
	s_addc_u32 s3, s7, 0
	s_delay_alu instid0(VALU_DEP_1) | instid1(SALU_CYCLE_1)
	v_cmp_ge_u64_e64 s0, s[2:3], v[61:62]
	s_delay_alu instid0(VALU_DEP_1)
	s_and_b32 vcc_lo, exec_lo, s0
	s_cbranch_vccz .LBB873_60
; %bb.1:
	v_mul_lo_u32 v1, 0xfffff180, v61
	s_mov_b32 s13, s11
	s_mov_b32 s1, exec_lo
	s_lshl_b64 s[14:15], s[12:13], 3
	s_delay_alu instid0(SALU_CYCLE_1) | instskip(SKIP_1) | instid1(VALU_DEP_1)
	s_add_u32 s14, s16, s14
	s_addc_u32 s15, s17, s15
	v_add_nc_u32_e32 v57, s8, v1
                                        ; implicit-def: $vgpr1_vgpr2
	s_delay_alu instid0(VALU_DEP_1)
	v_cmpx_lt_u32_e64 v0, v57
	s_cbranch_execz .LBB873_3
; %bb.2:
	v_lshlrev_b32_e32 v1, 3, v0
	global_load_b64 v[1:2], v1, s[14:15]
.LBB873_3:
	s_or_b32 exec_lo, exec_lo, s1
	v_or_b32_e32 v3, 0x80, v0
	s_delay_alu instid0(VALU_DEP_1)
	v_cmp_lt_u32_e32 vcc_lo, v3, v57
                                        ; implicit-def: $vgpr3_vgpr4
	s_and_saveexec_b32 s1, vcc_lo
	s_cbranch_execz .LBB873_5
; %bb.4:
	v_lshlrev_b32_e32 v3, 3, v0
	global_load_b64 v[3:4], v3, s[14:15] offset:1024
.LBB873_5:
	s_or_b32 exec_lo, exec_lo, s1
	v_or_b32_e32 v5, 0x100, v0
	s_delay_alu instid0(VALU_DEP_1)
	v_cmp_lt_u32_e32 vcc_lo, v5, v57
                                        ; implicit-def: $vgpr5_vgpr6
	s_and_saveexec_b32 s1, vcc_lo
	s_cbranch_execz .LBB873_7
; %bb.6:
	v_lshlrev_b32_e32 v5, 3, v0
	global_load_b64 v[5:6], v5, s[14:15] offset:2048
.LBB873_7:
	s_or_b32 exec_lo, exec_lo, s1
	v_or_b32_e32 v7, 0x180, v0
	s_delay_alu instid0(VALU_DEP_1)
	v_cmp_lt_u32_e32 vcc_lo, v7, v57
                                        ; implicit-def: $vgpr7_vgpr8
	s_and_saveexec_b32 s1, vcc_lo
	s_cbranch_execz .LBB873_9
; %bb.8:
	v_lshlrev_b32_e32 v7, 3, v0
	global_load_b64 v[7:8], v7, s[14:15] offset:3072
.LBB873_9:
	s_or_b32 exec_lo, exec_lo, s1
	v_or_b32_e32 v11, 0x200, v0
	s_mov_b32 s1, exec_lo
                                        ; implicit-def: $vgpr9_vgpr10
	s_delay_alu instid0(VALU_DEP_1)
	v_cmpx_lt_u32_e64 v11, v57
	s_cbranch_execz .LBB873_11
; %bb.10:
	v_lshlrev_b32_e32 v9, 3, v11
	global_load_b64 v[9:10], v9, s[14:15]
.LBB873_11:
	s_or_b32 exec_lo, exec_lo, s1
	v_or_b32_e32 v13, 0x280, v0
	s_mov_b32 s1, exec_lo
                                        ; implicit-def: $vgpr11_vgpr12
	s_delay_alu instid0(VALU_DEP_1)
	v_cmpx_lt_u32_e64 v13, v57
	s_cbranch_execz .LBB873_13
; %bb.12:
	v_lshlrev_b32_e32 v11, 3, v13
	global_load_b64 v[11:12], v11, s[14:15]
.LBB873_13:
	s_or_b32 exec_lo, exec_lo, s1
	v_or_b32_e32 v15, 0x300, v0
	s_mov_b32 s1, exec_lo
                                        ; implicit-def: $vgpr13_vgpr14
	s_delay_alu instid0(VALU_DEP_1)
	v_cmpx_lt_u32_e64 v15, v57
	s_cbranch_execz .LBB873_15
; %bb.14:
	v_lshlrev_b32_e32 v13, 3, v15
	global_load_b64 v[13:14], v13, s[14:15]
.LBB873_15:
	s_or_b32 exec_lo, exec_lo, s1
	v_or_b32_e32 v17, 0x380, v0
	s_mov_b32 s1, exec_lo
                                        ; implicit-def: $vgpr15_vgpr16
	s_delay_alu instid0(VALU_DEP_1)
	v_cmpx_lt_u32_e64 v17, v57
	s_cbranch_execz .LBB873_17
; %bb.16:
	v_lshlrev_b32_e32 v15, 3, v17
	global_load_b64 v[15:16], v15, s[14:15]
.LBB873_17:
	s_or_b32 exec_lo, exec_lo, s1
	v_or_b32_e32 v19, 0x400, v0
	s_mov_b32 s1, exec_lo
                                        ; implicit-def: $vgpr17_vgpr18
	s_delay_alu instid0(VALU_DEP_1)
	v_cmpx_lt_u32_e64 v19, v57
	s_cbranch_execz .LBB873_19
; %bb.18:
	v_lshlrev_b32_e32 v17, 3, v19
	global_load_b64 v[17:18], v17, s[14:15]
.LBB873_19:
	s_or_b32 exec_lo, exec_lo, s1
	v_or_b32_e32 v21, 0x480, v0
	s_mov_b32 s1, exec_lo
                                        ; implicit-def: $vgpr19_vgpr20
	s_delay_alu instid0(VALU_DEP_1)
	v_cmpx_lt_u32_e64 v21, v57
	s_cbranch_execz .LBB873_21
; %bb.20:
	v_lshlrev_b32_e32 v19, 3, v21
	global_load_b64 v[19:20], v19, s[14:15]
.LBB873_21:
	s_or_b32 exec_lo, exec_lo, s1
	v_or_b32_e32 v23, 0x500, v0
	s_mov_b32 s1, exec_lo
                                        ; implicit-def: $vgpr21_vgpr22
	s_delay_alu instid0(VALU_DEP_1)
	v_cmpx_lt_u32_e64 v23, v57
	s_cbranch_execz .LBB873_23
; %bb.22:
	v_lshlrev_b32_e32 v21, 3, v23
	global_load_b64 v[21:22], v21, s[14:15]
.LBB873_23:
	s_or_b32 exec_lo, exec_lo, s1
	v_or_b32_e32 v25, 0x580, v0
	s_mov_b32 s1, exec_lo
                                        ; implicit-def: $vgpr23_vgpr24
	s_delay_alu instid0(VALU_DEP_1)
	v_cmpx_lt_u32_e64 v25, v57
	s_cbranch_execz .LBB873_25
; %bb.24:
	v_lshlrev_b32_e32 v23, 3, v25
	global_load_b64 v[23:24], v23, s[14:15]
.LBB873_25:
	s_or_b32 exec_lo, exec_lo, s1
	v_or_b32_e32 v27, 0x600, v0
	s_mov_b32 s1, exec_lo
                                        ; implicit-def: $vgpr25_vgpr26
	s_delay_alu instid0(VALU_DEP_1)
	v_cmpx_lt_u32_e64 v27, v57
	s_cbranch_execz .LBB873_27
; %bb.26:
	v_lshlrev_b32_e32 v25, 3, v27
	global_load_b64 v[25:26], v25, s[14:15]
.LBB873_27:
	s_or_b32 exec_lo, exec_lo, s1
	v_or_b32_e32 v29, 0x680, v0
	s_mov_b32 s1, exec_lo
                                        ; implicit-def: $vgpr27_vgpr28
	s_delay_alu instid0(VALU_DEP_1)
	v_cmpx_lt_u32_e64 v29, v57
	s_cbranch_execz .LBB873_29
; %bb.28:
	v_lshlrev_b32_e32 v27, 3, v29
	global_load_b64 v[27:28], v27, s[14:15]
.LBB873_29:
	s_or_b32 exec_lo, exec_lo, s1
	v_or_b32_e32 v31, 0x700, v0
	s_mov_b32 s1, exec_lo
                                        ; implicit-def: $vgpr29_vgpr30
	s_delay_alu instid0(VALU_DEP_1)
	v_cmpx_lt_u32_e64 v31, v57
	s_cbranch_execz .LBB873_31
; %bb.30:
	v_lshlrev_b32_e32 v29, 3, v31
	global_load_b64 v[29:30], v29, s[14:15]
.LBB873_31:
	s_or_b32 exec_lo, exec_lo, s1
	v_or_b32_e32 v33, 0x780, v0
	s_mov_b32 s1, exec_lo
                                        ; implicit-def: $vgpr31_vgpr32
	s_delay_alu instid0(VALU_DEP_1)
	v_cmpx_lt_u32_e64 v33, v57
	s_cbranch_execz .LBB873_33
; %bb.32:
	v_lshlrev_b32_e32 v31, 3, v33
	global_load_b64 v[31:32], v31, s[14:15]
.LBB873_33:
	s_or_b32 exec_lo, exec_lo, s1
	v_or_b32_e32 v35, 0x800, v0
	s_mov_b32 s1, exec_lo
                                        ; implicit-def: $vgpr33_vgpr34
	s_delay_alu instid0(VALU_DEP_1)
	v_cmpx_lt_u32_e64 v35, v57
	s_cbranch_execz .LBB873_35
; %bb.34:
	v_lshlrev_b32_e32 v33, 3, v35
	global_load_b64 v[33:34], v33, s[14:15]
.LBB873_35:
	s_or_b32 exec_lo, exec_lo, s1
	v_or_b32_e32 v37, 0x880, v0
	s_mov_b32 s1, exec_lo
                                        ; implicit-def: $vgpr35_vgpr36
	s_delay_alu instid0(VALU_DEP_1)
	v_cmpx_lt_u32_e64 v37, v57
	s_cbranch_execz .LBB873_37
; %bb.36:
	v_lshlrev_b32_e32 v35, 3, v37
	global_load_b64 v[35:36], v35, s[14:15]
.LBB873_37:
	s_or_b32 exec_lo, exec_lo, s1
	v_or_b32_e32 v39, 0x900, v0
	s_mov_b32 s1, exec_lo
                                        ; implicit-def: $vgpr37_vgpr38
	s_delay_alu instid0(VALU_DEP_1)
	v_cmpx_lt_u32_e64 v39, v57
	s_cbranch_execz .LBB873_39
; %bb.38:
	v_lshlrev_b32_e32 v37, 3, v39
	global_load_b64 v[37:38], v37, s[14:15]
.LBB873_39:
	s_or_b32 exec_lo, exec_lo, s1
	v_or_b32_e32 v41, 0x980, v0
	s_mov_b32 s1, exec_lo
                                        ; implicit-def: $vgpr39_vgpr40
	s_delay_alu instid0(VALU_DEP_1)
	v_cmpx_lt_u32_e64 v41, v57
	s_cbranch_execz .LBB873_41
; %bb.40:
	v_lshlrev_b32_e32 v39, 3, v41
	global_load_b64 v[39:40], v39, s[14:15]
.LBB873_41:
	s_or_b32 exec_lo, exec_lo, s1
	v_or_b32_e32 v43, 0xa00, v0
	s_mov_b32 s1, exec_lo
                                        ; implicit-def: $vgpr41_vgpr42
	s_delay_alu instid0(VALU_DEP_1)
	v_cmpx_lt_u32_e64 v43, v57
	s_cbranch_execz .LBB873_43
; %bb.42:
	v_lshlrev_b32_e32 v41, 3, v43
	global_load_b64 v[41:42], v41, s[14:15]
.LBB873_43:
	s_or_b32 exec_lo, exec_lo, s1
	v_or_b32_e32 v45, 0xa80, v0
	s_mov_b32 s1, exec_lo
                                        ; implicit-def: $vgpr43_vgpr44
	s_delay_alu instid0(VALU_DEP_1)
	v_cmpx_lt_u32_e64 v45, v57
	s_cbranch_execz .LBB873_45
; %bb.44:
	v_lshlrev_b32_e32 v43, 3, v45
	global_load_b64 v[43:44], v43, s[14:15]
.LBB873_45:
	s_or_b32 exec_lo, exec_lo, s1
	v_or_b32_e32 v47, 0xb00, v0
	s_mov_b32 s1, exec_lo
                                        ; implicit-def: $vgpr45_vgpr46
	s_delay_alu instid0(VALU_DEP_1)
	v_cmpx_lt_u32_e64 v47, v57
	s_cbranch_execz .LBB873_47
; %bb.46:
	v_lshlrev_b32_e32 v45, 3, v47
	global_load_b64 v[45:46], v45, s[14:15]
.LBB873_47:
	s_or_b32 exec_lo, exec_lo, s1
	v_or_b32_e32 v49, 0xb80, v0
	s_mov_b32 s1, exec_lo
                                        ; implicit-def: $vgpr47_vgpr48
	s_delay_alu instid0(VALU_DEP_1)
	v_cmpx_lt_u32_e64 v49, v57
	s_cbranch_execz .LBB873_49
; %bb.48:
	v_lshlrev_b32_e32 v47, 3, v49
	global_load_b64 v[47:48], v47, s[14:15]
.LBB873_49:
	s_or_b32 exec_lo, exec_lo, s1
	v_or_b32_e32 v51, 0xc00, v0
	s_mov_b32 s1, exec_lo
                                        ; implicit-def: $vgpr49_vgpr50
	s_delay_alu instid0(VALU_DEP_1)
	v_cmpx_lt_u32_e64 v51, v57
	s_cbranch_execz .LBB873_51
; %bb.50:
	v_lshlrev_b32_e32 v49, 3, v51
	global_load_b64 v[49:50], v49, s[14:15]
.LBB873_51:
	s_or_b32 exec_lo, exec_lo, s1
	v_or_b32_e32 v53, 0xc80, v0
	s_mov_b32 s1, exec_lo
                                        ; implicit-def: $vgpr51_vgpr52
	s_delay_alu instid0(VALU_DEP_1)
	v_cmpx_lt_u32_e64 v53, v57
	s_cbranch_execz .LBB873_53
; %bb.52:
	v_lshlrev_b32_e32 v51, 3, v53
	global_load_b64 v[51:52], v51, s[14:15]
.LBB873_53:
	s_or_b32 exec_lo, exec_lo, s1
	v_or_b32_e32 v55, 0xd00, v0
	s_mov_b32 s1, exec_lo
                                        ; implicit-def: $vgpr53_vgpr54
	s_delay_alu instid0(VALU_DEP_1)
	v_cmpx_lt_u32_e64 v55, v57
	s_cbranch_execz .LBB873_55
; %bb.54:
	v_lshlrev_b32_e32 v53, 3, v55
	global_load_b64 v[53:54], v53, s[14:15]
.LBB873_55:
	s_or_b32 exec_lo, exec_lo, s1
	v_or_b32_e32 v58, 0xd80, v0
	s_mov_b32 s1, exec_lo
                                        ; implicit-def: $vgpr55_vgpr56
	s_delay_alu instid0(VALU_DEP_1)
	v_cmpx_lt_u32_e64 v58, v57
	s_cbranch_execz .LBB873_57
; %bb.56:
	v_lshlrev_b32_e32 v55, 3, v58
	global_load_b64 v[55:56], v55, s[14:15]
.LBB873_57:
	s_or_b32 exec_lo, exec_lo, s1
	v_or_b32_e32 v63, 0xe00, v0
	s_delay_alu instid0(VALU_DEP_1)
	v_cmp_lt_u32_e32 vcc_lo, v63, v57
                                        ; implicit-def: $vgpr57_vgpr58
	s_and_saveexec_b32 s1, vcc_lo
	s_cbranch_execz .LBB873_59
; %bb.58:
	v_lshlrev_b32_e32 v57, 3, v63
	global_load_b64 v[57:58], v57, s[14:15]
.LBB873_59:
	s_or_b32 exec_lo, exec_lo, s1
	v_lshlrev_b32_e32 v63, 3, v0
	s_mov_b32 s1, 0
	s_waitcnt vmcnt(0)
	ds_store_2addr_stride64_b64 v63, v[1:2], v[3:4] offset1:2
	ds_store_2addr_stride64_b64 v63, v[5:6], v[7:8] offset0:4 offset1:6
	ds_store_2addr_stride64_b64 v63, v[9:10], v[11:12] offset0:8 offset1:10
	;; [unrolled: 1-line block ×13, first 2 shown]
	ds_store_b64 v63, v[57:58] offset:28672
	s_waitcnt lgkmcnt(0)
	s_barrier
.LBB873_60:
	v_lshlrev_b32_e32 v119, 3, v0
	s_and_b32 vcc_lo, exec_lo, s1
	s_cbranch_vccz .LBB873_62
; %bb.61:
	s_mov_b32 s13, 0
	s_delay_alu instid0(SALU_CYCLE_1) | instskip(NEXT) | instid1(SALU_CYCLE_1)
	s_lshl_b64 s[12:13], s[12:13], 3
	s_add_u32 s12, s16, s12
	s_addc_u32 s13, s17, s13
	v_add_co_u32 v49, s1, s12, v119
	s_delay_alu instid0(VALU_DEP_1)
	v_add_co_ci_u32_e64 v50, null, s13, 0, s1
	s_clause 0x3
	global_load_b64 v[1:2], v119, s[12:13]
	global_load_b64 v[3:4], v119, s[12:13] offset:1024
	global_load_b64 v[5:6], v119, s[12:13] offset:2048
	;; [unrolled: 1-line block ×3, first 2 shown]
	v_add_co_u32 v9, vcc_lo, 0x1000, v49
	v_add_co_ci_u32_e32 v10, vcc_lo, 0, v50, vcc_lo
	v_add_co_u32 v11, vcc_lo, v49, 0x2000
	v_add_co_ci_u32_e32 v12, vcc_lo, 0, v50, vcc_lo
	;; [unrolled: 2-line block ×10, first 2 shown]
	s_clause 0x18
	global_load_b64 v[15:16], v[11:12], off offset:-4096
	global_load_b64 v[17:18], v[9:10], off offset:1024
	global_load_b64 v[19:20], v[9:10], off offset:2048
	;; [unrolled: 1-line block ×12, first 2 shown]
	global_load_b64 v[11:12], v[11:12], off
	global_load_b64 v[43:44], v[25:26], off offset:-4096
	global_load_b64 v[25:26], v[25:26], off
	global_load_b64 v[45:46], v[39:40], off offset:-4096
	global_load_b64 v[39:40], v[39:40], off
	global_load_b64 v[51:52], v[41:42], off offset:1024
	global_load_b64 v[53:54], v[41:42], off offset:2048
	;; [unrolled: 1-line block ×6, first 2 shown]
	global_load_b64 v[49:50], v[49:50], off
	s_waitcnt vmcnt(27)
	ds_store_2addr_stride64_b64 v119, v[1:2], v[3:4] offset1:2
	s_waitcnt vmcnt(25)
	ds_store_2addr_stride64_b64 v119, v[5:6], v[7:8] offset0:4 offset1:6
	s_waitcnt vmcnt(23)
	ds_store_2addr_stride64_b64 v119, v[15:16], v[17:18] offset0:8 offset1:10
	;; [unrolled: 2-line block ×4, first 2 shown]
	ds_store_2addr_stride64_b64 v119, v[29:30], v[13:14] offset0:20 offset1:22
	s_waitcnt vmcnt(10)
	ds_store_2addr_stride64_b64 v119, v[43:44], v[31:32] offset0:24 offset1:26
	ds_store_2addr_stride64_b64 v119, v[33:34], v[23:24] offset0:28 offset1:30
	s_waitcnt vmcnt(9)
	ds_store_2addr_stride64_b64 v119, v[25:26], v[35:36] offset0:32 offset1:34
	;; [unrolled: 3-line block ×3, first 2 shown]
	s_waitcnt vmcnt(4)
	ds_store_2addr_stride64_b64 v119, v[53:54], v[41:42] offset0:44 offset1:46
	s_waitcnt vmcnt(3)
	ds_store_2addr_stride64_b64 v119, v[39:40], v[55:56] offset0:48 offset1:50
	s_waitcnt vmcnt(1)
	ds_store_2addr_stride64_b64 v119, v[57:58], v[47:48] offset0:52 offset1:54
	s_waitcnt vmcnt(0)
	ds_store_b64 v119, v[49:50] offset:28672
	s_waitcnt lgkmcnt(0)
	s_barrier
.LBB873_62:
	v_mul_u32_u24_e32 v1, 29, v0
	buffer_gl0_inv
	s_cmp_eq_u64 s[2:3], 0
	v_lshlrev_b32_e32 v53, 3, v1
	ds_load_b64 v[57:58], v53 offset:224
	ds_load_2addr_b64 v[1:4], v53 offset0:26 offset1:27
	ds_load_2addr_b64 v[5:8], v53 offset0:24 offset1:25
	ds_load_2addr_b64 v[9:12], v53 offset1:1
	ds_load_2addr_b64 v[13:16], v53 offset0:2 offset1:3
	ds_load_2addr_b64 v[17:20], v53 offset0:4 offset1:5
	;; [unrolled: 1-line block ×11, first 2 shown]
	s_waitcnt lgkmcnt(0)
	s_barrier
	buffer_gl0_inv
	s_cbranch_scc1 .LBB873_67
; %bb.63:
	s_lshl_b64 s[6:7], s[6:7], 3
	v_cmp_eq_u64_e32 vcc_lo, s[2:3], v[61:62]
	s_add_u32 s1, s4, s6
	s_addc_u32 s6, s5, s7
	s_lshl_b64 s[4:5], s[10:11], 3
	s_delay_alu instid0(SALU_CYCLE_1)
	s_add_u32 s1, s1, s4
	s_addc_u32 s5, s6, s5
	s_add_u32 s4, s1, -8
	s_addc_u32 s5, s5, -1
	s_load_b64 s[4:5], s[4:5], 0x0
	s_cbranch_vccnz .LBB873_68
; %bb.64:
	s_waitcnt lgkmcnt(0)
	v_dual_mov_b32 v62, s5 :: v_dual_mov_b32 v61, s4
	s_mov_b32 s1, 0
	s_mov_b32 s3, exec_lo
	ds_store_b64 v119, v[57:58]
	s_waitcnt lgkmcnt(0)
	s_barrier
	buffer_gl0_inv
	v_cmpx_ne_u32_e32 0, v0
	s_cbranch_execz .LBB873_66
; %bb.65:
	v_add_nc_u32_e32 v61, -8, v119
	ds_load_b64 v[61:62], v61
.LBB873_66:
	s_or_b32 exec_lo, exec_lo, s3
	s_waitcnt lgkmcnt(0)
	v_sub_co_u32 v89, vcc_lo, v9, v61
	v_sub_co_ci_u32_e32 v90, vcc_lo, v10, v62, vcc_lo
	s_branch .LBB873_69
.LBB873_67:
                                        ; implicit-def: $vgpr89_vgpr90
                                        ; implicit-def: $vgpr117_vgpr118
                                        ; implicit-def: $vgpr115_vgpr116
                                        ; implicit-def: $vgpr113_vgpr114
                                        ; implicit-def: $vgpr111_vgpr112
                                        ; implicit-def: $vgpr109_vgpr110
                                        ; implicit-def: $vgpr107_vgpr108
                                        ; implicit-def: $vgpr105_vgpr106
                                        ; implicit-def: $vgpr103_vgpr104
                                        ; implicit-def: $vgpr101_vgpr102
                                        ; implicit-def: $vgpr99_vgpr100
                                        ; implicit-def: $vgpr97_vgpr98
                                        ; implicit-def: $vgpr95_vgpr96
                                        ; implicit-def: $vgpr93_vgpr94
                                        ; implicit-def: $vgpr91_vgpr92
                                        ; implicit-def: $vgpr87_vgpr88
                                        ; implicit-def: $vgpr85_vgpr86
                                        ; implicit-def: $vgpr83_vgpr84
                                        ; implicit-def: $vgpr81_vgpr82
                                        ; implicit-def: $vgpr79_vgpr80
                                        ; implicit-def: $vgpr77_vgpr78
                                        ; implicit-def: $vgpr75_vgpr76
                                        ; implicit-def: $vgpr73_vgpr74
                                        ; implicit-def: $vgpr71_vgpr72
                                        ; implicit-def: $vgpr69_vgpr70
                                        ; implicit-def: $vgpr67_vgpr68
                                        ; implicit-def: $vgpr65_vgpr66
                                        ; implicit-def: $vgpr63_vgpr64
                                        ; implicit-def: $vgpr61_vgpr62
	s_branch .LBB873_74
.LBB873_68:
	s_mov_b32 s1, -1
                                        ; implicit-def: $vgpr89_vgpr90
.LBB873_69:
	v_dual_mov_b32 v118, v10 :: v_dual_mov_b32 v117, v9
	v_dual_mov_b32 v116, v12 :: v_dual_mov_b32 v115, v11
	;; [unrolled: 1-line block ×28, first 2 shown]
	s_and_b32 vcc_lo, exec_lo, s1
	s_cbranch_vccz .LBB873_73
; %bb.70:
	v_mul_u32_u24_e32 v115, 29, v0
	s_waitcnt lgkmcnt(0)
	v_dual_mov_b32 v90, s5 :: v_dual_mov_b32 v89, s4
	s_mov_b32 s1, exec_lo
	ds_store_b64 v119, v[57:58]
	s_waitcnt lgkmcnt(0)
	s_barrier
	buffer_gl0_inv
	v_cmpx_ne_u32_e32 0, v0
	s_cbranch_execz .LBB873_72
; %bb.71:
	v_add_nc_u32_e32 v61, -8, v119
	ds_load_b64 v[89:90], v61
.LBB873_72:
	s_or_b32 exec_lo, exec_lo, s1
	v_add_nc_u32_e32 v61, 28, v115
	s_mulk_i32 s2, 0xf180
	v_add_nc_u32_e32 v62, 27, v115
	s_add_i32 s2, s2, s8
	v_add_nc_u32_e32 v63, 26, v115
	v_cmp_gt_u32_e32 vcc_lo, s2, v61
	v_add_nc_u32_e32 v65, 25, v115
	v_cmp_gt_u32_e64 s1, s2, v62
	v_add_nc_u32_e32 v67, 24, v115
	v_dual_cndmask_b32 v62, 0, v4 :: v_dual_add_nc_u32 v69, 23, v115
	v_cndmask_b32_e32 v61, 0, v3, vcc_lo
	v_cmp_gt_u32_e32 vcc_lo, s2, v63
	v_cndmask_b32_e64 v64, 0, v2, s1
	v_cndmask_b32_e64 v63, 0, v1, s1
	v_cmp_gt_u32_e64 s1, s2, v65
	v_dual_cndmask_b32 v66, 0, v8 :: v_dual_add_nc_u32 v71, 22, v115
	v_cndmask_b32_e32 v65, 0, v7, vcc_lo
	v_cmp_gt_u32_e32 vcc_lo, s2, v67
	s_delay_alu instid0(VALU_DEP_4)
	v_cndmask_b32_e64 v68, 0, v6, s1
	v_cndmask_b32_e64 v67, 0, v5, s1
	v_cmp_gt_u32_e64 s1, s2, v69
	v_dual_cndmask_b32 v70, 0, v56 :: v_dual_add_nc_u32 v73, 21, v115
	v_cndmask_b32_e32 v69, 0, v55, vcc_lo
	v_cmp_gt_u32_e32 vcc_lo, s2, v71
	v_add_nc_u32_e32 v75, 20, v115
	v_cndmask_b32_e64 v72, 0, v54, s1
	v_cndmask_b32_e64 v71, 0, v53, s1
	v_cmp_gt_u32_e64 s1, s2, v73
	v_dual_cndmask_b32 v74, 0, v52 :: v_dual_cndmask_b32 v73, 0, v51
	v_add_nc_u32_e32 v77, 19, v115
	v_cmp_gt_u32_e32 vcc_lo, s2, v75
	v_add_nc_u32_e32 v79, 18, v115
	v_cndmask_b32_e64 v76, 0, v50, s1
	v_cndmask_b32_e64 v75, 0, v49, s1
	v_cmp_gt_u32_e64 s1, s2, v77
	v_dual_cndmask_b32 v78, 0, v48 :: v_dual_cndmask_b32 v77, 0, v47
	v_add_nc_u32_e32 v81, 17, v115
	;; [unrolled: 7-line block ×9, first 2 shown]
	v_cmp_gt_u32_e32 vcc_lo, s2, v109
	s_delay_alu instid0(VALU_DEP_4)
	v_cndmask_b32_e64 v110, 0, v18, s1
	v_cndmask_b32_e64 v109, 0, v17, s1
	v_add_nc_u32_e32 v116, 2, v115
	v_cmp_gt_u32_e64 s1, s2, v111
	v_dual_cndmask_b32 v112, 0, v16 :: v_dual_cndmask_b32 v111, 0, v15
	v_cmp_gt_u32_e32 vcc_lo, s2, v115
	v_add_nc_u32_e32 v117, 1, v115
	s_delay_alu instid0(VALU_DEP_4)
	v_cndmask_b32_e64 v114, 0, v14, s1
	v_cndmask_b32_e64 v113, 0, v13, s1
	v_cmp_gt_u32_e64 s1, s2, v116
	s_waitcnt lgkmcnt(0)
	v_dual_cndmask_b32 v90, 0, v90 :: v_dual_cndmask_b32 v89, 0, v89
	v_cmp_gt_u32_e64 s2, s2, v117
	s_delay_alu instid0(VALU_DEP_3) | instskip(SKIP_1) | instid1(VALU_DEP_4)
	v_cndmask_b32_e64 v116, 0, v12, s1
	v_cndmask_b32_e64 v115, 0, v11, s1
	v_sub_co_u32 v89, vcc_lo, v9, v89
	s_delay_alu instid0(VALU_DEP_4)
	v_cndmask_b32_e64 v118, 0, v10, s2
	v_cndmask_b32_e64 v117, 0, v9, s2
	v_sub_co_ci_u32_e32 v90, vcc_lo, v10, v90, vcc_lo
.LBB873_73:
	s_cbranch_execnz .LBB873_84
.LBB873_74:
	v_cmp_eq_u64_e32 vcc_lo, 1, v[59:60]
	v_cmp_ne_u32_e64 s1, 0, v0
	s_cbranch_vccnz .LBB873_78
; %bb.75:
	v_dual_mov_b32 v59, 0 :: v_dual_mov_b32 v90, v10
	v_mov_b32_e32 v89, v9
	s_mov_b32 s2, 0
	ds_store_b64 v119, v[57:58]
	s_waitcnt lgkmcnt(0)
	s_barrier
	buffer_gl0_inv
	s_and_saveexec_b32 s3, s1
	s_cbranch_execz .LBB873_77
; %bb.76:
	v_add_nc_u32_e32 v59, -8, v119
	ds_load_b64 v[59:60], v59
	s_waitcnt lgkmcnt(0)
	v_sub_co_u32 v89, vcc_lo, v9, v59
	v_sub_co_ci_u32_e32 v90, vcc_lo, v10, v60, vcc_lo
	v_mov_b32_e32 v59, v0
.LBB873_77:
	s_or_b32 exec_lo, exec_lo, s3
	s_branch .LBB873_79
.LBB873_78:
	s_mov_b32 s2, -1
                                        ; implicit-def: $vgpr89_vgpr90
                                        ; implicit-def: $vgpr59
.LBB873_79:
	v_dual_mov_b32 v116, v12 :: v_dual_mov_b32 v115, v11
	v_dual_mov_b32 v114, v14 :: v_dual_mov_b32 v113, v13
	;; [unrolled: 1-line block ×27, first 2 shown]
	s_and_not1_b32 vcc_lo, exec_lo, s2
	s_cbranch_vccnz .LBB873_83
; %bb.80:
	v_mad_u32_u24 v59, v0, 29, 28
	v_mad_u32_u24 v60, v0, 29, 27
	;; [unrolled: 1-line block ×3, first 2 shown]
	v_mul_u32_u24_e32 v89, 29, v0
	ds_store_b64 v119, v[57:58]
	v_cmp_gt_u32_e32 vcc_lo, s8, v59
	v_mad_u32_u24 v59, v0, 29, 25
	v_cmp_gt_u32_e64 s1, s8, v60
	v_mad_u32_u24 v60, v0, 29, 24
	v_cmp_gt_u32_e64 s2, s8, v89
	v_dual_cndmask_b32 v62, 0, v4 :: v_dual_cndmask_b32 v61, 0, v3
	v_cmp_gt_u32_e32 vcc_lo, s8, v63
	v_cndmask_b32_e64 v64, 0, v2, s1
	v_cndmask_b32_e64 v63, 0, v1, s1
	v_cmp_gt_u32_e64 s1, s8, v59
	v_mad_u32_u24 v59, v0, 29, 23
	v_dual_cndmask_b32 v66, 0, v8 :: v_dual_cndmask_b32 v65, 0, v7
	v_cmp_gt_u32_e32 vcc_lo, s8, v60
	v_mad_u32_u24 v60, v0, 29, 22
	v_cndmask_b32_e64 v68, 0, v6, s1
	v_cndmask_b32_e64 v67, 0, v5, s1
	v_cmp_gt_u32_e64 s1, s8, v59
	v_mad_u32_u24 v59, v0, 29, 21
	v_dual_cndmask_b32 v70, 0, v56 :: v_dual_cndmask_b32 v69, 0, v55
	v_cmp_gt_u32_e32 vcc_lo, s8, v60
	v_mad_u32_u24 v60, v0, 29, 20
	;; [unrolled: 7-line block ×11, first 2 shown]
	v_cndmask_b32_e64 v110, 0, v18, s1
	v_cndmask_b32_e64 v109, 0, v17, s1
	v_cmp_gt_u32_e64 s1, s8, v59
	v_mad_u32_u24 v59, v0, 29, 1
	v_dual_cndmask_b32 v112, 0, v16 :: v_dual_cndmask_b32 v111, 0, v15
	v_cmp_gt_u32_e32 vcc_lo, s8, v60
	s_delay_alu instid0(VALU_DEP_4)
	v_cndmask_b32_e64 v114, 0, v14, s1
	v_cndmask_b32_e64 v113, 0, v13, s1
	v_cmp_gt_u32_e64 s1, s8, v59
	s_waitcnt lgkmcnt(0)
	v_dual_cndmask_b32 v116, 0, v12 :: v_dual_cndmask_b32 v115, 0, v11
	v_cmp_ne_u32_e32 vcc_lo, 0, v0
	s_delay_alu instid0(VALU_DEP_3) | instskip(SKIP_4) | instid1(SALU_CYCLE_1)
	v_cndmask_b32_e64 v60, 0, v10, s1
	v_cndmask_b32_e64 v59, 0, v9, s1
	s_barrier
	buffer_gl0_inv
	s_and_b32 s2, vcc_lo, s2
	s_and_saveexec_b32 s1, s2
	s_cbranch_execz .LBB873_82
; %bb.81:
	v_add_nc_u32_e32 v89, -8, v119
	ds_load_b64 v[89:90], v89
	s_waitcnt lgkmcnt(0)
	v_sub_co_u32 v9, vcc_lo, v9, v89
	v_sub_co_ci_u32_e32 v10, vcc_lo, v10, v90, vcc_lo
.LBB873_82:
	s_or_b32 exec_lo, exec_lo, s1
	s_delay_alu instid0(VALU_DEP_1)
	v_dual_mov_b32 v90, v10 :: v_dual_mov_b32 v89, v9
	v_dual_mov_b32 v9, v59 :: v_dual_mov_b32 v10, v60
	v_mov_b32_e32 v59, v0
.LBB873_83:
	s_delay_alu instid0(VALU_DEP_2) | instskip(NEXT) | instid1(VALU_DEP_2)
	v_mov_b32_e32 v118, v10
	v_dual_mov_b32 v0, v59 :: v_dual_mov_b32 v117, v9
.LBB873_84:
	s_delay_alu instid0(VALU_DEP_1) | instskip(NEXT) | instid1(VALU_DEP_3)
	v_sub_co_u32 v9, vcc_lo, v11, v117
	v_sub_co_ci_u32_e32 v10, vcc_lo, v12, v118, vcc_lo
	v_sub_co_u32 v11, vcc_lo, v13, v115
	v_sub_co_ci_u32_e32 v12, vcc_lo, v14, v116, vcc_lo
	;; [unrolled: 2-line block ×27, first 2 shown]
	v_mul_u32_u24_e32 v0, 0xe8, v0
	v_sub_co_u32 v55, vcc_lo, v57, v61
	v_sub_co_ci_u32_e32 v56, vcc_lo, v58, v62, vcc_lo
	s_and_b32 vcc_lo, exec_lo, s0
	s_mov_b32 s0, -1
	s_waitcnt lgkmcnt(0)
	s_barrier
	buffer_gl0_inv
	ds_store_2addr_b64 v0, v[89:90], v[9:10] offset1:1
	ds_store_2addr_b64 v0, v[11:12], v[13:14] offset0:2 offset1:3
	ds_store_2addr_b64 v0, v[15:16], v[17:18] offset0:4 offset1:5
	;; [unrolled: 1-line block ×13, first 2 shown]
	ds_store_b64 v0, v[55:56] offset:224
	s_waitcnt lgkmcnt(0)
	s_cbranch_vccnz .LBB873_87
; %bb.85:
	s_and_not1_b32 vcc_lo, exec_lo, s0
	s_cbranch_vccz .LBB873_88
.LBB873_86:
	buffer_gl0_inv
	s_endpgm
.LBB873_87:
	s_barrier
	s_cbranch_execnz .LBB873_86
.LBB873_88:
	s_barrier
	buffer_gl0_inv
	s_endpgm
	.section	.rodata,"a",@progbits
	.p2align	6, 0x0
	.amdhsa_kernel _ZN7rocprim17ROCPRIM_400000_NS6detail17trampoline_kernelINS0_14default_configENS1_35adjacent_difference_config_selectorILb1ExEEZNS1_24adjacent_difference_implIS3_Lb1ELb0EPxN6thrust23THRUST_200600_302600_NS16discard_iteratorINS9_11use_defaultEEENS9_5minusIxEEEE10hipError_tPvRmT2_T3_mT4_P12ihipStream_tbEUlT_E_NS1_11comp_targetILNS1_3genE9ELNS1_11target_archE1100ELNS1_3gpuE3ELNS1_3repE0EEENS1_30default_config_static_selectorELNS0_4arch9wavefront6targetE0EEEvT1_
		.amdhsa_group_segment_fixed_size 29696
		.amdhsa_private_segment_fixed_size 0
		.amdhsa_kernarg_size 64
		.amdhsa_user_sgpr_count 15
		.amdhsa_user_sgpr_dispatch_ptr 0
		.amdhsa_user_sgpr_queue_ptr 0
		.amdhsa_user_sgpr_kernarg_segment_ptr 1
		.amdhsa_user_sgpr_dispatch_id 0
		.amdhsa_user_sgpr_private_segment_size 0
		.amdhsa_wavefront_size32 1
		.amdhsa_uses_dynamic_stack 0
		.amdhsa_enable_private_segment 0
		.amdhsa_system_sgpr_workgroup_id_x 1
		.amdhsa_system_sgpr_workgroup_id_y 0
		.amdhsa_system_sgpr_workgroup_id_z 0
		.amdhsa_system_sgpr_workgroup_info 0
		.amdhsa_system_vgpr_workitem_id 0
		.amdhsa_next_free_vgpr 120
		.amdhsa_next_free_sgpr 18
		.amdhsa_reserve_vcc 1
		.amdhsa_float_round_mode_32 0
		.amdhsa_float_round_mode_16_64 0
		.amdhsa_float_denorm_mode_32 3
		.amdhsa_float_denorm_mode_16_64 3
		.amdhsa_dx10_clamp 1
		.amdhsa_ieee_mode 1
		.amdhsa_fp16_overflow 0
		.amdhsa_workgroup_processor_mode 1
		.amdhsa_memory_ordered 1
		.amdhsa_forward_progress 0
		.amdhsa_shared_vgpr_count 0
		.amdhsa_exception_fp_ieee_invalid_op 0
		.amdhsa_exception_fp_denorm_src 0
		.amdhsa_exception_fp_ieee_div_zero 0
		.amdhsa_exception_fp_ieee_overflow 0
		.amdhsa_exception_fp_ieee_underflow 0
		.amdhsa_exception_fp_ieee_inexact 0
		.amdhsa_exception_int_div_zero 0
	.end_amdhsa_kernel
	.section	.text._ZN7rocprim17ROCPRIM_400000_NS6detail17trampoline_kernelINS0_14default_configENS1_35adjacent_difference_config_selectorILb1ExEEZNS1_24adjacent_difference_implIS3_Lb1ELb0EPxN6thrust23THRUST_200600_302600_NS16discard_iteratorINS9_11use_defaultEEENS9_5minusIxEEEE10hipError_tPvRmT2_T3_mT4_P12ihipStream_tbEUlT_E_NS1_11comp_targetILNS1_3genE9ELNS1_11target_archE1100ELNS1_3gpuE3ELNS1_3repE0EEENS1_30default_config_static_selectorELNS0_4arch9wavefront6targetE0EEEvT1_,"axG",@progbits,_ZN7rocprim17ROCPRIM_400000_NS6detail17trampoline_kernelINS0_14default_configENS1_35adjacent_difference_config_selectorILb1ExEEZNS1_24adjacent_difference_implIS3_Lb1ELb0EPxN6thrust23THRUST_200600_302600_NS16discard_iteratorINS9_11use_defaultEEENS9_5minusIxEEEE10hipError_tPvRmT2_T3_mT4_P12ihipStream_tbEUlT_E_NS1_11comp_targetILNS1_3genE9ELNS1_11target_archE1100ELNS1_3gpuE3ELNS1_3repE0EEENS1_30default_config_static_selectorELNS0_4arch9wavefront6targetE0EEEvT1_,comdat
.Lfunc_end873:
	.size	_ZN7rocprim17ROCPRIM_400000_NS6detail17trampoline_kernelINS0_14default_configENS1_35adjacent_difference_config_selectorILb1ExEEZNS1_24adjacent_difference_implIS3_Lb1ELb0EPxN6thrust23THRUST_200600_302600_NS16discard_iteratorINS9_11use_defaultEEENS9_5minusIxEEEE10hipError_tPvRmT2_T3_mT4_P12ihipStream_tbEUlT_E_NS1_11comp_targetILNS1_3genE9ELNS1_11target_archE1100ELNS1_3gpuE3ELNS1_3repE0EEENS1_30default_config_static_selectorELNS0_4arch9wavefront6targetE0EEEvT1_, .Lfunc_end873-_ZN7rocprim17ROCPRIM_400000_NS6detail17trampoline_kernelINS0_14default_configENS1_35adjacent_difference_config_selectorILb1ExEEZNS1_24adjacent_difference_implIS3_Lb1ELb0EPxN6thrust23THRUST_200600_302600_NS16discard_iteratorINS9_11use_defaultEEENS9_5minusIxEEEE10hipError_tPvRmT2_T3_mT4_P12ihipStream_tbEUlT_E_NS1_11comp_targetILNS1_3genE9ELNS1_11target_archE1100ELNS1_3gpuE3ELNS1_3repE0EEENS1_30default_config_static_selectorELNS0_4arch9wavefront6targetE0EEEvT1_
                                        ; -- End function
	.section	.AMDGPU.csdata,"",@progbits
; Kernel info:
; codeLenInByte = 5656
; NumSgprs: 20
; NumVgprs: 120
; ScratchSize: 0
; MemoryBound: 0
; FloatMode: 240
; IeeeMode: 1
; LDSByteSize: 29696 bytes/workgroup (compile time only)
; SGPRBlocks: 2
; VGPRBlocks: 14
; NumSGPRsForWavesPerEU: 20
; NumVGPRsForWavesPerEU: 120
; Occupancy: 4
; WaveLimiterHint : 1
; COMPUTE_PGM_RSRC2:SCRATCH_EN: 0
; COMPUTE_PGM_RSRC2:USER_SGPR: 15
; COMPUTE_PGM_RSRC2:TRAP_HANDLER: 0
; COMPUTE_PGM_RSRC2:TGID_X_EN: 1
; COMPUTE_PGM_RSRC2:TGID_Y_EN: 0
; COMPUTE_PGM_RSRC2:TGID_Z_EN: 0
; COMPUTE_PGM_RSRC2:TIDIG_COMP_CNT: 0
	.section	.text._ZN7rocprim17ROCPRIM_400000_NS6detail17trampoline_kernelINS0_14default_configENS1_35adjacent_difference_config_selectorILb1ExEEZNS1_24adjacent_difference_implIS3_Lb1ELb0EPxN6thrust23THRUST_200600_302600_NS16discard_iteratorINS9_11use_defaultEEENS9_5minusIxEEEE10hipError_tPvRmT2_T3_mT4_P12ihipStream_tbEUlT_E_NS1_11comp_targetILNS1_3genE8ELNS1_11target_archE1030ELNS1_3gpuE2ELNS1_3repE0EEENS1_30default_config_static_selectorELNS0_4arch9wavefront6targetE0EEEvT1_,"axG",@progbits,_ZN7rocprim17ROCPRIM_400000_NS6detail17trampoline_kernelINS0_14default_configENS1_35adjacent_difference_config_selectorILb1ExEEZNS1_24adjacent_difference_implIS3_Lb1ELb0EPxN6thrust23THRUST_200600_302600_NS16discard_iteratorINS9_11use_defaultEEENS9_5minusIxEEEE10hipError_tPvRmT2_T3_mT4_P12ihipStream_tbEUlT_E_NS1_11comp_targetILNS1_3genE8ELNS1_11target_archE1030ELNS1_3gpuE2ELNS1_3repE0EEENS1_30default_config_static_selectorELNS0_4arch9wavefront6targetE0EEEvT1_,comdat
	.protected	_ZN7rocprim17ROCPRIM_400000_NS6detail17trampoline_kernelINS0_14default_configENS1_35adjacent_difference_config_selectorILb1ExEEZNS1_24adjacent_difference_implIS3_Lb1ELb0EPxN6thrust23THRUST_200600_302600_NS16discard_iteratorINS9_11use_defaultEEENS9_5minusIxEEEE10hipError_tPvRmT2_T3_mT4_P12ihipStream_tbEUlT_E_NS1_11comp_targetILNS1_3genE8ELNS1_11target_archE1030ELNS1_3gpuE2ELNS1_3repE0EEENS1_30default_config_static_selectorELNS0_4arch9wavefront6targetE0EEEvT1_ ; -- Begin function _ZN7rocprim17ROCPRIM_400000_NS6detail17trampoline_kernelINS0_14default_configENS1_35adjacent_difference_config_selectorILb1ExEEZNS1_24adjacent_difference_implIS3_Lb1ELb0EPxN6thrust23THRUST_200600_302600_NS16discard_iteratorINS9_11use_defaultEEENS9_5minusIxEEEE10hipError_tPvRmT2_T3_mT4_P12ihipStream_tbEUlT_E_NS1_11comp_targetILNS1_3genE8ELNS1_11target_archE1030ELNS1_3gpuE2ELNS1_3repE0EEENS1_30default_config_static_selectorELNS0_4arch9wavefront6targetE0EEEvT1_
	.globl	_ZN7rocprim17ROCPRIM_400000_NS6detail17trampoline_kernelINS0_14default_configENS1_35adjacent_difference_config_selectorILb1ExEEZNS1_24adjacent_difference_implIS3_Lb1ELb0EPxN6thrust23THRUST_200600_302600_NS16discard_iteratorINS9_11use_defaultEEENS9_5minusIxEEEE10hipError_tPvRmT2_T3_mT4_P12ihipStream_tbEUlT_E_NS1_11comp_targetILNS1_3genE8ELNS1_11target_archE1030ELNS1_3gpuE2ELNS1_3repE0EEENS1_30default_config_static_selectorELNS0_4arch9wavefront6targetE0EEEvT1_
	.p2align	8
	.type	_ZN7rocprim17ROCPRIM_400000_NS6detail17trampoline_kernelINS0_14default_configENS1_35adjacent_difference_config_selectorILb1ExEEZNS1_24adjacent_difference_implIS3_Lb1ELb0EPxN6thrust23THRUST_200600_302600_NS16discard_iteratorINS9_11use_defaultEEENS9_5minusIxEEEE10hipError_tPvRmT2_T3_mT4_P12ihipStream_tbEUlT_E_NS1_11comp_targetILNS1_3genE8ELNS1_11target_archE1030ELNS1_3gpuE2ELNS1_3repE0EEENS1_30default_config_static_selectorELNS0_4arch9wavefront6targetE0EEEvT1_,@function
_ZN7rocprim17ROCPRIM_400000_NS6detail17trampoline_kernelINS0_14default_configENS1_35adjacent_difference_config_selectorILb1ExEEZNS1_24adjacent_difference_implIS3_Lb1ELb0EPxN6thrust23THRUST_200600_302600_NS16discard_iteratorINS9_11use_defaultEEENS9_5minusIxEEEE10hipError_tPvRmT2_T3_mT4_P12ihipStream_tbEUlT_E_NS1_11comp_targetILNS1_3genE8ELNS1_11target_archE1030ELNS1_3gpuE2ELNS1_3repE0EEENS1_30default_config_static_selectorELNS0_4arch9wavefront6targetE0EEEvT1_: ; @_ZN7rocprim17ROCPRIM_400000_NS6detail17trampoline_kernelINS0_14default_configENS1_35adjacent_difference_config_selectorILb1ExEEZNS1_24adjacent_difference_implIS3_Lb1ELb0EPxN6thrust23THRUST_200600_302600_NS16discard_iteratorINS9_11use_defaultEEENS9_5minusIxEEEE10hipError_tPvRmT2_T3_mT4_P12ihipStream_tbEUlT_E_NS1_11comp_targetILNS1_3genE8ELNS1_11target_archE1030ELNS1_3gpuE2ELNS1_3repE0EEENS1_30default_config_static_selectorELNS0_4arch9wavefront6targetE0EEEvT1_
; %bb.0:
	.section	.rodata,"a",@progbits
	.p2align	6, 0x0
	.amdhsa_kernel _ZN7rocprim17ROCPRIM_400000_NS6detail17trampoline_kernelINS0_14default_configENS1_35adjacent_difference_config_selectorILb1ExEEZNS1_24adjacent_difference_implIS3_Lb1ELb0EPxN6thrust23THRUST_200600_302600_NS16discard_iteratorINS9_11use_defaultEEENS9_5minusIxEEEE10hipError_tPvRmT2_T3_mT4_P12ihipStream_tbEUlT_E_NS1_11comp_targetILNS1_3genE8ELNS1_11target_archE1030ELNS1_3gpuE2ELNS1_3repE0EEENS1_30default_config_static_selectorELNS0_4arch9wavefront6targetE0EEEvT1_
		.amdhsa_group_segment_fixed_size 0
		.amdhsa_private_segment_fixed_size 0
		.amdhsa_kernarg_size 64
		.amdhsa_user_sgpr_count 15
		.amdhsa_user_sgpr_dispatch_ptr 0
		.amdhsa_user_sgpr_queue_ptr 0
		.amdhsa_user_sgpr_kernarg_segment_ptr 1
		.amdhsa_user_sgpr_dispatch_id 0
		.amdhsa_user_sgpr_private_segment_size 0
		.amdhsa_wavefront_size32 1
		.amdhsa_uses_dynamic_stack 0
		.amdhsa_enable_private_segment 0
		.amdhsa_system_sgpr_workgroup_id_x 1
		.amdhsa_system_sgpr_workgroup_id_y 0
		.amdhsa_system_sgpr_workgroup_id_z 0
		.amdhsa_system_sgpr_workgroup_info 0
		.amdhsa_system_vgpr_workitem_id 0
		.amdhsa_next_free_vgpr 1
		.amdhsa_next_free_sgpr 1
		.amdhsa_reserve_vcc 0
		.amdhsa_float_round_mode_32 0
		.amdhsa_float_round_mode_16_64 0
		.amdhsa_float_denorm_mode_32 3
		.amdhsa_float_denorm_mode_16_64 3
		.amdhsa_dx10_clamp 1
		.amdhsa_ieee_mode 1
		.amdhsa_fp16_overflow 0
		.amdhsa_workgroup_processor_mode 1
		.amdhsa_memory_ordered 1
		.amdhsa_forward_progress 0
		.amdhsa_shared_vgpr_count 0
		.amdhsa_exception_fp_ieee_invalid_op 0
		.amdhsa_exception_fp_denorm_src 0
		.amdhsa_exception_fp_ieee_div_zero 0
		.amdhsa_exception_fp_ieee_overflow 0
		.amdhsa_exception_fp_ieee_underflow 0
		.amdhsa_exception_fp_ieee_inexact 0
		.amdhsa_exception_int_div_zero 0
	.end_amdhsa_kernel
	.section	.text._ZN7rocprim17ROCPRIM_400000_NS6detail17trampoline_kernelINS0_14default_configENS1_35adjacent_difference_config_selectorILb1ExEEZNS1_24adjacent_difference_implIS3_Lb1ELb0EPxN6thrust23THRUST_200600_302600_NS16discard_iteratorINS9_11use_defaultEEENS9_5minusIxEEEE10hipError_tPvRmT2_T3_mT4_P12ihipStream_tbEUlT_E_NS1_11comp_targetILNS1_3genE8ELNS1_11target_archE1030ELNS1_3gpuE2ELNS1_3repE0EEENS1_30default_config_static_selectorELNS0_4arch9wavefront6targetE0EEEvT1_,"axG",@progbits,_ZN7rocprim17ROCPRIM_400000_NS6detail17trampoline_kernelINS0_14default_configENS1_35adjacent_difference_config_selectorILb1ExEEZNS1_24adjacent_difference_implIS3_Lb1ELb0EPxN6thrust23THRUST_200600_302600_NS16discard_iteratorINS9_11use_defaultEEENS9_5minusIxEEEE10hipError_tPvRmT2_T3_mT4_P12ihipStream_tbEUlT_E_NS1_11comp_targetILNS1_3genE8ELNS1_11target_archE1030ELNS1_3gpuE2ELNS1_3repE0EEENS1_30default_config_static_selectorELNS0_4arch9wavefront6targetE0EEEvT1_,comdat
.Lfunc_end874:
	.size	_ZN7rocprim17ROCPRIM_400000_NS6detail17trampoline_kernelINS0_14default_configENS1_35adjacent_difference_config_selectorILb1ExEEZNS1_24adjacent_difference_implIS3_Lb1ELb0EPxN6thrust23THRUST_200600_302600_NS16discard_iteratorINS9_11use_defaultEEENS9_5minusIxEEEE10hipError_tPvRmT2_T3_mT4_P12ihipStream_tbEUlT_E_NS1_11comp_targetILNS1_3genE8ELNS1_11target_archE1030ELNS1_3gpuE2ELNS1_3repE0EEENS1_30default_config_static_selectorELNS0_4arch9wavefront6targetE0EEEvT1_, .Lfunc_end874-_ZN7rocprim17ROCPRIM_400000_NS6detail17trampoline_kernelINS0_14default_configENS1_35adjacent_difference_config_selectorILb1ExEEZNS1_24adjacent_difference_implIS3_Lb1ELb0EPxN6thrust23THRUST_200600_302600_NS16discard_iteratorINS9_11use_defaultEEENS9_5minusIxEEEE10hipError_tPvRmT2_T3_mT4_P12ihipStream_tbEUlT_E_NS1_11comp_targetILNS1_3genE8ELNS1_11target_archE1030ELNS1_3gpuE2ELNS1_3repE0EEENS1_30default_config_static_selectorELNS0_4arch9wavefront6targetE0EEEvT1_
                                        ; -- End function
	.section	.AMDGPU.csdata,"",@progbits
; Kernel info:
; codeLenInByte = 0
; NumSgprs: 0
; NumVgprs: 0
; ScratchSize: 0
; MemoryBound: 0
; FloatMode: 240
; IeeeMode: 1
; LDSByteSize: 0 bytes/workgroup (compile time only)
; SGPRBlocks: 0
; VGPRBlocks: 0
; NumSGPRsForWavesPerEU: 1
; NumVGPRsForWavesPerEU: 1
; Occupancy: 16
; WaveLimiterHint : 0
; COMPUTE_PGM_RSRC2:SCRATCH_EN: 0
; COMPUTE_PGM_RSRC2:USER_SGPR: 15
; COMPUTE_PGM_RSRC2:TRAP_HANDLER: 0
; COMPUTE_PGM_RSRC2:TGID_X_EN: 1
; COMPUTE_PGM_RSRC2:TGID_Y_EN: 0
; COMPUTE_PGM_RSRC2:TGID_Z_EN: 0
; COMPUTE_PGM_RSRC2:TIDIG_COMP_CNT: 0
	.section	.text._ZN7rocprim17ROCPRIM_400000_NS6detail17trampoline_kernelINS0_14default_configENS1_25transform_config_selectorIiLb0EEEZNS1_14transform_implILb0ES3_S5_NS0_18transform_iteratorINS0_17counting_iteratorImlEEZNS1_24adjacent_difference_implIS3_Lb1ELb0EPiN6thrust23THRUST_200600_302600_NS16discard_iteratorINSD_11use_defaultEEENSD_5minusIiEEEE10hipError_tPvRmT2_T3_mT4_P12ihipStream_tbEUlmE_iEESB_NS0_8identityIvEEEESJ_SM_SN_mSO_SQ_bEUlT_E_NS1_11comp_targetILNS1_3genE0ELNS1_11target_archE4294967295ELNS1_3gpuE0ELNS1_3repE0EEENS1_30default_config_static_selectorELNS0_4arch9wavefront6targetE0EEEvT1_,"axG",@progbits,_ZN7rocprim17ROCPRIM_400000_NS6detail17trampoline_kernelINS0_14default_configENS1_25transform_config_selectorIiLb0EEEZNS1_14transform_implILb0ES3_S5_NS0_18transform_iteratorINS0_17counting_iteratorImlEEZNS1_24adjacent_difference_implIS3_Lb1ELb0EPiN6thrust23THRUST_200600_302600_NS16discard_iteratorINSD_11use_defaultEEENSD_5minusIiEEEE10hipError_tPvRmT2_T3_mT4_P12ihipStream_tbEUlmE_iEESB_NS0_8identityIvEEEESJ_SM_SN_mSO_SQ_bEUlT_E_NS1_11comp_targetILNS1_3genE0ELNS1_11target_archE4294967295ELNS1_3gpuE0ELNS1_3repE0EEENS1_30default_config_static_selectorELNS0_4arch9wavefront6targetE0EEEvT1_,comdat
	.protected	_ZN7rocprim17ROCPRIM_400000_NS6detail17trampoline_kernelINS0_14default_configENS1_25transform_config_selectorIiLb0EEEZNS1_14transform_implILb0ES3_S5_NS0_18transform_iteratorINS0_17counting_iteratorImlEEZNS1_24adjacent_difference_implIS3_Lb1ELb0EPiN6thrust23THRUST_200600_302600_NS16discard_iteratorINSD_11use_defaultEEENSD_5minusIiEEEE10hipError_tPvRmT2_T3_mT4_P12ihipStream_tbEUlmE_iEESB_NS0_8identityIvEEEESJ_SM_SN_mSO_SQ_bEUlT_E_NS1_11comp_targetILNS1_3genE0ELNS1_11target_archE4294967295ELNS1_3gpuE0ELNS1_3repE0EEENS1_30default_config_static_selectorELNS0_4arch9wavefront6targetE0EEEvT1_ ; -- Begin function _ZN7rocprim17ROCPRIM_400000_NS6detail17trampoline_kernelINS0_14default_configENS1_25transform_config_selectorIiLb0EEEZNS1_14transform_implILb0ES3_S5_NS0_18transform_iteratorINS0_17counting_iteratorImlEEZNS1_24adjacent_difference_implIS3_Lb1ELb0EPiN6thrust23THRUST_200600_302600_NS16discard_iteratorINSD_11use_defaultEEENSD_5minusIiEEEE10hipError_tPvRmT2_T3_mT4_P12ihipStream_tbEUlmE_iEESB_NS0_8identityIvEEEESJ_SM_SN_mSO_SQ_bEUlT_E_NS1_11comp_targetILNS1_3genE0ELNS1_11target_archE4294967295ELNS1_3gpuE0ELNS1_3repE0EEENS1_30default_config_static_selectorELNS0_4arch9wavefront6targetE0EEEvT1_
	.globl	_ZN7rocprim17ROCPRIM_400000_NS6detail17trampoline_kernelINS0_14default_configENS1_25transform_config_selectorIiLb0EEEZNS1_14transform_implILb0ES3_S5_NS0_18transform_iteratorINS0_17counting_iteratorImlEEZNS1_24adjacent_difference_implIS3_Lb1ELb0EPiN6thrust23THRUST_200600_302600_NS16discard_iteratorINSD_11use_defaultEEENSD_5minusIiEEEE10hipError_tPvRmT2_T3_mT4_P12ihipStream_tbEUlmE_iEESB_NS0_8identityIvEEEESJ_SM_SN_mSO_SQ_bEUlT_E_NS1_11comp_targetILNS1_3genE0ELNS1_11target_archE4294967295ELNS1_3gpuE0ELNS1_3repE0EEENS1_30default_config_static_selectorELNS0_4arch9wavefront6targetE0EEEvT1_
	.p2align	8
	.type	_ZN7rocprim17ROCPRIM_400000_NS6detail17trampoline_kernelINS0_14default_configENS1_25transform_config_selectorIiLb0EEEZNS1_14transform_implILb0ES3_S5_NS0_18transform_iteratorINS0_17counting_iteratorImlEEZNS1_24adjacent_difference_implIS3_Lb1ELb0EPiN6thrust23THRUST_200600_302600_NS16discard_iteratorINSD_11use_defaultEEENSD_5minusIiEEEE10hipError_tPvRmT2_T3_mT4_P12ihipStream_tbEUlmE_iEESB_NS0_8identityIvEEEESJ_SM_SN_mSO_SQ_bEUlT_E_NS1_11comp_targetILNS1_3genE0ELNS1_11target_archE4294967295ELNS1_3gpuE0ELNS1_3repE0EEENS1_30default_config_static_selectorELNS0_4arch9wavefront6targetE0EEEvT1_,@function
_ZN7rocprim17ROCPRIM_400000_NS6detail17trampoline_kernelINS0_14default_configENS1_25transform_config_selectorIiLb0EEEZNS1_14transform_implILb0ES3_S5_NS0_18transform_iteratorINS0_17counting_iteratorImlEEZNS1_24adjacent_difference_implIS3_Lb1ELb0EPiN6thrust23THRUST_200600_302600_NS16discard_iteratorINSD_11use_defaultEEENSD_5minusIiEEEE10hipError_tPvRmT2_T3_mT4_P12ihipStream_tbEUlmE_iEESB_NS0_8identityIvEEEESJ_SM_SN_mSO_SQ_bEUlT_E_NS1_11comp_targetILNS1_3genE0ELNS1_11target_archE4294967295ELNS1_3gpuE0ELNS1_3repE0EEENS1_30default_config_static_selectorELNS0_4arch9wavefront6targetE0EEEvT1_: ; @_ZN7rocprim17ROCPRIM_400000_NS6detail17trampoline_kernelINS0_14default_configENS1_25transform_config_selectorIiLb0EEEZNS1_14transform_implILb0ES3_S5_NS0_18transform_iteratorINS0_17counting_iteratorImlEEZNS1_24adjacent_difference_implIS3_Lb1ELb0EPiN6thrust23THRUST_200600_302600_NS16discard_iteratorINSD_11use_defaultEEENSD_5minusIiEEEE10hipError_tPvRmT2_T3_mT4_P12ihipStream_tbEUlmE_iEESB_NS0_8identityIvEEEESJ_SM_SN_mSO_SQ_bEUlT_E_NS1_11comp_targetILNS1_3genE0ELNS1_11target_archE4294967295ELNS1_3gpuE0ELNS1_3repE0EEENS1_30default_config_static_selectorELNS0_4arch9wavefront6targetE0EEEvT1_
; %bb.0:
	.section	.rodata,"a",@progbits
	.p2align	6, 0x0
	.amdhsa_kernel _ZN7rocprim17ROCPRIM_400000_NS6detail17trampoline_kernelINS0_14default_configENS1_25transform_config_selectorIiLb0EEEZNS1_14transform_implILb0ES3_S5_NS0_18transform_iteratorINS0_17counting_iteratorImlEEZNS1_24adjacent_difference_implIS3_Lb1ELb0EPiN6thrust23THRUST_200600_302600_NS16discard_iteratorINSD_11use_defaultEEENSD_5minusIiEEEE10hipError_tPvRmT2_T3_mT4_P12ihipStream_tbEUlmE_iEESB_NS0_8identityIvEEEESJ_SM_SN_mSO_SQ_bEUlT_E_NS1_11comp_targetILNS1_3genE0ELNS1_11target_archE4294967295ELNS1_3gpuE0ELNS1_3repE0EEENS1_30default_config_static_selectorELNS0_4arch9wavefront6targetE0EEEvT1_
		.amdhsa_group_segment_fixed_size 0
		.amdhsa_private_segment_fixed_size 0
		.amdhsa_kernarg_size 56
		.amdhsa_user_sgpr_count 15
		.amdhsa_user_sgpr_dispatch_ptr 0
		.amdhsa_user_sgpr_queue_ptr 0
		.amdhsa_user_sgpr_kernarg_segment_ptr 1
		.amdhsa_user_sgpr_dispatch_id 0
		.amdhsa_user_sgpr_private_segment_size 0
		.amdhsa_wavefront_size32 1
		.amdhsa_uses_dynamic_stack 0
		.amdhsa_enable_private_segment 0
		.amdhsa_system_sgpr_workgroup_id_x 1
		.amdhsa_system_sgpr_workgroup_id_y 0
		.amdhsa_system_sgpr_workgroup_id_z 0
		.amdhsa_system_sgpr_workgroup_info 0
		.amdhsa_system_vgpr_workitem_id 0
		.amdhsa_next_free_vgpr 1
		.amdhsa_next_free_sgpr 1
		.amdhsa_reserve_vcc 0
		.amdhsa_float_round_mode_32 0
		.amdhsa_float_round_mode_16_64 0
		.amdhsa_float_denorm_mode_32 3
		.amdhsa_float_denorm_mode_16_64 3
		.amdhsa_dx10_clamp 1
		.amdhsa_ieee_mode 1
		.amdhsa_fp16_overflow 0
		.amdhsa_workgroup_processor_mode 1
		.amdhsa_memory_ordered 1
		.amdhsa_forward_progress 0
		.amdhsa_shared_vgpr_count 0
		.amdhsa_exception_fp_ieee_invalid_op 0
		.amdhsa_exception_fp_denorm_src 0
		.amdhsa_exception_fp_ieee_div_zero 0
		.amdhsa_exception_fp_ieee_overflow 0
		.amdhsa_exception_fp_ieee_underflow 0
		.amdhsa_exception_fp_ieee_inexact 0
		.amdhsa_exception_int_div_zero 0
	.end_amdhsa_kernel
	.section	.text._ZN7rocprim17ROCPRIM_400000_NS6detail17trampoline_kernelINS0_14default_configENS1_25transform_config_selectorIiLb0EEEZNS1_14transform_implILb0ES3_S5_NS0_18transform_iteratorINS0_17counting_iteratorImlEEZNS1_24adjacent_difference_implIS3_Lb1ELb0EPiN6thrust23THRUST_200600_302600_NS16discard_iteratorINSD_11use_defaultEEENSD_5minusIiEEEE10hipError_tPvRmT2_T3_mT4_P12ihipStream_tbEUlmE_iEESB_NS0_8identityIvEEEESJ_SM_SN_mSO_SQ_bEUlT_E_NS1_11comp_targetILNS1_3genE0ELNS1_11target_archE4294967295ELNS1_3gpuE0ELNS1_3repE0EEENS1_30default_config_static_selectorELNS0_4arch9wavefront6targetE0EEEvT1_,"axG",@progbits,_ZN7rocprim17ROCPRIM_400000_NS6detail17trampoline_kernelINS0_14default_configENS1_25transform_config_selectorIiLb0EEEZNS1_14transform_implILb0ES3_S5_NS0_18transform_iteratorINS0_17counting_iteratorImlEEZNS1_24adjacent_difference_implIS3_Lb1ELb0EPiN6thrust23THRUST_200600_302600_NS16discard_iteratorINSD_11use_defaultEEENSD_5minusIiEEEE10hipError_tPvRmT2_T3_mT4_P12ihipStream_tbEUlmE_iEESB_NS0_8identityIvEEEESJ_SM_SN_mSO_SQ_bEUlT_E_NS1_11comp_targetILNS1_3genE0ELNS1_11target_archE4294967295ELNS1_3gpuE0ELNS1_3repE0EEENS1_30default_config_static_selectorELNS0_4arch9wavefront6targetE0EEEvT1_,comdat
.Lfunc_end875:
	.size	_ZN7rocprim17ROCPRIM_400000_NS6detail17trampoline_kernelINS0_14default_configENS1_25transform_config_selectorIiLb0EEEZNS1_14transform_implILb0ES3_S5_NS0_18transform_iteratorINS0_17counting_iteratorImlEEZNS1_24adjacent_difference_implIS3_Lb1ELb0EPiN6thrust23THRUST_200600_302600_NS16discard_iteratorINSD_11use_defaultEEENSD_5minusIiEEEE10hipError_tPvRmT2_T3_mT4_P12ihipStream_tbEUlmE_iEESB_NS0_8identityIvEEEESJ_SM_SN_mSO_SQ_bEUlT_E_NS1_11comp_targetILNS1_3genE0ELNS1_11target_archE4294967295ELNS1_3gpuE0ELNS1_3repE0EEENS1_30default_config_static_selectorELNS0_4arch9wavefront6targetE0EEEvT1_, .Lfunc_end875-_ZN7rocprim17ROCPRIM_400000_NS6detail17trampoline_kernelINS0_14default_configENS1_25transform_config_selectorIiLb0EEEZNS1_14transform_implILb0ES3_S5_NS0_18transform_iteratorINS0_17counting_iteratorImlEEZNS1_24adjacent_difference_implIS3_Lb1ELb0EPiN6thrust23THRUST_200600_302600_NS16discard_iteratorINSD_11use_defaultEEENSD_5minusIiEEEE10hipError_tPvRmT2_T3_mT4_P12ihipStream_tbEUlmE_iEESB_NS0_8identityIvEEEESJ_SM_SN_mSO_SQ_bEUlT_E_NS1_11comp_targetILNS1_3genE0ELNS1_11target_archE4294967295ELNS1_3gpuE0ELNS1_3repE0EEENS1_30default_config_static_selectorELNS0_4arch9wavefront6targetE0EEEvT1_
                                        ; -- End function
	.section	.AMDGPU.csdata,"",@progbits
; Kernel info:
; codeLenInByte = 0
; NumSgprs: 0
; NumVgprs: 0
; ScratchSize: 0
; MemoryBound: 0
; FloatMode: 240
; IeeeMode: 1
; LDSByteSize: 0 bytes/workgroup (compile time only)
; SGPRBlocks: 0
; VGPRBlocks: 0
; NumSGPRsForWavesPerEU: 1
; NumVGPRsForWavesPerEU: 1
; Occupancy: 16
; WaveLimiterHint : 0
; COMPUTE_PGM_RSRC2:SCRATCH_EN: 0
; COMPUTE_PGM_RSRC2:USER_SGPR: 15
; COMPUTE_PGM_RSRC2:TRAP_HANDLER: 0
; COMPUTE_PGM_RSRC2:TGID_X_EN: 1
; COMPUTE_PGM_RSRC2:TGID_Y_EN: 0
; COMPUTE_PGM_RSRC2:TGID_Z_EN: 0
; COMPUTE_PGM_RSRC2:TIDIG_COMP_CNT: 0
	.section	.text._ZN7rocprim17ROCPRIM_400000_NS6detail17trampoline_kernelINS0_14default_configENS1_25transform_config_selectorIiLb0EEEZNS1_14transform_implILb0ES3_S5_NS0_18transform_iteratorINS0_17counting_iteratorImlEEZNS1_24adjacent_difference_implIS3_Lb1ELb0EPiN6thrust23THRUST_200600_302600_NS16discard_iteratorINSD_11use_defaultEEENSD_5minusIiEEEE10hipError_tPvRmT2_T3_mT4_P12ihipStream_tbEUlmE_iEESB_NS0_8identityIvEEEESJ_SM_SN_mSO_SQ_bEUlT_E_NS1_11comp_targetILNS1_3genE5ELNS1_11target_archE942ELNS1_3gpuE9ELNS1_3repE0EEENS1_30default_config_static_selectorELNS0_4arch9wavefront6targetE0EEEvT1_,"axG",@progbits,_ZN7rocprim17ROCPRIM_400000_NS6detail17trampoline_kernelINS0_14default_configENS1_25transform_config_selectorIiLb0EEEZNS1_14transform_implILb0ES3_S5_NS0_18transform_iteratorINS0_17counting_iteratorImlEEZNS1_24adjacent_difference_implIS3_Lb1ELb0EPiN6thrust23THRUST_200600_302600_NS16discard_iteratorINSD_11use_defaultEEENSD_5minusIiEEEE10hipError_tPvRmT2_T3_mT4_P12ihipStream_tbEUlmE_iEESB_NS0_8identityIvEEEESJ_SM_SN_mSO_SQ_bEUlT_E_NS1_11comp_targetILNS1_3genE5ELNS1_11target_archE942ELNS1_3gpuE9ELNS1_3repE0EEENS1_30default_config_static_selectorELNS0_4arch9wavefront6targetE0EEEvT1_,comdat
	.protected	_ZN7rocprim17ROCPRIM_400000_NS6detail17trampoline_kernelINS0_14default_configENS1_25transform_config_selectorIiLb0EEEZNS1_14transform_implILb0ES3_S5_NS0_18transform_iteratorINS0_17counting_iteratorImlEEZNS1_24adjacent_difference_implIS3_Lb1ELb0EPiN6thrust23THRUST_200600_302600_NS16discard_iteratorINSD_11use_defaultEEENSD_5minusIiEEEE10hipError_tPvRmT2_T3_mT4_P12ihipStream_tbEUlmE_iEESB_NS0_8identityIvEEEESJ_SM_SN_mSO_SQ_bEUlT_E_NS1_11comp_targetILNS1_3genE5ELNS1_11target_archE942ELNS1_3gpuE9ELNS1_3repE0EEENS1_30default_config_static_selectorELNS0_4arch9wavefront6targetE0EEEvT1_ ; -- Begin function _ZN7rocprim17ROCPRIM_400000_NS6detail17trampoline_kernelINS0_14default_configENS1_25transform_config_selectorIiLb0EEEZNS1_14transform_implILb0ES3_S5_NS0_18transform_iteratorINS0_17counting_iteratorImlEEZNS1_24adjacent_difference_implIS3_Lb1ELb0EPiN6thrust23THRUST_200600_302600_NS16discard_iteratorINSD_11use_defaultEEENSD_5minusIiEEEE10hipError_tPvRmT2_T3_mT4_P12ihipStream_tbEUlmE_iEESB_NS0_8identityIvEEEESJ_SM_SN_mSO_SQ_bEUlT_E_NS1_11comp_targetILNS1_3genE5ELNS1_11target_archE942ELNS1_3gpuE9ELNS1_3repE0EEENS1_30default_config_static_selectorELNS0_4arch9wavefront6targetE0EEEvT1_
	.globl	_ZN7rocprim17ROCPRIM_400000_NS6detail17trampoline_kernelINS0_14default_configENS1_25transform_config_selectorIiLb0EEEZNS1_14transform_implILb0ES3_S5_NS0_18transform_iteratorINS0_17counting_iteratorImlEEZNS1_24adjacent_difference_implIS3_Lb1ELb0EPiN6thrust23THRUST_200600_302600_NS16discard_iteratorINSD_11use_defaultEEENSD_5minusIiEEEE10hipError_tPvRmT2_T3_mT4_P12ihipStream_tbEUlmE_iEESB_NS0_8identityIvEEEESJ_SM_SN_mSO_SQ_bEUlT_E_NS1_11comp_targetILNS1_3genE5ELNS1_11target_archE942ELNS1_3gpuE9ELNS1_3repE0EEENS1_30default_config_static_selectorELNS0_4arch9wavefront6targetE0EEEvT1_
	.p2align	8
	.type	_ZN7rocprim17ROCPRIM_400000_NS6detail17trampoline_kernelINS0_14default_configENS1_25transform_config_selectorIiLb0EEEZNS1_14transform_implILb0ES3_S5_NS0_18transform_iteratorINS0_17counting_iteratorImlEEZNS1_24adjacent_difference_implIS3_Lb1ELb0EPiN6thrust23THRUST_200600_302600_NS16discard_iteratorINSD_11use_defaultEEENSD_5minusIiEEEE10hipError_tPvRmT2_T3_mT4_P12ihipStream_tbEUlmE_iEESB_NS0_8identityIvEEEESJ_SM_SN_mSO_SQ_bEUlT_E_NS1_11comp_targetILNS1_3genE5ELNS1_11target_archE942ELNS1_3gpuE9ELNS1_3repE0EEENS1_30default_config_static_selectorELNS0_4arch9wavefront6targetE0EEEvT1_,@function
_ZN7rocprim17ROCPRIM_400000_NS6detail17trampoline_kernelINS0_14default_configENS1_25transform_config_selectorIiLb0EEEZNS1_14transform_implILb0ES3_S5_NS0_18transform_iteratorINS0_17counting_iteratorImlEEZNS1_24adjacent_difference_implIS3_Lb1ELb0EPiN6thrust23THRUST_200600_302600_NS16discard_iteratorINSD_11use_defaultEEENSD_5minusIiEEEE10hipError_tPvRmT2_T3_mT4_P12ihipStream_tbEUlmE_iEESB_NS0_8identityIvEEEESJ_SM_SN_mSO_SQ_bEUlT_E_NS1_11comp_targetILNS1_3genE5ELNS1_11target_archE942ELNS1_3gpuE9ELNS1_3repE0EEENS1_30default_config_static_selectorELNS0_4arch9wavefront6targetE0EEEvT1_: ; @_ZN7rocprim17ROCPRIM_400000_NS6detail17trampoline_kernelINS0_14default_configENS1_25transform_config_selectorIiLb0EEEZNS1_14transform_implILb0ES3_S5_NS0_18transform_iteratorINS0_17counting_iteratorImlEEZNS1_24adjacent_difference_implIS3_Lb1ELb0EPiN6thrust23THRUST_200600_302600_NS16discard_iteratorINSD_11use_defaultEEENSD_5minusIiEEEE10hipError_tPvRmT2_T3_mT4_P12ihipStream_tbEUlmE_iEESB_NS0_8identityIvEEEESJ_SM_SN_mSO_SQ_bEUlT_E_NS1_11comp_targetILNS1_3genE5ELNS1_11target_archE942ELNS1_3gpuE9ELNS1_3repE0EEENS1_30default_config_static_selectorELNS0_4arch9wavefront6targetE0EEEvT1_
; %bb.0:
	.section	.rodata,"a",@progbits
	.p2align	6, 0x0
	.amdhsa_kernel _ZN7rocprim17ROCPRIM_400000_NS6detail17trampoline_kernelINS0_14default_configENS1_25transform_config_selectorIiLb0EEEZNS1_14transform_implILb0ES3_S5_NS0_18transform_iteratorINS0_17counting_iteratorImlEEZNS1_24adjacent_difference_implIS3_Lb1ELb0EPiN6thrust23THRUST_200600_302600_NS16discard_iteratorINSD_11use_defaultEEENSD_5minusIiEEEE10hipError_tPvRmT2_T3_mT4_P12ihipStream_tbEUlmE_iEESB_NS0_8identityIvEEEESJ_SM_SN_mSO_SQ_bEUlT_E_NS1_11comp_targetILNS1_3genE5ELNS1_11target_archE942ELNS1_3gpuE9ELNS1_3repE0EEENS1_30default_config_static_selectorELNS0_4arch9wavefront6targetE0EEEvT1_
		.amdhsa_group_segment_fixed_size 0
		.amdhsa_private_segment_fixed_size 0
		.amdhsa_kernarg_size 56
		.amdhsa_user_sgpr_count 15
		.amdhsa_user_sgpr_dispatch_ptr 0
		.amdhsa_user_sgpr_queue_ptr 0
		.amdhsa_user_sgpr_kernarg_segment_ptr 1
		.amdhsa_user_sgpr_dispatch_id 0
		.amdhsa_user_sgpr_private_segment_size 0
		.amdhsa_wavefront_size32 1
		.amdhsa_uses_dynamic_stack 0
		.amdhsa_enable_private_segment 0
		.amdhsa_system_sgpr_workgroup_id_x 1
		.amdhsa_system_sgpr_workgroup_id_y 0
		.amdhsa_system_sgpr_workgroup_id_z 0
		.amdhsa_system_sgpr_workgroup_info 0
		.amdhsa_system_vgpr_workitem_id 0
		.amdhsa_next_free_vgpr 1
		.amdhsa_next_free_sgpr 1
		.amdhsa_reserve_vcc 0
		.amdhsa_float_round_mode_32 0
		.amdhsa_float_round_mode_16_64 0
		.amdhsa_float_denorm_mode_32 3
		.amdhsa_float_denorm_mode_16_64 3
		.amdhsa_dx10_clamp 1
		.amdhsa_ieee_mode 1
		.amdhsa_fp16_overflow 0
		.amdhsa_workgroup_processor_mode 1
		.amdhsa_memory_ordered 1
		.amdhsa_forward_progress 0
		.amdhsa_shared_vgpr_count 0
		.amdhsa_exception_fp_ieee_invalid_op 0
		.amdhsa_exception_fp_denorm_src 0
		.amdhsa_exception_fp_ieee_div_zero 0
		.amdhsa_exception_fp_ieee_overflow 0
		.amdhsa_exception_fp_ieee_underflow 0
		.amdhsa_exception_fp_ieee_inexact 0
		.amdhsa_exception_int_div_zero 0
	.end_amdhsa_kernel
	.section	.text._ZN7rocprim17ROCPRIM_400000_NS6detail17trampoline_kernelINS0_14default_configENS1_25transform_config_selectorIiLb0EEEZNS1_14transform_implILb0ES3_S5_NS0_18transform_iteratorINS0_17counting_iteratorImlEEZNS1_24adjacent_difference_implIS3_Lb1ELb0EPiN6thrust23THRUST_200600_302600_NS16discard_iteratorINSD_11use_defaultEEENSD_5minusIiEEEE10hipError_tPvRmT2_T3_mT4_P12ihipStream_tbEUlmE_iEESB_NS0_8identityIvEEEESJ_SM_SN_mSO_SQ_bEUlT_E_NS1_11comp_targetILNS1_3genE5ELNS1_11target_archE942ELNS1_3gpuE9ELNS1_3repE0EEENS1_30default_config_static_selectorELNS0_4arch9wavefront6targetE0EEEvT1_,"axG",@progbits,_ZN7rocprim17ROCPRIM_400000_NS6detail17trampoline_kernelINS0_14default_configENS1_25transform_config_selectorIiLb0EEEZNS1_14transform_implILb0ES3_S5_NS0_18transform_iteratorINS0_17counting_iteratorImlEEZNS1_24adjacent_difference_implIS3_Lb1ELb0EPiN6thrust23THRUST_200600_302600_NS16discard_iteratorINSD_11use_defaultEEENSD_5minusIiEEEE10hipError_tPvRmT2_T3_mT4_P12ihipStream_tbEUlmE_iEESB_NS0_8identityIvEEEESJ_SM_SN_mSO_SQ_bEUlT_E_NS1_11comp_targetILNS1_3genE5ELNS1_11target_archE942ELNS1_3gpuE9ELNS1_3repE0EEENS1_30default_config_static_selectorELNS0_4arch9wavefront6targetE0EEEvT1_,comdat
.Lfunc_end876:
	.size	_ZN7rocprim17ROCPRIM_400000_NS6detail17trampoline_kernelINS0_14default_configENS1_25transform_config_selectorIiLb0EEEZNS1_14transform_implILb0ES3_S5_NS0_18transform_iteratorINS0_17counting_iteratorImlEEZNS1_24adjacent_difference_implIS3_Lb1ELb0EPiN6thrust23THRUST_200600_302600_NS16discard_iteratorINSD_11use_defaultEEENSD_5minusIiEEEE10hipError_tPvRmT2_T3_mT4_P12ihipStream_tbEUlmE_iEESB_NS0_8identityIvEEEESJ_SM_SN_mSO_SQ_bEUlT_E_NS1_11comp_targetILNS1_3genE5ELNS1_11target_archE942ELNS1_3gpuE9ELNS1_3repE0EEENS1_30default_config_static_selectorELNS0_4arch9wavefront6targetE0EEEvT1_, .Lfunc_end876-_ZN7rocprim17ROCPRIM_400000_NS6detail17trampoline_kernelINS0_14default_configENS1_25transform_config_selectorIiLb0EEEZNS1_14transform_implILb0ES3_S5_NS0_18transform_iteratorINS0_17counting_iteratorImlEEZNS1_24adjacent_difference_implIS3_Lb1ELb0EPiN6thrust23THRUST_200600_302600_NS16discard_iteratorINSD_11use_defaultEEENSD_5minusIiEEEE10hipError_tPvRmT2_T3_mT4_P12ihipStream_tbEUlmE_iEESB_NS0_8identityIvEEEESJ_SM_SN_mSO_SQ_bEUlT_E_NS1_11comp_targetILNS1_3genE5ELNS1_11target_archE942ELNS1_3gpuE9ELNS1_3repE0EEENS1_30default_config_static_selectorELNS0_4arch9wavefront6targetE0EEEvT1_
                                        ; -- End function
	.section	.AMDGPU.csdata,"",@progbits
; Kernel info:
; codeLenInByte = 0
; NumSgprs: 0
; NumVgprs: 0
; ScratchSize: 0
; MemoryBound: 0
; FloatMode: 240
; IeeeMode: 1
; LDSByteSize: 0 bytes/workgroup (compile time only)
; SGPRBlocks: 0
; VGPRBlocks: 0
; NumSGPRsForWavesPerEU: 1
; NumVGPRsForWavesPerEU: 1
; Occupancy: 16
; WaveLimiterHint : 0
; COMPUTE_PGM_RSRC2:SCRATCH_EN: 0
; COMPUTE_PGM_RSRC2:USER_SGPR: 15
; COMPUTE_PGM_RSRC2:TRAP_HANDLER: 0
; COMPUTE_PGM_RSRC2:TGID_X_EN: 1
; COMPUTE_PGM_RSRC2:TGID_Y_EN: 0
; COMPUTE_PGM_RSRC2:TGID_Z_EN: 0
; COMPUTE_PGM_RSRC2:TIDIG_COMP_CNT: 0
	.section	.text._ZN7rocprim17ROCPRIM_400000_NS6detail17trampoline_kernelINS0_14default_configENS1_25transform_config_selectorIiLb0EEEZNS1_14transform_implILb0ES3_S5_NS0_18transform_iteratorINS0_17counting_iteratorImlEEZNS1_24adjacent_difference_implIS3_Lb1ELb0EPiN6thrust23THRUST_200600_302600_NS16discard_iteratorINSD_11use_defaultEEENSD_5minusIiEEEE10hipError_tPvRmT2_T3_mT4_P12ihipStream_tbEUlmE_iEESB_NS0_8identityIvEEEESJ_SM_SN_mSO_SQ_bEUlT_E_NS1_11comp_targetILNS1_3genE4ELNS1_11target_archE910ELNS1_3gpuE8ELNS1_3repE0EEENS1_30default_config_static_selectorELNS0_4arch9wavefront6targetE0EEEvT1_,"axG",@progbits,_ZN7rocprim17ROCPRIM_400000_NS6detail17trampoline_kernelINS0_14default_configENS1_25transform_config_selectorIiLb0EEEZNS1_14transform_implILb0ES3_S5_NS0_18transform_iteratorINS0_17counting_iteratorImlEEZNS1_24adjacent_difference_implIS3_Lb1ELb0EPiN6thrust23THRUST_200600_302600_NS16discard_iteratorINSD_11use_defaultEEENSD_5minusIiEEEE10hipError_tPvRmT2_T3_mT4_P12ihipStream_tbEUlmE_iEESB_NS0_8identityIvEEEESJ_SM_SN_mSO_SQ_bEUlT_E_NS1_11comp_targetILNS1_3genE4ELNS1_11target_archE910ELNS1_3gpuE8ELNS1_3repE0EEENS1_30default_config_static_selectorELNS0_4arch9wavefront6targetE0EEEvT1_,comdat
	.protected	_ZN7rocprim17ROCPRIM_400000_NS6detail17trampoline_kernelINS0_14default_configENS1_25transform_config_selectorIiLb0EEEZNS1_14transform_implILb0ES3_S5_NS0_18transform_iteratorINS0_17counting_iteratorImlEEZNS1_24adjacent_difference_implIS3_Lb1ELb0EPiN6thrust23THRUST_200600_302600_NS16discard_iteratorINSD_11use_defaultEEENSD_5minusIiEEEE10hipError_tPvRmT2_T3_mT4_P12ihipStream_tbEUlmE_iEESB_NS0_8identityIvEEEESJ_SM_SN_mSO_SQ_bEUlT_E_NS1_11comp_targetILNS1_3genE4ELNS1_11target_archE910ELNS1_3gpuE8ELNS1_3repE0EEENS1_30default_config_static_selectorELNS0_4arch9wavefront6targetE0EEEvT1_ ; -- Begin function _ZN7rocprim17ROCPRIM_400000_NS6detail17trampoline_kernelINS0_14default_configENS1_25transform_config_selectorIiLb0EEEZNS1_14transform_implILb0ES3_S5_NS0_18transform_iteratorINS0_17counting_iteratorImlEEZNS1_24adjacent_difference_implIS3_Lb1ELb0EPiN6thrust23THRUST_200600_302600_NS16discard_iteratorINSD_11use_defaultEEENSD_5minusIiEEEE10hipError_tPvRmT2_T3_mT4_P12ihipStream_tbEUlmE_iEESB_NS0_8identityIvEEEESJ_SM_SN_mSO_SQ_bEUlT_E_NS1_11comp_targetILNS1_3genE4ELNS1_11target_archE910ELNS1_3gpuE8ELNS1_3repE0EEENS1_30default_config_static_selectorELNS0_4arch9wavefront6targetE0EEEvT1_
	.globl	_ZN7rocprim17ROCPRIM_400000_NS6detail17trampoline_kernelINS0_14default_configENS1_25transform_config_selectorIiLb0EEEZNS1_14transform_implILb0ES3_S5_NS0_18transform_iteratorINS0_17counting_iteratorImlEEZNS1_24adjacent_difference_implIS3_Lb1ELb0EPiN6thrust23THRUST_200600_302600_NS16discard_iteratorINSD_11use_defaultEEENSD_5minusIiEEEE10hipError_tPvRmT2_T3_mT4_P12ihipStream_tbEUlmE_iEESB_NS0_8identityIvEEEESJ_SM_SN_mSO_SQ_bEUlT_E_NS1_11comp_targetILNS1_3genE4ELNS1_11target_archE910ELNS1_3gpuE8ELNS1_3repE0EEENS1_30default_config_static_selectorELNS0_4arch9wavefront6targetE0EEEvT1_
	.p2align	8
	.type	_ZN7rocprim17ROCPRIM_400000_NS6detail17trampoline_kernelINS0_14default_configENS1_25transform_config_selectorIiLb0EEEZNS1_14transform_implILb0ES3_S5_NS0_18transform_iteratorINS0_17counting_iteratorImlEEZNS1_24adjacent_difference_implIS3_Lb1ELb0EPiN6thrust23THRUST_200600_302600_NS16discard_iteratorINSD_11use_defaultEEENSD_5minusIiEEEE10hipError_tPvRmT2_T3_mT4_P12ihipStream_tbEUlmE_iEESB_NS0_8identityIvEEEESJ_SM_SN_mSO_SQ_bEUlT_E_NS1_11comp_targetILNS1_3genE4ELNS1_11target_archE910ELNS1_3gpuE8ELNS1_3repE0EEENS1_30default_config_static_selectorELNS0_4arch9wavefront6targetE0EEEvT1_,@function
_ZN7rocprim17ROCPRIM_400000_NS6detail17trampoline_kernelINS0_14default_configENS1_25transform_config_selectorIiLb0EEEZNS1_14transform_implILb0ES3_S5_NS0_18transform_iteratorINS0_17counting_iteratorImlEEZNS1_24adjacent_difference_implIS3_Lb1ELb0EPiN6thrust23THRUST_200600_302600_NS16discard_iteratorINSD_11use_defaultEEENSD_5minusIiEEEE10hipError_tPvRmT2_T3_mT4_P12ihipStream_tbEUlmE_iEESB_NS0_8identityIvEEEESJ_SM_SN_mSO_SQ_bEUlT_E_NS1_11comp_targetILNS1_3genE4ELNS1_11target_archE910ELNS1_3gpuE8ELNS1_3repE0EEENS1_30default_config_static_selectorELNS0_4arch9wavefront6targetE0EEEvT1_: ; @_ZN7rocprim17ROCPRIM_400000_NS6detail17trampoline_kernelINS0_14default_configENS1_25transform_config_selectorIiLb0EEEZNS1_14transform_implILb0ES3_S5_NS0_18transform_iteratorINS0_17counting_iteratorImlEEZNS1_24adjacent_difference_implIS3_Lb1ELb0EPiN6thrust23THRUST_200600_302600_NS16discard_iteratorINSD_11use_defaultEEENSD_5minusIiEEEE10hipError_tPvRmT2_T3_mT4_P12ihipStream_tbEUlmE_iEESB_NS0_8identityIvEEEESJ_SM_SN_mSO_SQ_bEUlT_E_NS1_11comp_targetILNS1_3genE4ELNS1_11target_archE910ELNS1_3gpuE8ELNS1_3repE0EEENS1_30default_config_static_selectorELNS0_4arch9wavefront6targetE0EEEvT1_
; %bb.0:
	.section	.rodata,"a",@progbits
	.p2align	6, 0x0
	.amdhsa_kernel _ZN7rocprim17ROCPRIM_400000_NS6detail17trampoline_kernelINS0_14default_configENS1_25transform_config_selectorIiLb0EEEZNS1_14transform_implILb0ES3_S5_NS0_18transform_iteratorINS0_17counting_iteratorImlEEZNS1_24adjacent_difference_implIS3_Lb1ELb0EPiN6thrust23THRUST_200600_302600_NS16discard_iteratorINSD_11use_defaultEEENSD_5minusIiEEEE10hipError_tPvRmT2_T3_mT4_P12ihipStream_tbEUlmE_iEESB_NS0_8identityIvEEEESJ_SM_SN_mSO_SQ_bEUlT_E_NS1_11comp_targetILNS1_3genE4ELNS1_11target_archE910ELNS1_3gpuE8ELNS1_3repE0EEENS1_30default_config_static_selectorELNS0_4arch9wavefront6targetE0EEEvT1_
		.amdhsa_group_segment_fixed_size 0
		.amdhsa_private_segment_fixed_size 0
		.amdhsa_kernarg_size 56
		.amdhsa_user_sgpr_count 15
		.amdhsa_user_sgpr_dispatch_ptr 0
		.amdhsa_user_sgpr_queue_ptr 0
		.amdhsa_user_sgpr_kernarg_segment_ptr 1
		.amdhsa_user_sgpr_dispatch_id 0
		.amdhsa_user_sgpr_private_segment_size 0
		.amdhsa_wavefront_size32 1
		.amdhsa_uses_dynamic_stack 0
		.amdhsa_enable_private_segment 0
		.amdhsa_system_sgpr_workgroup_id_x 1
		.amdhsa_system_sgpr_workgroup_id_y 0
		.amdhsa_system_sgpr_workgroup_id_z 0
		.amdhsa_system_sgpr_workgroup_info 0
		.amdhsa_system_vgpr_workitem_id 0
		.amdhsa_next_free_vgpr 1
		.amdhsa_next_free_sgpr 1
		.amdhsa_reserve_vcc 0
		.amdhsa_float_round_mode_32 0
		.amdhsa_float_round_mode_16_64 0
		.amdhsa_float_denorm_mode_32 3
		.amdhsa_float_denorm_mode_16_64 3
		.amdhsa_dx10_clamp 1
		.amdhsa_ieee_mode 1
		.amdhsa_fp16_overflow 0
		.amdhsa_workgroup_processor_mode 1
		.amdhsa_memory_ordered 1
		.amdhsa_forward_progress 0
		.amdhsa_shared_vgpr_count 0
		.amdhsa_exception_fp_ieee_invalid_op 0
		.amdhsa_exception_fp_denorm_src 0
		.amdhsa_exception_fp_ieee_div_zero 0
		.amdhsa_exception_fp_ieee_overflow 0
		.amdhsa_exception_fp_ieee_underflow 0
		.amdhsa_exception_fp_ieee_inexact 0
		.amdhsa_exception_int_div_zero 0
	.end_amdhsa_kernel
	.section	.text._ZN7rocprim17ROCPRIM_400000_NS6detail17trampoline_kernelINS0_14default_configENS1_25transform_config_selectorIiLb0EEEZNS1_14transform_implILb0ES3_S5_NS0_18transform_iteratorINS0_17counting_iteratorImlEEZNS1_24adjacent_difference_implIS3_Lb1ELb0EPiN6thrust23THRUST_200600_302600_NS16discard_iteratorINSD_11use_defaultEEENSD_5minusIiEEEE10hipError_tPvRmT2_T3_mT4_P12ihipStream_tbEUlmE_iEESB_NS0_8identityIvEEEESJ_SM_SN_mSO_SQ_bEUlT_E_NS1_11comp_targetILNS1_3genE4ELNS1_11target_archE910ELNS1_3gpuE8ELNS1_3repE0EEENS1_30default_config_static_selectorELNS0_4arch9wavefront6targetE0EEEvT1_,"axG",@progbits,_ZN7rocprim17ROCPRIM_400000_NS6detail17trampoline_kernelINS0_14default_configENS1_25transform_config_selectorIiLb0EEEZNS1_14transform_implILb0ES3_S5_NS0_18transform_iteratorINS0_17counting_iteratorImlEEZNS1_24adjacent_difference_implIS3_Lb1ELb0EPiN6thrust23THRUST_200600_302600_NS16discard_iteratorINSD_11use_defaultEEENSD_5minusIiEEEE10hipError_tPvRmT2_T3_mT4_P12ihipStream_tbEUlmE_iEESB_NS0_8identityIvEEEESJ_SM_SN_mSO_SQ_bEUlT_E_NS1_11comp_targetILNS1_3genE4ELNS1_11target_archE910ELNS1_3gpuE8ELNS1_3repE0EEENS1_30default_config_static_selectorELNS0_4arch9wavefront6targetE0EEEvT1_,comdat
.Lfunc_end877:
	.size	_ZN7rocprim17ROCPRIM_400000_NS6detail17trampoline_kernelINS0_14default_configENS1_25transform_config_selectorIiLb0EEEZNS1_14transform_implILb0ES3_S5_NS0_18transform_iteratorINS0_17counting_iteratorImlEEZNS1_24adjacent_difference_implIS3_Lb1ELb0EPiN6thrust23THRUST_200600_302600_NS16discard_iteratorINSD_11use_defaultEEENSD_5minusIiEEEE10hipError_tPvRmT2_T3_mT4_P12ihipStream_tbEUlmE_iEESB_NS0_8identityIvEEEESJ_SM_SN_mSO_SQ_bEUlT_E_NS1_11comp_targetILNS1_3genE4ELNS1_11target_archE910ELNS1_3gpuE8ELNS1_3repE0EEENS1_30default_config_static_selectorELNS0_4arch9wavefront6targetE0EEEvT1_, .Lfunc_end877-_ZN7rocprim17ROCPRIM_400000_NS6detail17trampoline_kernelINS0_14default_configENS1_25transform_config_selectorIiLb0EEEZNS1_14transform_implILb0ES3_S5_NS0_18transform_iteratorINS0_17counting_iteratorImlEEZNS1_24adjacent_difference_implIS3_Lb1ELb0EPiN6thrust23THRUST_200600_302600_NS16discard_iteratorINSD_11use_defaultEEENSD_5minusIiEEEE10hipError_tPvRmT2_T3_mT4_P12ihipStream_tbEUlmE_iEESB_NS0_8identityIvEEEESJ_SM_SN_mSO_SQ_bEUlT_E_NS1_11comp_targetILNS1_3genE4ELNS1_11target_archE910ELNS1_3gpuE8ELNS1_3repE0EEENS1_30default_config_static_selectorELNS0_4arch9wavefront6targetE0EEEvT1_
                                        ; -- End function
	.section	.AMDGPU.csdata,"",@progbits
; Kernel info:
; codeLenInByte = 0
; NumSgprs: 0
; NumVgprs: 0
; ScratchSize: 0
; MemoryBound: 0
; FloatMode: 240
; IeeeMode: 1
; LDSByteSize: 0 bytes/workgroup (compile time only)
; SGPRBlocks: 0
; VGPRBlocks: 0
; NumSGPRsForWavesPerEU: 1
; NumVGPRsForWavesPerEU: 1
; Occupancy: 16
; WaveLimiterHint : 0
; COMPUTE_PGM_RSRC2:SCRATCH_EN: 0
; COMPUTE_PGM_RSRC2:USER_SGPR: 15
; COMPUTE_PGM_RSRC2:TRAP_HANDLER: 0
; COMPUTE_PGM_RSRC2:TGID_X_EN: 1
; COMPUTE_PGM_RSRC2:TGID_Y_EN: 0
; COMPUTE_PGM_RSRC2:TGID_Z_EN: 0
; COMPUTE_PGM_RSRC2:TIDIG_COMP_CNT: 0
	.section	.text._ZN7rocprim17ROCPRIM_400000_NS6detail17trampoline_kernelINS0_14default_configENS1_25transform_config_selectorIiLb0EEEZNS1_14transform_implILb0ES3_S5_NS0_18transform_iteratorINS0_17counting_iteratorImlEEZNS1_24adjacent_difference_implIS3_Lb1ELb0EPiN6thrust23THRUST_200600_302600_NS16discard_iteratorINSD_11use_defaultEEENSD_5minusIiEEEE10hipError_tPvRmT2_T3_mT4_P12ihipStream_tbEUlmE_iEESB_NS0_8identityIvEEEESJ_SM_SN_mSO_SQ_bEUlT_E_NS1_11comp_targetILNS1_3genE3ELNS1_11target_archE908ELNS1_3gpuE7ELNS1_3repE0EEENS1_30default_config_static_selectorELNS0_4arch9wavefront6targetE0EEEvT1_,"axG",@progbits,_ZN7rocprim17ROCPRIM_400000_NS6detail17trampoline_kernelINS0_14default_configENS1_25transform_config_selectorIiLb0EEEZNS1_14transform_implILb0ES3_S5_NS0_18transform_iteratorINS0_17counting_iteratorImlEEZNS1_24adjacent_difference_implIS3_Lb1ELb0EPiN6thrust23THRUST_200600_302600_NS16discard_iteratorINSD_11use_defaultEEENSD_5minusIiEEEE10hipError_tPvRmT2_T3_mT4_P12ihipStream_tbEUlmE_iEESB_NS0_8identityIvEEEESJ_SM_SN_mSO_SQ_bEUlT_E_NS1_11comp_targetILNS1_3genE3ELNS1_11target_archE908ELNS1_3gpuE7ELNS1_3repE0EEENS1_30default_config_static_selectorELNS0_4arch9wavefront6targetE0EEEvT1_,comdat
	.protected	_ZN7rocprim17ROCPRIM_400000_NS6detail17trampoline_kernelINS0_14default_configENS1_25transform_config_selectorIiLb0EEEZNS1_14transform_implILb0ES3_S5_NS0_18transform_iteratorINS0_17counting_iteratorImlEEZNS1_24adjacent_difference_implIS3_Lb1ELb0EPiN6thrust23THRUST_200600_302600_NS16discard_iteratorINSD_11use_defaultEEENSD_5minusIiEEEE10hipError_tPvRmT2_T3_mT4_P12ihipStream_tbEUlmE_iEESB_NS0_8identityIvEEEESJ_SM_SN_mSO_SQ_bEUlT_E_NS1_11comp_targetILNS1_3genE3ELNS1_11target_archE908ELNS1_3gpuE7ELNS1_3repE0EEENS1_30default_config_static_selectorELNS0_4arch9wavefront6targetE0EEEvT1_ ; -- Begin function _ZN7rocprim17ROCPRIM_400000_NS6detail17trampoline_kernelINS0_14default_configENS1_25transform_config_selectorIiLb0EEEZNS1_14transform_implILb0ES3_S5_NS0_18transform_iteratorINS0_17counting_iteratorImlEEZNS1_24adjacent_difference_implIS3_Lb1ELb0EPiN6thrust23THRUST_200600_302600_NS16discard_iteratorINSD_11use_defaultEEENSD_5minusIiEEEE10hipError_tPvRmT2_T3_mT4_P12ihipStream_tbEUlmE_iEESB_NS0_8identityIvEEEESJ_SM_SN_mSO_SQ_bEUlT_E_NS1_11comp_targetILNS1_3genE3ELNS1_11target_archE908ELNS1_3gpuE7ELNS1_3repE0EEENS1_30default_config_static_selectorELNS0_4arch9wavefront6targetE0EEEvT1_
	.globl	_ZN7rocprim17ROCPRIM_400000_NS6detail17trampoline_kernelINS0_14default_configENS1_25transform_config_selectorIiLb0EEEZNS1_14transform_implILb0ES3_S5_NS0_18transform_iteratorINS0_17counting_iteratorImlEEZNS1_24adjacent_difference_implIS3_Lb1ELb0EPiN6thrust23THRUST_200600_302600_NS16discard_iteratorINSD_11use_defaultEEENSD_5minusIiEEEE10hipError_tPvRmT2_T3_mT4_P12ihipStream_tbEUlmE_iEESB_NS0_8identityIvEEEESJ_SM_SN_mSO_SQ_bEUlT_E_NS1_11comp_targetILNS1_3genE3ELNS1_11target_archE908ELNS1_3gpuE7ELNS1_3repE0EEENS1_30default_config_static_selectorELNS0_4arch9wavefront6targetE0EEEvT1_
	.p2align	8
	.type	_ZN7rocprim17ROCPRIM_400000_NS6detail17trampoline_kernelINS0_14default_configENS1_25transform_config_selectorIiLb0EEEZNS1_14transform_implILb0ES3_S5_NS0_18transform_iteratorINS0_17counting_iteratorImlEEZNS1_24adjacent_difference_implIS3_Lb1ELb0EPiN6thrust23THRUST_200600_302600_NS16discard_iteratorINSD_11use_defaultEEENSD_5minusIiEEEE10hipError_tPvRmT2_T3_mT4_P12ihipStream_tbEUlmE_iEESB_NS0_8identityIvEEEESJ_SM_SN_mSO_SQ_bEUlT_E_NS1_11comp_targetILNS1_3genE3ELNS1_11target_archE908ELNS1_3gpuE7ELNS1_3repE0EEENS1_30default_config_static_selectorELNS0_4arch9wavefront6targetE0EEEvT1_,@function
_ZN7rocprim17ROCPRIM_400000_NS6detail17trampoline_kernelINS0_14default_configENS1_25transform_config_selectorIiLb0EEEZNS1_14transform_implILb0ES3_S5_NS0_18transform_iteratorINS0_17counting_iteratorImlEEZNS1_24adjacent_difference_implIS3_Lb1ELb0EPiN6thrust23THRUST_200600_302600_NS16discard_iteratorINSD_11use_defaultEEENSD_5minusIiEEEE10hipError_tPvRmT2_T3_mT4_P12ihipStream_tbEUlmE_iEESB_NS0_8identityIvEEEESJ_SM_SN_mSO_SQ_bEUlT_E_NS1_11comp_targetILNS1_3genE3ELNS1_11target_archE908ELNS1_3gpuE7ELNS1_3repE0EEENS1_30default_config_static_selectorELNS0_4arch9wavefront6targetE0EEEvT1_: ; @_ZN7rocprim17ROCPRIM_400000_NS6detail17trampoline_kernelINS0_14default_configENS1_25transform_config_selectorIiLb0EEEZNS1_14transform_implILb0ES3_S5_NS0_18transform_iteratorINS0_17counting_iteratorImlEEZNS1_24adjacent_difference_implIS3_Lb1ELb0EPiN6thrust23THRUST_200600_302600_NS16discard_iteratorINSD_11use_defaultEEENSD_5minusIiEEEE10hipError_tPvRmT2_T3_mT4_P12ihipStream_tbEUlmE_iEESB_NS0_8identityIvEEEESJ_SM_SN_mSO_SQ_bEUlT_E_NS1_11comp_targetILNS1_3genE3ELNS1_11target_archE908ELNS1_3gpuE7ELNS1_3repE0EEENS1_30default_config_static_selectorELNS0_4arch9wavefront6targetE0EEEvT1_
; %bb.0:
	.section	.rodata,"a",@progbits
	.p2align	6, 0x0
	.amdhsa_kernel _ZN7rocprim17ROCPRIM_400000_NS6detail17trampoline_kernelINS0_14default_configENS1_25transform_config_selectorIiLb0EEEZNS1_14transform_implILb0ES3_S5_NS0_18transform_iteratorINS0_17counting_iteratorImlEEZNS1_24adjacent_difference_implIS3_Lb1ELb0EPiN6thrust23THRUST_200600_302600_NS16discard_iteratorINSD_11use_defaultEEENSD_5minusIiEEEE10hipError_tPvRmT2_T3_mT4_P12ihipStream_tbEUlmE_iEESB_NS0_8identityIvEEEESJ_SM_SN_mSO_SQ_bEUlT_E_NS1_11comp_targetILNS1_3genE3ELNS1_11target_archE908ELNS1_3gpuE7ELNS1_3repE0EEENS1_30default_config_static_selectorELNS0_4arch9wavefront6targetE0EEEvT1_
		.amdhsa_group_segment_fixed_size 0
		.amdhsa_private_segment_fixed_size 0
		.amdhsa_kernarg_size 56
		.amdhsa_user_sgpr_count 15
		.amdhsa_user_sgpr_dispatch_ptr 0
		.amdhsa_user_sgpr_queue_ptr 0
		.amdhsa_user_sgpr_kernarg_segment_ptr 1
		.amdhsa_user_sgpr_dispatch_id 0
		.amdhsa_user_sgpr_private_segment_size 0
		.amdhsa_wavefront_size32 1
		.amdhsa_uses_dynamic_stack 0
		.amdhsa_enable_private_segment 0
		.amdhsa_system_sgpr_workgroup_id_x 1
		.amdhsa_system_sgpr_workgroup_id_y 0
		.amdhsa_system_sgpr_workgroup_id_z 0
		.amdhsa_system_sgpr_workgroup_info 0
		.amdhsa_system_vgpr_workitem_id 0
		.amdhsa_next_free_vgpr 1
		.amdhsa_next_free_sgpr 1
		.amdhsa_reserve_vcc 0
		.amdhsa_float_round_mode_32 0
		.amdhsa_float_round_mode_16_64 0
		.amdhsa_float_denorm_mode_32 3
		.amdhsa_float_denorm_mode_16_64 3
		.amdhsa_dx10_clamp 1
		.amdhsa_ieee_mode 1
		.amdhsa_fp16_overflow 0
		.amdhsa_workgroup_processor_mode 1
		.amdhsa_memory_ordered 1
		.amdhsa_forward_progress 0
		.amdhsa_shared_vgpr_count 0
		.amdhsa_exception_fp_ieee_invalid_op 0
		.amdhsa_exception_fp_denorm_src 0
		.amdhsa_exception_fp_ieee_div_zero 0
		.amdhsa_exception_fp_ieee_overflow 0
		.amdhsa_exception_fp_ieee_underflow 0
		.amdhsa_exception_fp_ieee_inexact 0
		.amdhsa_exception_int_div_zero 0
	.end_amdhsa_kernel
	.section	.text._ZN7rocprim17ROCPRIM_400000_NS6detail17trampoline_kernelINS0_14default_configENS1_25transform_config_selectorIiLb0EEEZNS1_14transform_implILb0ES3_S5_NS0_18transform_iteratorINS0_17counting_iteratorImlEEZNS1_24adjacent_difference_implIS3_Lb1ELb0EPiN6thrust23THRUST_200600_302600_NS16discard_iteratorINSD_11use_defaultEEENSD_5minusIiEEEE10hipError_tPvRmT2_T3_mT4_P12ihipStream_tbEUlmE_iEESB_NS0_8identityIvEEEESJ_SM_SN_mSO_SQ_bEUlT_E_NS1_11comp_targetILNS1_3genE3ELNS1_11target_archE908ELNS1_3gpuE7ELNS1_3repE0EEENS1_30default_config_static_selectorELNS0_4arch9wavefront6targetE0EEEvT1_,"axG",@progbits,_ZN7rocprim17ROCPRIM_400000_NS6detail17trampoline_kernelINS0_14default_configENS1_25transform_config_selectorIiLb0EEEZNS1_14transform_implILb0ES3_S5_NS0_18transform_iteratorINS0_17counting_iteratorImlEEZNS1_24adjacent_difference_implIS3_Lb1ELb0EPiN6thrust23THRUST_200600_302600_NS16discard_iteratorINSD_11use_defaultEEENSD_5minusIiEEEE10hipError_tPvRmT2_T3_mT4_P12ihipStream_tbEUlmE_iEESB_NS0_8identityIvEEEESJ_SM_SN_mSO_SQ_bEUlT_E_NS1_11comp_targetILNS1_3genE3ELNS1_11target_archE908ELNS1_3gpuE7ELNS1_3repE0EEENS1_30default_config_static_selectorELNS0_4arch9wavefront6targetE0EEEvT1_,comdat
.Lfunc_end878:
	.size	_ZN7rocprim17ROCPRIM_400000_NS6detail17trampoline_kernelINS0_14default_configENS1_25transform_config_selectorIiLb0EEEZNS1_14transform_implILb0ES3_S5_NS0_18transform_iteratorINS0_17counting_iteratorImlEEZNS1_24adjacent_difference_implIS3_Lb1ELb0EPiN6thrust23THRUST_200600_302600_NS16discard_iteratorINSD_11use_defaultEEENSD_5minusIiEEEE10hipError_tPvRmT2_T3_mT4_P12ihipStream_tbEUlmE_iEESB_NS0_8identityIvEEEESJ_SM_SN_mSO_SQ_bEUlT_E_NS1_11comp_targetILNS1_3genE3ELNS1_11target_archE908ELNS1_3gpuE7ELNS1_3repE0EEENS1_30default_config_static_selectorELNS0_4arch9wavefront6targetE0EEEvT1_, .Lfunc_end878-_ZN7rocprim17ROCPRIM_400000_NS6detail17trampoline_kernelINS0_14default_configENS1_25transform_config_selectorIiLb0EEEZNS1_14transform_implILb0ES3_S5_NS0_18transform_iteratorINS0_17counting_iteratorImlEEZNS1_24adjacent_difference_implIS3_Lb1ELb0EPiN6thrust23THRUST_200600_302600_NS16discard_iteratorINSD_11use_defaultEEENSD_5minusIiEEEE10hipError_tPvRmT2_T3_mT4_P12ihipStream_tbEUlmE_iEESB_NS0_8identityIvEEEESJ_SM_SN_mSO_SQ_bEUlT_E_NS1_11comp_targetILNS1_3genE3ELNS1_11target_archE908ELNS1_3gpuE7ELNS1_3repE0EEENS1_30default_config_static_selectorELNS0_4arch9wavefront6targetE0EEEvT1_
                                        ; -- End function
	.section	.AMDGPU.csdata,"",@progbits
; Kernel info:
; codeLenInByte = 0
; NumSgprs: 0
; NumVgprs: 0
; ScratchSize: 0
; MemoryBound: 0
; FloatMode: 240
; IeeeMode: 1
; LDSByteSize: 0 bytes/workgroup (compile time only)
; SGPRBlocks: 0
; VGPRBlocks: 0
; NumSGPRsForWavesPerEU: 1
; NumVGPRsForWavesPerEU: 1
; Occupancy: 16
; WaveLimiterHint : 0
; COMPUTE_PGM_RSRC2:SCRATCH_EN: 0
; COMPUTE_PGM_RSRC2:USER_SGPR: 15
; COMPUTE_PGM_RSRC2:TRAP_HANDLER: 0
; COMPUTE_PGM_RSRC2:TGID_X_EN: 1
; COMPUTE_PGM_RSRC2:TGID_Y_EN: 0
; COMPUTE_PGM_RSRC2:TGID_Z_EN: 0
; COMPUTE_PGM_RSRC2:TIDIG_COMP_CNT: 0
	.section	.text._ZN7rocprim17ROCPRIM_400000_NS6detail17trampoline_kernelINS0_14default_configENS1_25transform_config_selectorIiLb0EEEZNS1_14transform_implILb0ES3_S5_NS0_18transform_iteratorINS0_17counting_iteratorImlEEZNS1_24adjacent_difference_implIS3_Lb1ELb0EPiN6thrust23THRUST_200600_302600_NS16discard_iteratorINSD_11use_defaultEEENSD_5minusIiEEEE10hipError_tPvRmT2_T3_mT4_P12ihipStream_tbEUlmE_iEESB_NS0_8identityIvEEEESJ_SM_SN_mSO_SQ_bEUlT_E_NS1_11comp_targetILNS1_3genE2ELNS1_11target_archE906ELNS1_3gpuE6ELNS1_3repE0EEENS1_30default_config_static_selectorELNS0_4arch9wavefront6targetE0EEEvT1_,"axG",@progbits,_ZN7rocprim17ROCPRIM_400000_NS6detail17trampoline_kernelINS0_14default_configENS1_25transform_config_selectorIiLb0EEEZNS1_14transform_implILb0ES3_S5_NS0_18transform_iteratorINS0_17counting_iteratorImlEEZNS1_24adjacent_difference_implIS3_Lb1ELb0EPiN6thrust23THRUST_200600_302600_NS16discard_iteratorINSD_11use_defaultEEENSD_5minusIiEEEE10hipError_tPvRmT2_T3_mT4_P12ihipStream_tbEUlmE_iEESB_NS0_8identityIvEEEESJ_SM_SN_mSO_SQ_bEUlT_E_NS1_11comp_targetILNS1_3genE2ELNS1_11target_archE906ELNS1_3gpuE6ELNS1_3repE0EEENS1_30default_config_static_selectorELNS0_4arch9wavefront6targetE0EEEvT1_,comdat
	.protected	_ZN7rocprim17ROCPRIM_400000_NS6detail17trampoline_kernelINS0_14default_configENS1_25transform_config_selectorIiLb0EEEZNS1_14transform_implILb0ES3_S5_NS0_18transform_iteratorINS0_17counting_iteratorImlEEZNS1_24adjacent_difference_implIS3_Lb1ELb0EPiN6thrust23THRUST_200600_302600_NS16discard_iteratorINSD_11use_defaultEEENSD_5minusIiEEEE10hipError_tPvRmT2_T3_mT4_P12ihipStream_tbEUlmE_iEESB_NS0_8identityIvEEEESJ_SM_SN_mSO_SQ_bEUlT_E_NS1_11comp_targetILNS1_3genE2ELNS1_11target_archE906ELNS1_3gpuE6ELNS1_3repE0EEENS1_30default_config_static_selectorELNS0_4arch9wavefront6targetE0EEEvT1_ ; -- Begin function _ZN7rocprim17ROCPRIM_400000_NS6detail17trampoline_kernelINS0_14default_configENS1_25transform_config_selectorIiLb0EEEZNS1_14transform_implILb0ES3_S5_NS0_18transform_iteratorINS0_17counting_iteratorImlEEZNS1_24adjacent_difference_implIS3_Lb1ELb0EPiN6thrust23THRUST_200600_302600_NS16discard_iteratorINSD_11use_defaultEEENSD_5minusIiEEEE10hipError_tPvRmT2_T3_mT4_P12ihipStream_tbEUlmE_iEESB_NS0_8identityIvEEEESJ_SM_SN_mSO_SQ_bEUlT_E_NS1_11comp_targetILNS1_3genE2ELNS1_11target_archE906ELNS1_3gpuE6ELNS1_3repE0EEENS1_30default_config_static_selectorELNS0_4arch9wavefront6targetE0EEEvT1_
	.globl	_ZN7rocprim17ROCPRIM_400000_NS6detail17trampoline_kernelINS0_14default_configENS1_25transform_config_selectorIiLb0EEEZNS1_14transform_implILb0ES3_S5_NS0_18transform_iteratorINS0_17counting_iteratorImlEEZNS1_24adjacent_difference_implIS3_Lb1ELb0EPiN6thrust23THRUST_200600_302600_NS16discard_iteratorINSD_11use_defaultEEENSD_5minusIiEEEE10hipError_tPvRmT2_T3_mT4_P12ihipStream_tbEUlmE_iEESB_NS0_8identityIvEEEESJ_SM_SN_mSO_SQ_bEUlT_E_NS1_11comp_targetILNS1_3genE2ELNS1_11target_archE906ELNS1_3gpuE6ELNS1_3repE0EEENS1_30default_config_static_selectorELNS0_4arch9wavefront6targetE0EEEvT1_
	.p2align	8
	.type	_ZN7rocprim17ROCPRIM_400000_NS6detail17trampoline_kernelINS0_14default_configENS1_25transform_config_selectorIiLb0EEEZNS1_14transform_implILb0ES3_S5_NS0_18transform_iteratorINS0_17counting_iteratorImlEEZNS1_24adjacent_difference_implIS3_Lb1ELb0EPiN6thrust23THRUST_200600_302600_NS16discard_iteratorINSD_11use_defaultEEENSD_5minusIiEEEE10hipError_tPvRmT2_T3_mT4_P12ihipStream_tbEUlmE_iEESB_NS0_8identityIvEEEESJ_SM_SN_mSO_SQ_bEUlT_E_NS1_11comp_targetILNS1_3genE2ELNS1_11target_archE906ELNS1_3gpuE6ELNS1_3repE0EEENS1_30default_config_static_selectorELNS0_4arch9wavefront6targetE0EEEvT1_,@function
_ZN7rocprim17ROCPRIM_400000_NS6detail17trampoline_kernelINS0_14default_configENS1_25transform_config_selectorIiLb0EEEZNS1_14transform_implILb0ES3_S5_NS0_18transform_iteratorINS0_17counting_iteratorImlEEZNS1_24adjacent_difference_implIS3_Lb1ELb0EPiN6thrust23THRUST_200600_302600_NS16discard_iteratorINSD_11use_defaultEEENSD_5minusIiEEEE10hipError_tPvRmT2_T3_mT4_P12ihipStream_tbEUlmE_iEESB_NS0_8identityIvEEEESJ_SM_SN_mSO_SQ_bEUlT_E_NS1_11comp_targetILNS1_3genE2ELNS1_11target_archE906ELNS1_3gpuE6ELNS1_3repE0EEENS1_30default_config_static_selectorELNS0_4arch9wavefront6targetE0EEEvT1_: ; @_ZN7rocprim17ROCPRIM_400000_NS6detail17trampoline_kernelINS0_14default_configENS1_25transform_config_selectorIiLb0EEEZNS1_14transform_implILb0ES3_S5_NS0_18transform_iteratorINS0_17counting_iteratorImlEEZNS1_24adjacent_difference_implIS3_Lb1ELb0EPiN6thrust23THRUST_200600_302600_NS16discard_iteratorINSD_11use_defaultEEENSD_5minusIiEEEE10hipError_tPvRmT2_T3_mT4_P12ihipStream_tbEUlmE_iEESB_NS0_8identityIvEEEESJ_SM_SN_mSO_SQ_bEUlT_E_NS1_11comp_targetILNS1_3genE2ELNS1_11target_archE906ELNS1_3gpuE6ELNS1_3repE0EEENS1_30default_config_static_selectorELNS0_4arch9wavefront6targetE0EEEvT1_
; %bb.0:
	.section	.rodata,"a",@progbits
	.p2align	6, 0x0
	.amdhsa_kernel _ZN7rocprim17ROCPRIM_400000_NS6detail17trampoline_kernelINS0_14default_configENS1_25transform_config_selectorIiLb0EEEZNS1_14transform_implILb0ES3_S5_NS0_18transform_iteratorINS0_17counting_iteratorImlEEZNS1_24adjacent_difference_implIS3_Lb1ELb0EPiN6thrust23THRUST_200600_302600_NS16discard_iteratorINSD_11use_defaultEEENSD_5minusIiEEEE10hipError_tPvRmT2_T3_mT4_P12ihipStream_tbEUlmE_iEESB_NS0_8identityIvEEEESJ_SM_SN_mSO_SQ_bEUlT_E_NS1_11comp_targetILNS1_3genE2ELNS1_11target_archE906ELNS1_3gpuE6ELNS1_3repE0EEENS1_30default_config_static_selectorELNS0_4arch9wavefront6targetE0EEEvT1_
		.amdhsa_group_segment_fixed_size 0
		.amdhsa_private_segment_fixed_size 0
		.amdhsa_kernarg_size 56
		.amdhsa_user_sgpr_count 15
		.amdhsa_user_sgpr_dispatch_ptr 0
		.amdhsa_user_sgpr_queue_ptr 0
		.amdhsa_user_sgpr_kernarg_segment_ptr 1
		.amdhsa_user_sgpr_dispatch_id 0
		.amdhsa_user_sgpr_private_segment_size 0
		.amdhsa_wavefront_size32 1
		.amdhsa_uses_dynamic_stack 0
		.amdhsa_enable_private_segment 0
		.amdhsa_system_sgpr_workgroup_id_x 1
		.amdhsa_system_sgpr_workgroup_id_y 0
		.amdhsa_system_sgpr_workgroup_id_z 0
		.amdhsa_system_sgpr_workgroup_info 0
		.amdhsa_system_vgpr_workitem_id 0
		.amdhsa_next_free_vgpr 1
		.amdhsa_next_free_sgpr 1
		.amdhsa_reserve_vcc 0
		.amdhsa_float_round_mode_32 0
		.amdhsa_float_round_mode_16_64 0
		.amdhsa_float_denorm_mode_32 3
		.amdhsa_float_denorm_mode_16_64 3
		.amdhsa_dx10_clamp 1
		.amdhsa_ieee_mode 1
		.amdhsa_fp16_overflow 0
		.amdhsa_workgroup_processor_mode 1
		.amdhsa_memory_ordered 1
		.amdhsa_forward_progress 0
		.amdhsa_shared_vgpr_count 0
		.amdhsa_exception_fp_ieee_invalid_op 0
		.amdhsa_exception_fp_denorm_src 0
		.amdhsa_exception_fp_ieee_div_zero 0
		.amdhsa_exception_fp_ieee_overflow 0
		.amdhsa_exception_fp_ieee_underflow 0
		.amdhsa_exception_fp_ieee_inexact 0
		.amdhsa_exception_int_div_zero 0
	.end_amdhsa_kernel
	.section	.text._ZN7rocprim17ROCPRIM_400000_NS6detail17trampoline_kernelINS0_14default_configENS1_25transform_config_selectorIiLb0EEEZNS1_14transform_implILb0ES3_S5_NS0_18transform_iteratorINS0_17counting_iteratorImlEEZNS1_24adjacent_difference_implIS3_Lb1ELb0EPiN6thrust23THRUST_200600_302600_NS16discard_iteratorINSD_11use_defaultEEENSD_5minusIiEEEE10hipError_tPvRmT2_T3_mT4_P12ihipStream_tbEUlmE_iEESB_NS0_8identityIvEEEESJ_SM_SN_mSO_SQ_bEUlT_E_NS1_11comp_targetILNS1_3genE2ELNS1_11target_archE906ELNS1_3gpuE6ELNS1_3repE0EEENS1_30default_config_static_selectorELNS0_4arch9wavefront6targetE0EEEvT1_,"axG",@progbits,_ZN7rocprim17ROCPRIM_400000_NS6detail17trampoline_kernelINS0_14default_configENS1_25transform_config_selectorIiLb0EEEZNS1_14transform_implILb0ES3_S5_NS0_18transform_iteratorINS0_17counting_iteratorImlEEZNS1_24adjacent_difference_implIS3_Lb1ELb0EPiN6thrust23THRUST_200600_302600_NS16discard_iteratorINSD_11use_defaultEEENSD_5minusIiEEEE10hipError_tPvRmT2_T3_mT4_P12ihipStream_tbEUlmE_iEESB_NS0_8identityIvEEEESJ_SM_SN_mSO_SQ_bEUlT_E_NS1_11comp_targetILNS1_3genE2ELNS1_11target_archE906ELNS1_3gpuE6ELNS1_3repE0EEENS1_30default_config_static_selectorELNS0_4arch9wavefront6targetE0EEEvT1_,comdat
.Lfunc_end879:
	.size	_ZN7rocprim17ROCPRIM_400000_NS6detail17trampoline_kernelINS0_14default_configENS1_25transform_config_selectorIiLb0EEEZNS1_14transform_implILb0ES3_S5_NS0_18transform_iteratorINS0_17counting_iteratorImlEEZNS1_24adjacent_difference_implIS3_Lb1ELb0EPiN6thrust23THRUST_200600_302600_NS16discard_iteratorINSD_11use_defaultEEENSD_5minusIiEEEE10hipError_tPvRmT2_T3_mT4_P12ihipStream_tbEUlmE_iEESB_NS0_8identityIvEEEESJ_SM_SN_mSO_SQ_bEUlT_E_NS1_11comp_targetILNS1_3genE2ELNS1_11target_archE906ELNS1_3gpuE6ELNS1_3repE0EEENS1_30default_config_static_selectorELNS0_4arch9wavefront6targetE0EEEvT1_, .Lfunc_end879-_ZN7rocprim17ROCPRIM_400000_NS6detail17trampoline_kernelINS0_14default_configENS1_25transform_config_selectorIiLb0EEEZNS1_14transform_implILb0ES3_S5_NS0_18transform_iteratorINS0_17counting_iteratorImlEEZNS1_24adjacent_difference_implIS3_Lb1ELb0EPiN6thrust23THRUST_200600_302600_NS16discard_iteratorINSD_11use_defaultEEENSD_5minusIiEEEE10hipError_tPvRmT2_T3_mT4_P12ihipStream_tbEUlmE_iEESB_NS0_8identityIvEEEESJ_SM_SN_mSO_SQ_bEUlT_E_NS1_11comp_targetILNS1_3genE2ELNS1_11target_archE906ELNS1_3gpuE6ELNS1_3repE0EEENS1_30default_config_static_selectorELNS0_4arch9wavefront6targetE0EEEvT1_
                                        ; -- End function
	.section	.AMDGPU.csdata,"",@progbits
; Kernel info:
; codeLenInByte = 0
; NumSgprs: 0
; NumVgprs: 0
; ScratchSize: 0
; MemoryBound: 0
; FloatMode: 240
; IeeeMode: 1
; LDSByteSize: 0 bytes/workgroup (compile time only)
; SGPRBlocks: 0
; VGPRBlocks: 0
; NumSGPRsForWavesPerEU: 1
; NumVGPRsForWavesPerEU: 1
; Occupancy: 16
; WaveLimiterHint : 0
; COMPUTE_PGM_RSRC2:SCRATCH_EN: 0
; COMPUTE_PGM_RSRC2:USER_SGPR: 15
; COMPUTE_PGM_RSRC2:TRAP_HANDLER: 0
; COMPUTE_PGM_RSRC2:TGID_X_EN: 1
; COMPUTE_PGM_RSRC2:TGID_Y_EN: 0
; COMPUTE_PGM_RSRC2:TGID_Z_EN: 0
; COMPUTE_PGM_RSRC2:TIDIG_COMP_CNT: 0
	.section	.text._ZN7rocprim17ROCPRIM_400000_NS6detail17trampoline_kernelINS0_14default_configENS1_25transform_config_selectorIiLb0EEEZNS1_14transform_implILb0ES3_S5_NS0_18transform_iteratorINS0_17counting_iteratorImlEEZNS1_24adjacent_difference_implIS3_Lb1ELb0EPiN6thrust23THRUST_200600_302600_NS16discard_iteratorINSD_11use_defaultEEENSD_5minusIiEEEE10hipError_tPvRmT2_T3_mT4_P12ihipStream_tbEUlmE_iEESB_NS0_8identityIvEEEESJ_SM_SN_mSO_SQ_bEUlT_E_NS1_11comp_targetILNS1_3genE10ELNS1_11target_archE1201ELNS1_3gpuE5ELNS1_3repE0EEENS1_30default_config_static_selectorELNS0_4arch9wavefront6targetE0EEEvT1_,"axG",@progbits,_ZN7rocprim17ROCPRIM_400000_NS6detail17trampoline_kernelINS0_14default_configENS1_25transform_config_selectorIiLb0EEEZNS1_14transform_implILb0ES3_S5_NS0_18transform_iteratorINS0_17counting_iteratorImlEEZNS1_24adjacent_difference_implIS3_Lb1ELb0EPiN6thrust23THRUST_200600_302600_NS16discard_iteratorINSD_11use_defaultEEENSD_5minusIiEEEE10hipError_tPvRmT2_T3_mT4_P12ihipStream_tbEUlmE_iEESB_NS0_8identityIvEEEESJ_SM_SN_mSO_SQ_bEUlT_E_NS1_11comp_targetILNS1_3genE10ELNS1_11target_archE1201ELNS1_3gpuE5ELNS1_3repE0EEENS1_30default_config_static_selectorELNS0_4arch9wavefront6targetE0EEEvT1_,comdat
	.protected	_ZN7rocprim17ROCPRIM_400000_NS6detail17trampoline_kernelINS0_14default_configENS1_25transform_config_selectorIiLb0EEEZNS1_14transform_implILb0ES3_S5_NS0_18transform_iteratorINS0_17counting_iteratorImlEEZNS1_24adjacent_difference_implIS3_Lb1ELb0EPiN6thrust23THRUST_200600_302600_NS16discard_iteratorINSD_11use_defaultEEENSD_5minusIiEEEE10hipError_tPvRmT2_T3_mT4_P12ihipStream_tbEUlmE_iEESB_NS0_8identityIvEEEESJ_SM_SN_mSO_SQ_bEUlT_E_NS1_11comp_targetILNS1_3genE10ELNS1_11target_archE1201ELNS1_3gpuE5ELNS1_3repE0EEENS1_30default_config_static_selectorELNS0_4arch9wavefront6targetE0EEEvT1_ ; -- Begin function _ZN7rocprim17ROCPRIM_400000_NS6detail17trampoline_kernelINS0_14default_configENS1_25transform_config_selectorIiLb0EEEZNS1_14transform_implILb0ES3_S5_NS0_18transform_iteratorINS0_17counting_iteratorImlEEZNS1_24adjacent_difference_implIS3_Lb1ELb0EPiN6thrust23THRUST_200600_302600_NS16discard_iteratorINSD_11use_defaultEEENSD_5minusIiEEEE10hipError_tPvRmT2_T3_mT4_P12ihipStream_tbEUlmE_iEESB_NS0_8identityIvEEEESJ_SM_SN_mSO_SQ_bEUlT_E_NS1_11comp_targetILNS1_3genE10ELNS1_11target_archE1201ELNS1_3gpuE5ELNS1_3repE0EEENS1_30default_config_static_selectorELNS0_4arch9wavefront6targetE0EEEvT1_
	.globl	_ZN7rocprim17ROCPRIM_400000_NS6detail17trampoline_kernelINS0_14default_configENS1_25transform_config_selectorIiLb0EEEZNS1_14transform_implILb0ES3_S5_NS0_18transform_iteratorINS0_17counting_iteratorImlEEZNS1_24adjacent_difference_implIS3_Lb1ELb0EPiN6thrust23THRUST_200600_302600_NS16discard_iteratorINSD_11use_defaultEEENSD_5minusIiEEEE10hipError_tPvRmT2_T3_mT4_P12ihipStream_tbEUlmE_iEESB_NS0_8identityIvEEEESJ_SM_SN_mSO_SQ_bEUlT_E_NS1_11comp_targetILNS1_3genE10ELNS1_11target_archE1201ELNS1_3gpuE5ELNS1_3repE0EEENS1_30default_config_static_selectorELNS0_4arch9wavefront6targetE0EEEvT1_
	.p2align	8
	.type	_ZN7rocprim17ROCPRIM_400000_NS6detail17trampoline_kernelINS0_14default_configENS1_25transform_config_selectorIiLb0EEEZNS1_14transform_implILb0ES3_S5_NS0_18transform_iteratorINS0_17counting_iteratorImlEEZNS1_24adjacent_difference_implIS3_Lb1ELb0EPiN6thrust23THRUST_200600_302600_NS16discard_iteratorINSD_11use_defaultEEENSD_5minusIiEEEE10hipError_tPvRmT2_T3_mT4_P12ihipStream_tbEUlmE_iEESB_NS0_8identityIvEEEESJ_SM_SN_mSO_SQ_bEUlT_E_NS1_11comp_targetILNS1_3genE10ELNS1_11target_archE1201ELNS1_3gpuE5ELNS1_3repE0EEENS1_30default_config_static_selectorELNS0_4arch9wavefront6targetE0EEEvT1_,@function
_ZN7rocprim17ROCPRIM_400000_NS6detail17trampoline_kernelINS0_14default_configENS1_25transform_config_selectorIiLb0EEEZNS1_14transform_implILb0ES3_S5_NS0_18transform_iteratorINS0_17counting_iteratorImlEEZNS1_24adjacent_difference_implIS3_Lb1ELb0EPiN6thrust23THRUST_200600_302600_NS16discard_iteratorINSD_11use_defaultEEENSD_5minusIiEEEE10hipError_tPvRmT2_T3_mT4_P12ihipStream_tbEUlmE_iEESB_NS0_8identityIvEEEESJ_SM_SN_mSO_SQ_bEUlT_E_NS1_11comp_targetILNS1_3genE10ELNS1_11target_archE1201ELNS1_3gpuE5ELNS1_3repE0EEENS1_30default_config_static_selectorELNS0_4arch9wavefront6targetE0EEEvT1_: ; @_ZN7rocprim17ROCPRIM_400000_NS6detail17trampoline_kernelINS0_14default_configENS1_25transform_config_selectorIiLb0EEEZNS1_14transform_implILb0ES3_S5_NS0_18transform_iteratorINS0_17counting_iteratorImlEEZNS1_24adjacent_difference_implIS3_Lb1ELb0EPiN6thrust23THRUST_200600_302600_NS16discard_iteratorINSD_11use_defaultEEENSD_5minusIiEEEE10hipError_tPvRmT2_T3_mT4_P12ihipStream_tbEUlmE_iEESB_NS0_8identityIvEEEESJ_SM_SN_mSO_SQ_bEUlT_E_NS1_11comp_targetILNS1_3genE10ELNS1_11target_archE1201ELNS1_3gpuE5ELNS1_3repE0EEENS1_30default_config_static_selectorELNS0_4arch9wavefront6targetE0EEEvT1_
; %bb.0:
	.section	.rodata,"a",@progbits
	.p2align	6, 0x0
	.amdhsa_kernel _ZN7rocprim17ROCPRIM_400000_NS6detail17trampoline_kernelINS0_14default_configENS1_25transform_config_selectorIiLb0EEEZNS1_14transform_implILb0ES3_S5_NS0_18transform_iteratorINS0_17counting_iteratorImlEEZNS1_24adjacent_difference_implIS3_Lb1ELb0EPiN6thrust23THRUST_200600_302600_NS16discard_iteratorINSD_11use_defaultEEENSD_5minusIiEEEE10hipError_tPvRmT2_T3_mT4_P12ihipStream_tbEUlmE_iEESB_NS0_8identityIvEEEESJ_SM_SN_mSO_SQ_bEUlT_E_NS1_11comp_targetILNS1_3genE10ELNS1_11target_archE1201ELNS1_3gpuE5ELNS1_3repE0EEENS1_30default_config_static_selectorELNS0_4arch9wavefront6targetE0EEEvT1_
		.amdhsa_group_segment_fixed_size 0
		.amdhsa_private_segment_fixed_size 0
		.amdhsa_kernarg_size 56
		.amdhsa_user_sgpr_count 15
		.amdhsa_user_sgpr_dispatch_ptr 0
		.amdhsa_user_sgpr_queue_ptr 0
		.amdhsa_user_sgpr_kernarg_segment_ptr 1
		.amdhsa_user_sgpr_dispatch_id 0
		.amdhsa_user_sgpr_private_segment_size 0
		.amdhsa_wavefront_size32 1
		.amdhsa_uses_dynamic_stack 0
		.amdhsa_enable_private_segment 0
		.amdhsa_system_sgpr_workgroup_id_x 1
		.amdhsa_system_sgpr_workgroup_id_y 0
		.amdhsa_system_sgpr_workgroup_id_z 0
		.amdhsa_system_sgpr_workgroup_info 0
		.amdhsa_system_vgpr_workitem_id 0
		.amdhsa_next_free_vgpr 1
		.amdhsa_next_free_sgpr 1
		.amdhsa_reserve_vcc 0
		.amdhsa_float_round_mode_32 0
		.amdhsa_float_round_mode_16_64 0
		.amdhsa_float_denorm_mode_32 3
		.amdhsa_float_denorm_mode_16_64 3
		.amdhsa_dx10_clamp 1
		.amdhsa_ieee_mode 1
		.amdhsa_fp16_overflow 0
		.amdhsa_workgroup_processor_mode 1
		.amdhsa_memory_ordered 1
		.amdhsa_forward_progress 0
		.amdhsa_shared_vgpr_count 0
		.amdhsa_exception_fp_ieee_invalid_op 0
		.amdhsa_exception_fp_denorm_src 0
		.amdhsa_exception_fp_ieee_div_zero 0
		.amdhsa_exception_fp_ieee_overflow 0
		.amdhsa_exception_fp_ieee_underflow 0
		.amdhsa_exception_fp_ieee_inexact 0
		.amdhsa_exception_int_div_zero 0
	.end_amdhsa_kernel
	.section	.text._ZN7rocprim17ROCPRIM_400000_NS6detail17trampoline_kernelINS0_14default_configENS1_25transform_config_selectorIiLb0EEEZNS1_14transform_implILb0ES3_S5_NS0_18transform_iteratorINS0_17counting_iteratorImlEEZNS1_24adjacent_difference_implIS3_Lb1ELb0EPiN6thrust23THRUST_200600_302600_NS16discard_iteratorINSD_11use_defaultEEENSD_5minusIiEEEE10hipError_tPvRmT2_T3_mT4_P12ihipStream_tbEUlmE_iEESB_NS0_8identityIvEEEESJ_SM_SN_mSO_SQ_bEUlT_E_NS1_11comp_targetILNS1_3genE10ELNS1_11target_archE1201ELNS1_3gpuE5ELNS1_3repE0EEENS1_30default_config_static_selectorELNS0_4arch9wavefront6targetE0EEEvT1_,"axG",@progbits,_ZN7rocprim17ROCPRIM_400000_NS6detail17trampoline_kernelINS0_14default_configENS1_25transform_config_selectorIiLb0EEEZNS1_14transform_implILb0ES3_S5_NS0_18transform_iteratorINS0_17counting_iteratorImlEEZNS1_24adjacent_difference_implIS3_Lb1ELb0EPiN6thrust23THRUST_200600_302600_NS16discard_iteratorINSD_11use_defaultEEENSD_5minusIiEEEE10hipError_tPvRmT2_T3_mT4_P12ihipStream_tbEUlmE_iEESB_NS0_8identityIvEEEESJ_SM_SN_mSO_SQ_bEUlT_E_NS1_11comp_targetILNS1_3genE10ELNS1_11target_archE1201ELNS1_3gpuE5ELNS1_3repE0EEENS1_30default_config_static_selectorELNS0_4arch9wavefront6targetE0EEEvT1_,comdat
.Lfunc_end880:
	.size	_ZN7rocprim17ROCPRIM_400000_NS6detail17trampoline_kernelINS0_14default_configENS1_25transform_config_selectorIiLb0EEEZNS1_14transform_implILb0ES3_S5_NS0_18transform_iteratorINS0_17counting_iteratorImlEEZNS1_24adjacent_difference_implIS3_Lb1ELb0EPiN6thrust23THRUST_200600_302600_NS16discard_iteratorINSD_11use_defaultEEENSD_5minusIiEEEE10hipError_tPvRmT2_T3_mT4_P12ihipStream_tbEUlmE_iEESB_NS0_8identityIvEEEESJ_SM_SN_mSO_SQ_bEUlT_E_NS1_11comp_targetILNS1_3genE10ELNS1_11target_archE1201ELNS1_3gpuE5ELNS1_3repE0EEENS1_30default_config_static_selectorELNS0_4arch9wavefront6targetE0EEEvT1_, .Lfunc_end880-_ZN7rocprim17ROCPRIM_400000_NS6detail17trampoline_kernelINS0_14default_configENS1_25transform_config_selectorIiLb0EEEZNS1_14transform_implILb0ES3_S5_NS0_18transform_iteratorINS0_17counting_iteratorImlEEZNS1_24adjacent_difference_implIS3_Lb1ELb0EPiN6thrust23THRUST_200600_302600_NS16discard_iteratorINSD_11use_defaultEEENSD_5minusIiEEEE10hipError_tPvRmT2_T3_mT4_P12ihipStream_tbEUlmE_iEESB_NS0_8identityIvEEEESJ_SM_SN_mSO_SQ_bEUlT_E_NS1_11comp_targetILNS1_3genE10ELNS1_11target_archE1201ELNS1_3gpuE5ELNS1_3repE0EEENS1_30default_config_static_selectorELNS0_4arch9wavefront6targetE0EEEvT1_
                                        ; -- End function
	.section	.AMDGPU.csdata,"",@progbits
; Kernel info:
; codeLenInByte = 0
; NumSgprs: 0
; NumVgprs: 0
; ScratchSize: 0
; MemoryBound: 0
; FloatMode: 240
; IeeeMode: 1
; LDSByteSize: 0 bytes/workgroup (compile time only)
; SGPRBlocks: 0
; VGPRBlocks: 0
; NumSGPRsForWavesPerEU: 1
; NumVGPRsForWavesPerEU: 1
; Occupancy: 16
; WaveLimiterHint : 0
; COMPUTE_PGM_RSRC2:SCRATCH_EN: 0
; COMPUTE_PGM_RSRC2:USER_SGPR: 15
; COMPUTE_PGM_RSRC2:TRAP_HANDLER: 0
; COMPUTE_PGM_RSRC2:TGID_X_EN: 1
; COMPUTE_PGM_RSRC2:TGID_Y_EN: 0
; COMPUTE_PGM_RSRC2:TGID_Z_EN: 0
; COMPUTE_PGM_RSRC2:TIDIG_COMP_CNT: 0
	.section	.text._ZN7rocprim17ROCPRIM_400000_NS6detail17trampoline_kernelINS0_14default_configENS1_25transform_config_selectorIiLb0EEEZNS1_14transform_implILb0ES3_S5_NS0_18transform_iteratorINS0_17counting_iteratorImlEEZNS1_24adjacent_difference_implIS3_Lb1ELb0EPiN6thrust23THRUST_200600_302600_NS16discard_iteratorINSD_11use_defaultEEENSD_5minusIiEEEE10hipError_tPvRmT2_T3_mT4_P12ihipStream_tbEUlmE_iEESB_NS0_8identityIvEEEESJ_SM_SN_mSO_SQ_bEUlT_E_NS1_11comp_targetILNS1_3genE10ELNS1_11target_archE1200ELNS1_3gpuE4ELNS1_3repE0EEENS1_30default_config_static_selectorELNS0_4arch9wavefront6targetE0EEEvT1_,"axG",@progbits,_ZN7rocprim17ROCPRIM_400000_NS6detail17trampoline_kernelINS0_14default_configENS1_25transform_config_selectorIiLb0EEEZNS1_14transform_implILb0ES3_S5_NS0_18transform_iteratorINS0_17counting_iteratorImlEEZNS1_24adjacent_difference_implIS3_Lb1ELb0EPiN6thrust23THRUST_200600_302600_NS16discard_iteratorINSD_11use_defaultEEENSD_5minusIiEEEE10hipError_tPvRmT2_T3_mT4_P12ihipStream_tbEUlmE_iEESB_NS0_8identityIvEEEESJ_SM_SN_mSO_SQ_bEUlT_E_NS1_11comp_targetILNS1_3genE10ELNS1_11target_archE1200ELNS1_3gpuE4ELNS1_3repE0EEENS1_30default_config_static_selectorELNS0_4arch9wavefront6targetE0EEEvT1_,comdat
	.protected	_ZN7rocprim17ROCPRIM_400000_NS6detail17trampoline_kernelINS0_14default_configENS1_25transform_config_selectorIiLb0EEEZNS1_14transform_implILb0ES3_S5_NS0_18transform_iteratorINS0_17counting_iteratorImlEEZNS1_24adjacent_difference_implIS3_Lb1ELb0EPiN6thrust23THRUST_200600_302600_NS16discard_iteratorINSD_11use_defaultEEENSD_5minusIiEEEE10hipError_tPvRmT2_T3_mT4_P12ihipStream_tbEUlmE_iEESB_NS0_8identityIvEEEESJ_SM_SN_mSO_SQ_bEUlT_E_NS1_11comp_targetILNS1_3genE10ELNS1_11target_archE1200ELNS1_3gpuE4ELNS1_3repE0EEENS1_30default_config_static_selectorELNS0_4arch9wavefront6targetE0EEEvT1_ ; -- Begin function _ZN7rocprim17ROCPRIM_400000_NS6detail17trampoline_kernelINS0_14default_configENS1_25transform_config_selectorIiLb0EEEZNS1_14transform_implILb0ES3_S5_NS0_18transform_iteratorINS0_17counting_iteratorImlEEZNS1_24adjacent_difference_implIS3_Lb1ELb0EPiN6thrust23THRUST_200600_302600_NS16discard_iteratorINSD_11use_defaultEEENSD_5minusIiEEEE10hipError_tPvRmT2_T3_mT4_P12ihipStream_tbEUlmE_iEESB_NS0_8identityIvEEEESJ_SM_SN_mSO_SQ_bEUlT_E_NS1_11comp_targetILNS1_3genE10ELNS1_11target_archE1200ELNS1_3gpuE4ELNS1_3repE0EEENS1_30default_config_static_selectorELNS0_4arch9wavefront6targetE0EEEvT1_
	.globl	_ZN7rocprim17ROCPRIM_400000_NS6detail17trampoline_kernelINS0_14default_configENS1_25transform_config_selectorIiLb0EEEZNS1_14transform_implILb0ES3_S5_NS0_18transform_iteratorINS0_17counting_iteratorImlEEZNS1_24adjacent_difference_implIS3_Lb1ELb0EPiN6thrust23THRUST_200600_302600_NS16discard_iteratorINSD_11use_defaultEEENSD_5minusIiEEEE10hipError_tPvRmT2_T3_mT4_P12ihipStream_tbEUlmE_iEESB_NS0_8identityIvEEEESJ_SM_SN_mSO_SQ_bEUlT_E_NS1_11comp_targetILNS1_3genE10ELNS1_11target_archE1200ELNS1_3gpuE4ELNS1_3repE0EEENS1_30default_config_static_selectorELNS0_4arch9wavefront6targetE0EEEvT1_
	.p2align	8
	.type	_ZN7rocprim17ROCPRIM_400000_NS6detail17trampoline_kernelINS0_14default_configENS1_25transform_config_selectorIiLb0EEEZNS1_14transform_implILb0ES3_S5_NS0_18transform_iteratorINS0_17counting_iteratorImlEEZNS1_24adjacent_difference_implIS3_Lb1ELb0EPiN6thrust23THRUST_200600_302600_NS16discard_iteratorINSD_11use_defaultEEENSD_5minusIiEEEE10hipError_tPvRmT2_T3_mT4_P12ihipStream_tbEUlmE_iEESB_NS0_8identityIvEEEESJ_SM_SN_mSO_SQ_bEUlT_E_NS1_11comp_targetILNS1_3genE10ELNS1_11target_archE1200ELNS1_3gpuE4ELNS1_3repE0EEENS1_30default_config_static_selectorELNS0_4arch9wavefront6targetE0EEEvT1_,@function
_ZN7rocprim17ROCPRIM_400000_NS6detail17trampoline_kernelINS0_14default_configENS1_25transform_config_selectorIiLb0EEEZNS1_14transform_implILb0ES3_S5_NS0_18transform_iteratorINS0_17counting_iteratorImlEEZNS1_24adjacent_difference_implIS3_Lb1ELb0EPiN6thrust23THRUST_200600_302600_NS16discard_iteratorINSD_11use_defaultEEENSD_5minusIiEEEE10hipError_tPvRmT2_T3_mT4_P12ihipStream_tbEUlmE_iEESB_NS0_8identityIvEEEESJ_SM_SN_mSO_SQ_bEUlT_E_NS1_11comp_targetILNS1_3genE10ELNS1_11target_archE1200ELNS1_3gpuE4ELNS1_3repE0EEENS1_30default_config_static_selectorELNS0_4arch9wavefront6targetE0EEEvT1_: ; @_ZN7rocprim17ROCPRIM_400000_NS6detail17trampoline_kernelINS0_14default_configENS1_25transform_config_selectorIiLb0EEEZNS1_14transform_implILb0ES3_S5_NS0_18transform_iteratorINS0_17counting_iteratorImlEEZNS1_24adjacent_difference_implIS3_Lb1ELb0EPiN6thrust23THRUST_200600_302600_NS16discard_iteratorINSD_11use_defaultEEENSD_5minusIiEEEE10hipError_tPvRmT2_T3_mT4_P12ihipStream_tbEUlmE_iEESB_NS0_8identityIvEEEESJ_SM_SN_mSO_SQ_bEUlT_E_NS1_11comp_targetILNS1_3genE10ELNS1_11target_archE1200ELNS1_3gpuE4ELNS1_3repE0EEENS1_30default_config_static_selectorELNS0_4arch9wavefront6targetE0EEEvT1_
; %bb.0:
	.section	.rodata,"a",@progbits
	.p2align	6, 0x0
	.amdhsa_kernel _ZN7rocprim17ROCPRIM_400000_NS6detail17trampoline_kernelINS0_14default_configENS1_25transform_config_selectorIiLb0EEEZNS1_14transform_implILb0ES3_S5_NS0_18transform_iteratorINS0_17counting_iteratorImlEEZNS1_24adjacent_difference_implIS3_Lb1ELb0EPiN6thrust23THRUST_200600_302600_NS16discard_iteratorINSD_11use_defaultEEENSD_5minusIiEEEE10hipError_tPvRmT2_T3_mT4_P12ihipStream_tbEUlmE_iEESB_NS0_8identityIvEEEESJ_SM_SN_mSO_SQ_bEUlT_E_NS1_11comp_targetILNS1_3genE10ELNS1_11target_archE1200ELNS1_3gpuE4ELNS1_3repE0EEENS1_30default_config_static_selectorELNS0_4arch9wavefront6targetE0EEEvT1_
		.amdhsa_group_segment_fixed_size 0
		.amdhsa_private_segment_fixed_size 0
		.amdhsa_kernarg_size 56
		.amdhsa_user_sgpr_count 15
		.amdhsa_user_sgpr_dispatch_ptr 0
		.amdhsa_user_sgpr_queue_ptr 0
		.amdhsa_user_sgpr_kernarg_segment_ptr 1
		.amdhsa_user_sgpr_dispatch_id 0
		.amdhsa_user_sgpr_private_segment_size 0
		.amdhsa_wavefront_size32 1
		.amdhsa_uses_dynamic_stack 0
		.amdhsa_enable_private_segment 0
		.amdhsa_system_sgpr_workgroup_id_x 1
		.amdhsa_system_sgpr_workgroup_id_y 0
		.amdhsa_system_sgpr_workgroup_id_z 0
		.amdhsa_system_sgpr_workgroup_info 0
		.amdhsa_system_vgpr_workitem_id 0
		.amdhsa_next_free_vgpr 1
		.amdhsa_next_free_sgpr 1
		.amdhsa_reserve_vcc 0
		.amdhsa_float_round_mode_32 0
		.amdhsa_float_round_mode_16_64 0
		.amdhsa_float_denorm_mode_32 3
		.amdhsa_float_denorm_mode_16_64 3
		.amdhsa_dx10_clamp 1
		.amdhsa_ieee_mode 1
		.amdhsa_fp16_overflow 0
		.amdhsa_workgroup_processor_mode 1
		.amdhsa_memory_ordered 1
		.amdhsa_forward_progress 0
		.amdhsa_shared_vgpr_count 0
		.amdhsa_exception_fp_ieee_invalid_op 0
		.amdhsa_exception_fp_denorm_src 0
		.amdhsa_exception_fp_ieee_div_zero 0
		.amdhsa_exception_fp_ieee_overflow 0
		.amdhsa_exception_fp_ieee_underflow 0
		.amdhsa_exception_fp_ieee_inexact 0
		.amdhsa_exception_int_div_zero 0
	.end_amdhsa_kernel
	.section	.text._ZN7rocprim17ROCPRIM_400000_NS6detail17trampoline_kernelINS0_14default_configENS1_25transform_config_selectorIiLb0EEEZNS1_14transform_implILb0ES3_S5_NS0_18transform_iteratorINS0_17counting_iteratorImlEEZNS1_24adjacent_difference_implIS3_Lb1ELb0EPiN6thrust23THRUST_200600_302600_NS16discard_iteratorINSD_11use_defaultEEENSD_5minusIiEEEE10hipError_tPvRmT2_T3_mT4_P12ihipStream_tbEUlmE_iEESB_NS0_8identityIvEEEESJ_SM_SN_mSO_SQ_bEUlT_E_NS1_11comp_targetILNS1_3genE10ELNS1_11target_archE1200ELNS1_3gpuE4ELNS1_3repE0EEENS1_30default_config_static_selectorELNS0_4arch9wavefront6targetE0EEEvT1_,"axG",@progbits,_ZN7rocprim17ROCPRIM_400000_NS6detail17trampoline_kernelINS0_14default_configENS1_25transform_config_selectorIiLb0EEEZNS1_14transform_implILb0ES3_S5_NS0_18transform_iteratorINS0_17counting_iteratorImlEEZNS1_24adjacent_difference_implIS3_Lb1ELb0EPiN6thrust23THRUST_200600_302600_NS16discard_iteratorINSD_11use_defaultEEENSD_5minusIiEEEE10hipError_tPvRmT2_T3_mT4_P12ihipStream_tbEUlmE_iEESB_NS0_8identityIvEEEESJ_SM_SN_mSO_SQ_bEUlT_E_NS1_11comp_targetILNS1_3genE10ELNS1_11target_archE1200ELNS1_3gpuE4ELNS1_3repE0EEENS1_30default_config_static_selectorELNS0_4arch9wavefront6targetE0EEEvT1_,comdat
.Lfunc_end881:
	.size	_ZN7rocprim17ROCPRIM_400000_NS6detail17trampoline_kernelINS0_14default_configENS1_25transform_config_selectorIiLb0EEEZNS1_14transform_implILb0ES3_S5_NS0_18transform_iteratorINS0_17counting_iteratorImlEEZNS1_24adjacent_difference_implIS3_Lb1ELb0EPiN6thrust23THRUST_200600_302600_NS16discard_iteratorINSD_11use_defaultEEENSD_5minusIiEEEE10hipError_tPvRmT2_T3_mT4_P12ihipStream_tbEUlmE_iEESB_NS0_8identityIvEEEESJ_SM_SN_mSO_SQ_bEUlT_E_NS1_11comp_targetILNS1_3genE10ELNS1_11target_archE1200ELNS1_3gpuE4ELNS1_3repE0EEENS1_30default_config_static_selectorELNS0_4arch9wavefront6targetE0EEEvT1_, .Lfunc_end881-_ZN7rocprim17ROCPRIM_400000_NS6detail17trampoline_kernelINS0_14default_configENS1_25transform_config_selectorIiLb0EEEZNS1_14transform_implILb0ES3_S5_NS0_18transform_iteratorINS0_17counting_iteratorImlEEZNS1_24adjacent_difference_implIS3_Lb1ELb0EPiN6thrust23THRUST_200600_302600_NS16discard_iteratorINSD_11use_defaultEEENSD_5minusIiEEEE10hipError_tPvRmT2_T3_mT4_P12ihipStream_tbEUlmE_iEESB_NS0_8identityIvEEEESJ_SM_SN_mSO_SQ_bEUlT_E_NS1_11comp_targetILNS1_3genE10ELNS1_11target_archE1200ELNS1_3gpuE4ELNS1_3repE0EEENS1_30default_config_static_selectorELNS0_4arch9wavefront6targetE0EEEvT1_
                                        ; -- End function
	.section	.AMDGPU.csdata,"",@progbits
; Kernel info:
; codeLenInByte = 0
; NumSgprs: 0
; NumVgprs: 0
; ScratchSize: 0
; MemoryBound: 0
; FloatMode: 240
; IeeeMode: 1
; LDSByteSize: 0 bytes/workgroup (compile time only)
; SGPRBlocks: 0
; VGPRBlocks: 0
; NumSGPRsForWavesPerEU: 1
; NumVGPRsForWavesPerEU: 1
; Occupancy: 16
; WaveLimiterHint : 0
; COMPUTE_PGM_RSRC2:SCRATCH_EN: 0
; COMPUTE_PGM_RSRC2:USER_SGPR: 15
; COMPUTE_PGM_RSRC2:TRAP_HANDLER: 0
; COMPUTE_PGM_RSRC2:TGID_X_EN: 1
; COMPUTE_PGM_RSRC2:TGID_Y_EN: 0
; COMPUTE_PGM_RSRC2:TGID_Z_EN: 0
; COMPUTE_PGM_RSRC2:TIDIG_COMP_CNT: 0
	.section	.text._ZN7rocprim17ROCPRIM_400000_NS6detail17trampoline_kernelINS0_14default_configENS1_25transform_config_selectorIiLb0EEEZNS1_14transform_implILb0ES3_S5_NS0_18transform_iteratorINS0_17counting_iteratorImlEEZNS1_24adjacent_difference_implIS3_Lb1ELb0EPiN6thrust23THRUST_200600_302600_NS16discard_iteratorINSD_11use_defaultEEENSD_5minusIiEEEE10hipError_tPvRmT2_T3_mT4_P12ihipStream_tbEUlmE_iEESB_NS0_8identityIvEEEESJ_SM_SN_mSO_SQ_bEUlT_E_NS1_11comp_targetILNS1_3genE9ELNS1_11target_archE1100ELNS1_3gpuE3ELNS1_3repE0EEENS1_30default_config_static_selectorELNS0_4arch9wavefront6targetE0EEEvT1_,"axG",@progbits,_ZN7rocprim17ROCPRIM_400000_NS6detail17trampoline_kernelINS0_14default_configENS1_25transform_config_selectorIiLb0EEEZNS1_14transform_implILb0ES3_S5_NS0_18transform_iteratorINS0_17counting_iteratorImlEEZNS1_24adjacent_difference_implIS3_Lb1ELb0EPiN6thrust23THRUST_200600_302600_NS16discard_iteratorINSD_11use_defaultEEENSD_5minusIiEEEE10hipError_tPvRmT2_T3_mT4_P12ihipStream_tbEUlmE_iEESB_NS0_8identityIvEEEESJ_SM_SN_mSO_SQ_bEUlT_E_NS1_11comp_targetILNS1_3genE9ELNS1_11target_archE1100ELNS1_3gpuE3ELNS1_3repE0EEENS1_30default_config_static_selectorELNS0_4arch9wavefront6targetE0EEEvT1_,comdat
	.protected	_ZN7rocprim17ROCPRIM_400000_NS6detail17trampoline_kernelINS0_14default_configENS1_25transform_config_selectorIiLb0EEEZNS1_14transform_implILb0ES3_S5_NS0_18transform_iteratorINS0_17counting_iteratorImlEEZNS1_24adjacent_difference_implIS3_Lb1ELb0EPiN6thrust23THRUST_200600_302600_NS16discard_iteratorINSD_11use_defaultEEENSD_5minusIiEEEE10hipError_tPvRmT2_T3_mT4_P12ihipStream_tbEUlmE_iEESB_NS0_8identityIvEEEESJ_SM_SN_mSO_SQ_bEUlT_E_NS1_11comp_targetILNS1_3genE9ELNS1_11target_archE1100ELNS1_3gpuE3ELNS1_3repE0EEENS1_30default_config_static_selectorELNS0_4arch9wavefront6targetE0EEEvT1_ ; -- Begin function _ZN7rocprim17ROCPRIM_400000_NS6detail17trampoline_kernelINS0_14default_configENS1_25transform_config_selectorIiLb0EEEZNS1_14transform_implILb0ES3_S5_NS0_18transform_iteratorINS0_17counting_iteratorImlEEZNS1_24adjacent_difference_implIS3_Lb1ELb0EPiN6thrust23THRUST_200600_302600_NS16discard_iteratorINSD_11use_defaultEEENSD_5minusIiEEEE10hipError_tPvRmT2_T3_mT4_P12ihipStream_tbEUlmE_iEESB_NS0_8identityIvEEEESJ_SM_SN_mSO_SQ_bEUlT_E_NS1_11comp_targetILNS1_3genE9ELNS1_11target_archE1100ELNS1_3gpuE3ELNS1_3repE0EEENS1_30default_config_static_selectorELNS0_4arch9wavefront6targetE0EEEvT1_
	.globl	_ZN7rocprim17ROCPRIM_400000_NS6detail17trampoline_kernelINS0_14default_configENS1_25transform_config_selectorIiLb0EEEZNS1_14transform_implILb0ES3_S5_NS0_18transform_iteratorINS0_17counting_iteratorImlEEZNS1_24adjacent_difference_implIS3_Lb1ELb0EPiN6thrust23THRUST_200600_302600_NS16discard_iteratorINSD_11use_defaultEEENSD_5minusIiEEEE10hipError_tPvRmT2_T3_mT4_P12ihipStream_tbEUlmE_iEESB_NS0_8identityIvEEEESJ_SM_SN_mSO_SQ_bEUlT_E_NS1_11comp_targetILNS1_3genE9ELNS1_11target_archE1100ELNS1_3gpuE3ELNS1_3repE0EEENS1_30default_config_static_selectorELNS0_4arch9wavefront6targetE0EEEvT1_
	.p2align	8
	.type	_ZN7rocprim17ROCPRIM_400000_NS6detail17trampoline_kernelINS0_14default_configENS1_25transform_config_selectorIiLb0EEEZNS1_14transform_implILb0ES3_S5_NS0_18transform_iteratorINS0_17counting_iteratorImlEEZNS1_24adjacent_difference_implIS3_Lb1ELb0EPiN6thrust23THRUST_200600_302600_NS16discard_iteratorINSD_11use_defaultEEENSD_5minusIiEEEE10hipError_tPvRmT2_T3_mT4_P12ihipStream_tbEUlmE_iEESB_NS0_8identityIvEEEESJ_SM_SN_mSO_SQ_bEUlT_E_NS1_11comp_targetILNS1_3genE9ELNS1_11target_archE1100ELNS1_3gpuE3ELNS1_3repE0EEENS1_30default_config_static_selectorELNS0_4arch9wavefront6targetE0EEEvT1_,@function
_ZN7rocprim17ROCPRIM_400000_NS6detail17trampoline_kernelINS0_14default_configENS1_25transform_config_selectorIiLb0EEEZNS1_14transform_implILb0ES3_S5_NS0_18transform_iteratorINS0_17counting_iteratorImlEEZNS1_24adjacent_difference_implIS3_Lb1ELb0EPiN6thrust23THRUST_200600_302600_NS16discard_iteratorINSD_11use_defaultEEENSD_5minusIiEEEE10hipError_tPvRmT2_T3_mT4_P12ihipStream_tbEUlmE_iEESB_NS0_8identityIvEEEESJ_SM_SN_mSO_SQ_bEUlT_E_NS1_11comp_targetILNS1_3genE9ELNS1_11target_archE1100ELNS1_3gpuE3ELNS1_3repE0EEENS1_30default_config_static_selectorELNS0_4arch9wavefront6targetE0EEEvT1_: ; @_ZN7rocprim17ROCPRIM_400000_NS6detail17trampoline_kernelINS0_14default_configENS1_25transform_config_selectorIiLb0EEEZNS1_14transform_implILb0ES3_S5_NS0_18transform_iteratorINS0_17counting_iteratorImlEEZNS1_24adjacent_difference_implIS3_Lb1ELb0EPiN6thrust23THRUST_200600_302600_NS16discard_iteratorINSD_11use_defaultEEENSD_5minusIiEEEE10hipError_tPvRmT2_T3_mT4_P12ihipStream_tbEUlmE_iEESB_NS0_8identityIvEEEESJ_SM_SN_mSO_SQ_bEUlT_E_NS1_11comp_targetILNS1_3genE9ELNS1_11target_archE1100ELNS1_3gpuE3ELNS1_3repE0EEENS1_30default_config_static_selectorELNS0_4arch9wavefront6targetE0EEEvT1_
; %bb.0:
	s_clause 0x4
	s_load_b128 s[4:7], s[0:1], 0x0
	s_load_b64 s[2:3], s[0:1], 0x18
	s_load_b64 s[12:13], s[0:1], 0x28
	s_load_b32 s11, s[0:1], 0x38
	s_load_b32 s8, s[0:1], 0x10
	s_waitcnt lgkmcnt(0)
	s_add_u32 s9, s2, s4
	s_addc_u32 s10, s3, s5
	s_lshl_b64 s[2:3], s[2:3], 2
	s_delay_alu instid0(SALU_CYCLE_1)
	s_add_u32 s4, s12, s2
	s_addc_u32 s5, s13, s3
	s_add_i32 s11, s11, -1
	s_lshl_b32 s2, s15, 6
	s_mov_b32 s3, 0
	s_cmp_lg_u32 s15, s11
	s_mov_b32 s11, -1
	s_cbranch_scc0 .LBB882_2
; %bb.1:
	s_add_u32 s11, s9, s2
	s_addc_u32 s12, s10, 0
	v_add_co_u32 v3, s11, s11, v0
	s_delay_alu instid0(VALU_DEP_1) | instskip(SKIP_1) | instid1(VALU_DEP_2)
	v_add_co_ci_u32_e64 v5, null, s12, 0, s11
	s_lshl_b64 s[12:13], s[2:3], 2
	v_mad_u64_u32 v[1:2], null, v3, s8, 0
	s_add_u32 s12, s4, s12
	s_addc_u32 s13, s5, s13
	s_mov_b32 s11, s3
	s_delay_alu instid0(VALU_DEP_1) | instskip(NEXT) | instid1(VALU_DEP_1)
	v_mad_u64_u32 v[3:4], null, v5, s8, v[2:3]
	v_mov_b32_e32 v2, v3
	s_delay_alu instid0(VALU_DEP_1) | instskip(NEXT) | instid1(VALU_DEP_1)
	v_lshlrev_b64 v[1:2], 2, v[1:2]
	v_add_co_u32 v1, vcc_lo, s6, v1
	s_delay_alu instid0(VALU_DEP_2)
	v_add_co_ci_u32_e32 v2, vcc_lo, s7, v2, vcc_lo
	global_load_b32 v1, v[1:2], off
	v_lshlrev_b32_e32 v2, 2, v0
	s_waitcnt vmcnt(0)
	global_store_b32 v2, v1, s[12:13]
.LBB882_2:
	s_and_not1_b32 vcc_lo, exec_lo, s11
	s_cbranch_vccnz .LBB882_7
; %bb.3:
	s_load_b32 s0, s[0:1], 0x20
                                        ; implicit-def: $vgpr1
	s_waitcnt lgkmcnt(0)
	s_sub_i32 s0, s0, s2
	s_delay_alu instid0(SALU_CYCLE_1)
	v_cmp_gt_u32_e32 vcc_lo, s0, v0
	s_and_saveexec_b32 s1, vcc_lo
	s_cbranch_execz .LBB882_5
; %bb.4:
	s_add_u32 s0, s9, s2
	s_addc_u32 s9, s10, 0
	v_add_co_u32 v3, s0, s0, v0
	s_delay_alu instid0(VALU_DEP_1) | instskip(NEXT) | instid1(VALU_DEP_2)
	v_add_co_ci_u32_e64 v5, null, s9, 0, s0
	v_mad_u64_u32 v[1:2], null, v3, s8, 0
	s_delay_alu instid0(VALU_DEP_1) | instskip(NEXT) | instid1(VALU_DEP_1)
	v_mad_u64_u32 v[3:4], null, v5, s8, v[2:3]
	v_mov_b32_e32 v2, v3
	s_delay_alu instid0(VALU_DEP_1) | instskip(NEXT) | instid1(VALU_DEP_1)
	v_lshlrev_b64 v[1:2], 2, v[1:2]
	v_add_co_u32 v1, s0, s6, v1
	s_delay_alu instid0(VALU_DEP_1)
	v_add_co_ci_u32_e64 v2, s0, s7, v2, s0
	global_load_b32 v1, v[1:2], off
.LBB882_5:
	s_or_b32 exec_lo, exec_lo, s1
	s_and_saveexec_b32 s0, vcc_lo
	s_cbranch_execz .LBB882_7
; %bb.6:
	s_lshl_b64 s[0:1], s[2:3], 2
	v_lshlrev_b32_e32 v0, 2, v0
	s_add_u32 s0, s4, s0
	s_addc_u32 s1, s5, s1
	s_waitcnt vmcnt(0)
	global_store_b32 v0, v1, s[0:1]
.LBB882_7:
	s_nop 0
	s_sendmsg sendmsg(MSG_DEALLOC_VGPRS)
	s_endpgm
	.section	.rodata,"a",@progbits
	.p2align	6, 0x0
	.amdhsa_kernel _ZN7rocprim17ROCPRIM_400000_NS6detail17trampoline_kernelINS0_14default_configENS1_25transform_config_selectorIiLb0EEEZNS1_14transform_implILb0ES3_S5_NS0_18transform_iteratorINS0_17counting_iteratorImlEEZNS1_24adjacent_difference_implIS3_Lb1ELb0EPiN6thrust23THRUST_200600_302600_NS16discard_iteratorINSD_11use_defaultEEENSD_5minusIiEEEE10hipError_tPvRmT2_T3_mT4_P12ihipStream_tbEUlmE_iEESB_NS0_8identityIvEEEESJ_SM_SN_mSO_SQ_bEUlT_E_NS1_11comp_targetILNS1_3genE9ELNS1_11target_archE1100ELNS1_3gpuE3ELNS1_3repE0EEENS1_30default_config_static_selectorELNS0_4arch9wavefront6targetE0EEEvT1_
		.amdhsa_group_segment_fixed_size 0
		.amdhsa_private_segment_fixed_size 0
		.amdhsa_kernarg_size 312
		.amdhsa_user_sgpr_count 15
		.amdhsa_user_sgpr_dispatch_ptr 0
		.amdhsa_user_sgpr_queue_ptr 0
		.amdhsa_user_sgpr_kernarg_segment_ptr 1
		.amdhsa_user_sgpr_dispatch_id 0
		.amdhsa_user_sgpr_private_segment_size 0
		.amdhsa_wavefront_size32 1
		.amdhsa_uses_dynamic_stack 0
		.amdhsa_enable_private_segment 0
		.amdhsa_system_sgpr_workgroup_id_x 1
		.amdhsa_system_sgpr_workgroup_id_y 0
		.amdhsa_system_sgpr_workgroup_id_z 0
		.amdhsa_system_sgpr_workgroup_info 0
		.amdhsa_system_vgpr_workitem_id 0
		.amdhsa_next_free_vgpr 6
		.amdhsa_next_free_sgpr 16
		.amdhsa_reserve_vcc 1
		.amdhsa_float_round_mode_32 0
		.amdhsa_float_round_mode_16_64 0
		.amdhsa_float_denorm_mode_32 3
		.amdhsa_float_denorm_mode_16_64 3
		.amdhsa_dx10_clamp 1
		.amdhsa_ieee_mode 1
		.amdhsa_fp16_overflow 0
		.amdhsa_workgroup_processor_mode 1
		.amdhsa_memory_ordered 1
		.amdhsa_forward_progress 0
		.amdhsa_shared_vgpr_count 0
		.amdhsa_exception_fp_ieee_invalid_op 0
		.amdhsa_exception_fp_denorm_src 0
		.amdhsa_exception_fp_ieee_div_zero 0
		.amdhsa_exception_fp_ieee_overflow 0
		.amdhsa_exception_fp_ieee_underflow 0
		.amdhsa_exception_fp_ieee_inexact 0
		.amdhsa_exception_int_div_zero 0
	.end_amdhsa_kernel
	.section	.text._ZN7rocprim17ROCPRIM_400000_NS6detail17trampoline_kernelINS0_14default_configENS1_25transform_config_selectorIiLb0EEEZNS1_14transform_implILb0ES3_S5_NS0_18transform_iteratorINS0_17counting_iteratorImlEEZNS1_24adjacent_difference_implIS3_Lb1ELb0EPiN6thrust23THRUST_200600_302600_NS16discard_iteratorINSD_11use_defaultEEENSD_5minusIiEEEE10hipError_tPvRmT2_T3_mT4_P12ihipStream_tbEUlmE_iEESB_NS0_8identityIvEEEESJ_SM_SN_mSO_SQ_bEUlT_E_NS1_11comp_targetILNS1_3genE9ELNS1_11target_archE1100ELNS1_3gpuE3ELNS1_3repE0EEENS1_30default_config_static_selectorELNS0_4arch9wavefront6targetE0EEEvT1_,"axG",@progbits,_ZN7rocprim17ROCPRIM_400000_NS6detail17trampoline_kernelINS0_14default_configENS1_25transform_config_selectorIiLb0EEEZNS1_14transform_implILb0ES3_S5_NS0_18transform_iteratorINS0_17counting_iteratorImlEEZNS1_24adjacent_difference_implIS3_Lb1ELb0EPiN6thrust23THRUST_200600_302600_NS16discard_iteratorINSD_11use_defaultEEENSD_5minusIiEEEE10hipError_tPvRmT2_T3_mT4_P12ihipStream_tbEUlmE_iEESB_NS0_8identityIvEEEESJ_SM_SN_mSO_SQ_bEUlT_E_NS1_11comp_targetILNS1_3genE9ELNS1_11target_archE1100ELNS1_3gpuE3ELNS1_3repE0EEENS1_30default_config_static_selectorELNS0_4arch9wavefront6targetE0EEEvT1_,comdat
.Lfunc_end882:
	.size	_ZN7rocprim17ROCPRIM_400000_NS6detail17trampoline_kernelINS0_14default_configENS1_25transform_config_selectorIiLb0EEEZNS1_14transform_implILb0ES3_S5_NS0_18transform_iteratorINS0_17counting_iteratorImlEEZNS1_24adjacent_difference_implIS3_Lb1ELb0EPiN6thrust23THRUST_200600_302600_NS16discard_iteratorINSD_11use_defaultEEENSD_5minusIiEEEE10hipError_tPvRmT2_T3_mT4_P12ihipStream_tbEUlmE_iEESB_NS0_8identityIvEEEESJ_SM_SN_mSO_SQ_bEUlT_E_NS1_11comp_targetILNS1_3genE9ELNS1_11target_archE1100ELNS1_3gpuE3ELNS1_3repE0EEENS1_30default_config_static_selectorELNS0_4arch9wavefront6targetE0EEEvT1_, .Lfunc_end882-_ZN7rocprim17ROCPRIM_400000_NS6detail17trampoline_kernelINS0_14default_configENS1_25transform_config_selectorIiLb0EEEZNS1_14transform_implILb0ES3_S5_NS0_18transform_iteratorINS0_17counting_iteratorImlEEZNS1_24adjacent_difference_implIS3_Lb1ELb0EPiN6thrust23THRUST_200600_302600_NS16discard_iteratorINSD_11use_defaultEEENSD_5minusIiEEEE10hipError_tPvRmT2_T3_mT4_P12ihipStream_tbEUlmE_iEESB_NS0_8identityIvEEEESJ_SM_SN_mSO_SQ_bEUlT_E_NS1_11comp_targetILNS1_3genE9ELNS1_11target_archE1100ELNS1_3gpuE3ELNS1_3repE0EEENS1_30default_config_static_selectorELNS0_4arch9wavefront6targetE0EEEvT1_
                                        ; -- End function
	.section	.AMDGPU.csdata,"",@progbits
; Kernel info:
; codeLenInByte = 400
; NumSgprs: 18
; NumVgprs: 6
; ScratchSize: 0
; MemoryBound: 0
; FloatMode: 240
; IeeeMode: 1
; LDSByteSize: 0 bytes/workgroup (compile time only)
; SGPRBlocks: 2
; VGPRBlocks: 0
; NumSGPRsForWavesPerEU: 18
; NumVGPRsForWavesPerEU: 6
; Occupancy: 16
; WaveLimiterHint : 0
; COMPUTE_PGM_RSRC2:SCRATCH_EN: 0
; COMPUTE_PGM_RSRC2:USER_SGPR: 15
; COMPUTE_PGM_RSRC2:TRAP_HANDLER: 0
; COMPUTE_PGM_RSRC2:TGID_X_EN: 1
; COMPUTE_PGM_RSRC2:TGID_Y_EN: 0
; COMPUTE_PGM_RSRC2:TGID_Z_EN: 0
; COMPUTE_PGM_RSRC2:TIDIG_COMP_CNT: 0
	.section	.text._ZN7rocprim17ROCPRIM_400000_NS6detail17trampoline_kernelINS0_14default_configENS1_25transform_config_selectorIiLb0EEEZNS1_14transform_implILb0ES3_S5_NS0_18transform_iteratorINS0_17counting_iteratorImlEEZNS1_24adjacent_difference_implIS3_Lb1ELb0EPiN6thrust23THRUST_200600_302600_NS16discard_iteratorINSD_11use_defaultEEENSD_5minusIiEEEE10hipError_tPvRmT2_T3_mT4_P12ihipStream_tbEUlmE_iEESB_NS0_8identityIvEEEESJ_SM_SN_mSO_SQ_bEUlT_E_NS1_11comp_targetILNS1_3genE8ELNS1_11target_archE1030ELNS1_3gpuE2ELNS1_3repE0EEENS1_30default_config_static_selectorELNS0_4arch9wavefront6targetE0EEEvT1_,"axG",@progbits,_ZN7rocprim17ROCPRIM_400000_NS6detail17trampoline_kernelINS0_14default_configENS1_25transform_config_selectorIiLb0EEEZNS1_14transform_implILb0ES3_S5_NS0_18transform_iteratorINS0_17counting_iteratorImlEEZNS1_24adjacent_difference_implIS3_Lb1ELb0EPiN6thrust23THRUST_200600_302600_NS16discard_iteratorINSD_11use_defaultEEENSD_5minusIiEEEE10hipError_tPvRmT2_T3_mT4_P12ihipStream_tbEUlmE_iEESB_NS0_8identityIvEEEESJ_SM_SN_mSO_SQ_bEUlT_E_NS1_11comp_targetILNS1_3genE8ELNS1_11target_archE1030ELNS1_3gpuE2ELNS1_3repE0EEENS1_30default_config_static_selectorELNS0_4arch9wavefront6targetE0EEEvT1_,comdat
	.protected	_ZN7rocprim17ROCPRIM_400000_NS6detail17trampoline_kernelINS0_14default_configENS1_25transform_config_selectorIiLb0EEEZNS1_14transform_implILb0ES3_S5_NS0_18transform_iteratorINS0_17counting_iteratorImlEEZNS1_24adjacent_difference_implIS3_Lb1ELb0EPiN6thrust23THRUST_200600_302600_NS16discard_iteratorINSD_11use_defaultEEENSD_5minusIiEEEE10hipError_tPvRmT2_T3_mT4_P12ihipStream_tbEUlmE_iEESB_NS0_8identityIvEEEESJ_SM_SN_mSO_SQ_bEUlT_E_NS1_11comp_targetILNS1_3genE8ELNS1_11target_archE1030ELNS1_3gpuE2ELNS1_3repE0EEENS1_30default_config_static_selectorELNS0_4arch9wavefront6targetE0EEEvT1_ ; -- Begin function _ZN7rocprim17ROCPRIM_400000_NS6detail17trampoline_kernelINS0_14default_configENS1_25transform_config_selectorIiLb0EEEZNS1_14transform_implILb0ES3_S5_NS0_18transform_iteratorINS0_17counting_iteratorImlEEZNS1_24adjacent_difference_implIS3_Lb1ELb0EPiN6thrust23THRUST_200600_302600_NS16discard_iteratorINSD_11use_defaultEEENSD_5minusIiEEEE10hipError_tPvRmT2_T3_mT4_P12ihipStream_tbEUlmE_iEESB_NS0_8identityIvEEEESJ_SM_SN_mSO_SQ_bEUlT_E_NS1_11comp_targetILNS1_3genE8ELNS1_11target_archE1030ELNS1_3gpuE2ELNS1_3repE0EEENS1_30default_config_static_selectorELNS0_4arch9wavefront6targetE0EEEvT1_
	.globl	_ZN7rocprim17ROCPRIM_400000_NS6detail17trampoline_kernelINS0_14default_configENS1_25transform_config_selectorIiLb0EEEZNS1_14transform_implILb0ES3_S5_NS0_18transform_iteratorINS0_17counting_iteratorImlEEZNS1_24adjacent_difference_implIS3_Lb1ELb0EPiN6thrust23THRUST_200600_302600_NS16discard_iteratorINSD_11use_defaultEEENSD_5minusIiEEEE10hipError_tPvRmT2_T3_mT4_P12ihipStream_tbEUlmE_iEESB_NS0_8identityIvEEEESJ_SM_SN_mSO_SQ_bEUlT_E_NS1_11comp_targetILNS1_3genE8ELNS1_11target_archE1030ELNS1_3gpuE2ELNS1_3repE0EEENS1_30default_config_static_selectorELNS0_4arch9wavefront6targetE0EEEvT1_
	.p2align	8
	.type	_ZN7rocprim17ROCPRIM_400000_NS6detail17trampoline_kernelINS0_14default_configENS1_25transform_config_selectorIiLb0EEEZNS1_14transform_implILb0ES3_S5_NS0_18transform_iteratorINS0_17counting_iteratorImlEEZNS1_24adjacent_difference_implIS3_Lb1ELb0EPiN6thrust23THRUST_200600_302600_NS16discard_iteratorINSD_11use_defaultEEENSD_5minusIiEEEE10hipError_tPvRmT2_T3_mT4_P12ihipStream_tbEUlmE_iEESB_NS0_8identityIvEEEESJ_SM_SN_mSO_SQ_bEUlT_E_NS1_11comp_targetILNS1_3genE8ELNS1_11target_archE1030ELNS1_3gpuE2ELNS1_3repE0EEENS1_30default_config_static_selectorELNS0_4arch9wavefront6targetE0EEEvT1_,@function
_ZN7rocprim17ROCPRIM_400000_NS6detail17trampoline_kernelINS0_14default_configENS1_25transform_config_selectorIiLb0EEEZNS1_14transform_implILb0ES3_S5_NS0_18transform_iteratorINS0_17counting_iteratorImlEEZNS1_24adjacent_difference_implIS3_Lb1ELb0EPiN6thrust23THRUST_200600_302600_NS16discard_iteratorINSD_11use_defaultEEENSD_5minusIiEEEE10hipError_tPvRmT2_T3_mT4_P12ihipStream_tbEUlmE_iEESB_NS0_8identityIvEEEESJ_SM_SN_mSO_SQ_bEUlT_E_NS1_11comp_targetILNS1_3genE8ELNS1_11target_archE1030ELNS1_3gpuE2ELNS1_3repE0EEENS1_30default_config_static_selectorELNS0_4arch9wavefront6targetE0EEEvT1_: ; @_ZN7rocprim17ROCPRIM_400000_NS6detail17trampoline_kernelINS0_14default_configENS1_25transform_config_selectorIiLb0EEEZNS1_14transform_implILb0ES3_S5_NS0_18transform_iteratorINS0_17counting_iteratorImlEEZNS1_24adjacent_difference_implIS3_Lb1ELb0EPiN6thrust23THRUST_200600_302600_NS16discard_iteratorINSD_11use_defaultEEENSD_5minusIiEEEE10hipError_tPvRmT2_T3_mT4_P12ihipStream_tbEUlmE_iEESB_NS0_8identityIvEEEESJ_SM_SN_mSO_SQ_bEUlT_E_NS1_11comp_targetILNS1_3genE8ELNS1_11target_archE1030ELNS1_3gpuE2ELNS1_3repE0EEENS1_30default_config_static_selectorELNS0_4arch9wavefront6targetE0EEEvT1_
; %bb.0:
	.section	.rodata,"a",@progbits
	.p2align	6, 0x0
	.amdhsa_kernel _ZN7rocprim17ROCPRIM_400000_NS6detail17trampoline_kernelINS0_14default_configENS1_25transform_config_selectorIiLb0EEEZNS1_14transform_implILb0ES3_S5_NS0_18transform_iteratorINS0_17counting_iteratorImlEEZNS1_24adjacent_difference_implIS3_Lb1ELb0EPiN6thrust23THRUST_200600_302600_NS16discard_iteratorINSD_11use_defaultEEENSD_5minusIiEEEE10hipError_tPvRmT2_T3_mT4_P12ihipStream_tbEUlmE_iEESB_NS0_8identityIvEEEESJ_SM_SN_mSO_SQ_bEUlT_E_NS1_11comp_targetILNS1_3genE8ELNS1_11target_archE1030ELNS1_3gpuE2ELNS1_3repE0EEENS1_30default_config_static_selectorELNS0_4arch9wavefront6targetE0EEEvT1_
		.amdhsa_group_segment_fixed_size 0
		.amdhsa_private_segment_fixed_size 0
		.amdhsa_kernarg_size 56
		.amdhsa_user_sgpr_count 15
		.amdhsa_user_sgpr_dispatch_ptr 0
		.amdhsa_user_sgpr_queue_ptr 0
		.amdhsa_user_sgpr_kernarg_segment_ptr 1
		.amdhsa_user_sgpr_dispatch_id 0
		.amdhsa_user_sgpr_private_segment_size 0
		.amdhsa_wavefront_size32 1
		.amdhsa_uses_dynamic_stack 0
		.amdhsa_enable_private_segment 0
		.amdhsa_system_sgpr_workgroup_id_x 1
		.amdhsa_system_sgpr_workgroup_id_y 0
		.amdhsa_system_sgpr_workgroup_id_z 0
		.amdhsa_system_sgpr_workgroup_info 0
		.amdhsa_system_vgpr_workitem_id 0
		.amdhsa_next_free_vgpr 1
		.amdhsa_next_free_sgpr 1
		.amdhsa_reserve_vcc 0
		.amdhsa_float_round_mode_32 0
		.amdhsa_float_round_mode_16_64 0
		.amdhsa_float_denorm_mode_32 3
		.amdhsa_float_denorm_mode_16_64 3
		.amdhsa_dx10_clamp 1
		.amdhsa_ieee_mode 1
		.amdhsa_fp16_overflow 0
		.amdhsa_workgroup_processor_mode 1
		.amdhsa_memory_ordered 1
		.amdhsa_forward_progress 0
		.amdhsa_shared_vgpr_count 0
		.amdhsa_exception_fp_ieee_invalid_op 0
		.amdhsa_exception_fp_denorm_src 0
		.amdhsa_exception_fp_ieee_div_zero 0
		.amdhsa_exception_fp_ieee_overflow 0
		.amdhsa_exception_fp_ieee_underflow 0
		.amdhsa_exception_fp_ieee_inexact 0
		.amdhsa_exception_int_div_zero 0
	.end_amdhsa_kernel
	.section	.text._ZN7rocprim17ROCPRIM_400000_NS6detail17trampoline_kernelINS0_14default_configENS1_25transform_config_selectorIiLb0EEEZNS1_14transform_implILb0ES3_S5_NS0_18transform_iteratorINS0_17counting_iteratorImlEEZNS1_24adjacent_difference_implIS3_Lb1ELb0EPiN6thrust23THRUST_200600_302600_NS16discard_iteratorINSD_11use_defaultEEENSD_5minusIiEEEE10hipError_tPvRmT2_T3_mT4_P12ihipStream_tbEUlmE_iEESB_NS0_8identityIvEEEESJ_SM_SN_mSO_SQ_bEUlT_E_NS1_11comp_targetILNS1_3genE8ELNS1_11target_archE1030ELNS1_3gpuE2ELNS1_3repE0EEENS1_30default_config_static_selectorELNS0_4arch9wavefront6targetE0EEEvT1_,"axG",@progbits,_ZN7rocprim17ROCPRIM_400000_NS6detail17trampoline_kernelINS0_14default_configENS1_25transform_config_selectorIiLb0EEEZNS1_14transform_implILb0ES3_S5_NS0_18transform_iteratorINS0_17counting_iteratorImlEEZNS1_24adjacent_difference_implIS3_Lb1ELb0EPiN6thrust23THRUST_200600_302600_NS16discard_iteratorINSD_11use_defaultEEENSD_5minusIiEEEE10hipError_tPvRmT2_T3_mT4_P12ihipStream_tbEUlmE_iEESB_NS0_8identityIvEEEESJ_SM_SN_mSO_SQ_bEUlT_E_NS1_11comp_targetILNS1_3genE8ELNS1_11target_archE1030ELNS1_3gpuE2ELNS1_3repE0EEENS1_30default_config_static_selectorELNS0_4arch9wavefront6targetE0EEEvT1_,comdat
.Lfunc_end883:
	.size	_ZN7rocprim17ROCPRIM_400000_NS6detail17trampoline_kernelINS0_14default_configENS1_25transform_config_selectorIiLb0EEEZNS1_14transform_implILb0ES3_S5_NS0_18transform_iteratorINS0_17counting_iteratorImlEEZNS1_24adjacent_difference_implIS3_Lb1ELb0EPiN6thrust23THRUST_200600_302600_NS16discard_iteratorINSD_11use_defaultEEENSD_5minusIiEEEE10hipError_tPvRmT2_T3_mT4_P12ihipStream_tbEUlmE_iEESB_NS0_8identityIvEEEESJ_SM_SN_mSO_SQ_bEUlT_E_NS1_11comp_targetILNS1_3genE8ELNS1_11target_archE1030ELNS1_3gpuE2ELNS1_3repE0EEENS1_30default_config_static_selectorELNS0_4arch9wavefront6targetE0EEEvT1_, .Lfunc_end883-_ZN7rocprim17ROCPRIM_400000_NS6detail17trampoline_kernelINS0_14default_configENS1_25transform_config_selectorIiLb0EEEZNS1_14transform_implILb0ES3_S5_NS0_18transform_iteratorINS0_17counting_iteratorImlEEZNS1_24adjacent_difference_implIS3_Lb1ELb0EPiN6thrust23THRUST_200600_302600_NS16discard_iteratorINSD_11use_defaultEEENSD_5minusIiEEEE10hipError_tPvRmT2_T3_mT4_P12ihipStream_tbEUlmE_iEESB_NS0_8identityIvEEEESJ_SM_SN_mSO_SQ_bEUlT_E_NS1_11comp_targetILNS1_3genE8ELNS1_11target_archE1030ELNS1_3gpuE2ELNS1_3repE0EEENS1_30default_config_static_selectorELNS0_4arch9wavefront6targetE0EEEvT1_
                                        ; -- End function
	.section	.AMDGPU.csdata,"",@progbits
; Kernel info:
; codeLenInByte = 0
; NumSgprs: 0
; NumVgprs: 0
; ScratchSize: 0
; MemoryBound: 0
; FloatMode: 240
; IeeeMode: 1
; LDSByteSize: 0 bytes/workgroup (compile time only)
; SGPRBlocks: 0
; VGPRBlocks: 0
; NumSGPRsForWavesPerEU: 1
; NumVGPRsForWavesPerEU: 1
; Occupancy: 16
; WaveLimiterHint : 0
; COMPUTE_PGM_RSRC2:SCRATCH_EN: 0
; COMPUTE_PGM_RSRC2:USER_SGPR: 15
; COMPUTE_PGM_RSRC2:TRAP_HANDLER: 0
; COMPUTE_PGM_RSRC2:TGID_X_EN: 1
; COMPUTE_PGM_RSRC2:TGID_Y_EN: 0
; COMPUTE_PGM_RSRC2:TGID_Z_EN: 0
; COMPUTE_PGM_RSRC2:TIDIG_COMP_CNT: 0
	.section	.text._ZN7rocprim17ROCPRIM_400000_NS6detail17trampoline_kernelINS0_14default_configENS1_35adjacent_difference_config_selectorILb1EiEEZNS1_24adjacent_difference_implIS3_Lb1ELb0EPiN6thrust23THRUST_200600_302600_NS16discard_iteratorINS9_11use_defaultEEENS9_5minusIiEEEE10hipError_tPvRmT2_T3_mT4_P12ihipStream_tbEUlT_E_NS1_11comp_targetILNS1_3genE0ELNS1_11target_archE4294967295ELNS1_3gpuE0ELNS1_3repE0EEENS1_30default_config_static_selectorELNS0_4arch9wavefront6targetE0EEEvT1_,"axG",@progbits,_ZN7rocprim17ROCPRIM_400000_NS6detail17trampoline_kernelINS0_14default_configENS1_35adjacent_difference_config_selectorILb1EiEEZNS1_24adjacent_difference_implIS3_Lb1ELb0EPiN6thrust23THRUST_200600_302600_NS16discard_iteratorINS9_11use_defaultEEENS9_5minusIiEEEE10hipError_tPvRmT2_T3_mT4_P12ihipStream_tbEUlT_E_NS1_11comp_targetILNS1_3genE0ELNS1_11target_archE4294967295ELNS1_3gpuE0ELNS1_3repE0EEENS1_30default_config_static_selectorELNS0_4arch9wavefront6targetE0EEEvT1_,comdat
	.protected	_ZN7rocprim17ROCPRIM_400000_NS6detail17trampoline_kernelINS0_14default_configENS1_35adjacent_difference_config_selectorILb1EiEEZNS1_24adjacent_difference_implIS3_Lb1ELb0EPiN6thrust23THRUST_200600_302600_NS16discard_iteratorINS9_11use_defaultEEENS9_5minusIiEEEE10hipError_tPvRmT2_T3_mT4_P12ihipStream_tbEUlT_E_NS1_11comp_targetILNS1_3genE0ELNS1_11target_archE4294967295ELNS1_3gpuE0ELNS1_3repE0EEENS1_30default_config_static_selectorELNS0_4arch9wavefront6targetE0EEEvT1_ ; -- Begin function _ZN7rocprim17ROCPRIM_400000_NS6detail17trampoline_kernelINS0_14default_configENS1_35adjacent_difference_config_selectorILb1EiEEZNS1_24adjacent_difference_implIS3_Lb1ELb0EPiN6thrust23THRUST_200600_302600_NS16discard_iteratorINS9_11use_defaultEEENS9_5minusIiEEEE10hipError_tPvRmT2_T3_mT4_P12ihipStream_tbEUlT_E_NS1_11comp_targetILNS1_3genE0ELNS1_11target_archE4294967295ELNS1_3gpuE0ELNS1_3repE0EEENS1_30default_config_static_selectorELNS0_4arch9wavefront6targetE0EEEvT1_
	.globl	_ZN7rocprim17ROCPRIM_400000_NS6detail17trampoline_kernelINS0_14default_configENS1_35adjacent_difference_config_selectorILb1EiEEZNS1_24adjacent_difference_implIS3_Lb1ELb0EPiN6thrust23THRUST_200600_302600_NS16discard_iteratorINS9_11use_defaultEEENS9_5minusIiEEEE10hipError_tPvRmT2_T3_mT4_P12ihipStream_tbEUlT_E_NS1_11comp_targetILNS1_3genE0ELNS1_11target_archE4294967295ELNS1_3gpuE0ELNS1_3repE0EEENS1_30default_config_static_selectorELNS0_4arch9wavefront6targetE0EEEvT1_
	.p2align	8
	.type	_ZN7rocprim17ROCPRIM_400000_NS6detail17trampoline_kernelINS0_14default_configENS1_35adjacent_difference_config_selectorILb1EiEEZNS1_24adjacent_difference_implIS3_Lb1ELb0EPiN6thrust23THRUST_200600_302600_NS16discard_iteratorINS9_11use_defaultEEENS9_5minusIiEEEE10hipError_tPvRmT2_T3_mT4_P12ihipStream_tbEUlT_E_NS1_11comp_targetILNS1_3genE0ELNS1_11target_archE4294967295ELNS1_3gpuE0ELNS1_3repE0EEENS1_30default_config_static_selectorELNS0_4arch9wavefront6targetE0EEEvT1_,@function
_ZN7rocprim17ROCPRIM_400000_NS6detail17trampoline_kernelINS0_14default_configENS1_35adjacent_difference_config_selectorILb1EiEEZNS1_24adjacent_difference_implIS3_Lb1ELb0EPiN6thrust23THRUST_200600_302600_NS16discard_iteratorINS9_11use_defaultEEENS9_5minusIiEEEE10hipError_tPvRmT2_T3_mT4_P12ihipStream_tbEUlT_E_NS1_11comp_targetILNS1_3genE0ELNS1_11target_archE4294967295ELNS1_3gpuE0ELNS1_3repE0EEENS1_30default_config_static_selectorELNS0_4arch9wavefront6targetE0EEEvT1_: ; @_ZN7rocprim17ROCPRIM_400000_NS6detail17trampoline_kernelINS0_14default_configENS1_35adjacent_difference_config_selectorILb1EiEEZNS1_24adjacent_difference_implIS3_Lb1ELb0EPiN6thrust23THRUST_200600_302600_NS16discard_iteratorINS9_11use_defaultEEENS9_5minusIiEEEE10hipError_tPvRmT2_T3_mT4_P12ihipStream_tbEUlT_E_NS1_11comp_targetILNS1_3genE0ELNS1_11target_archE4294967295ELNS1_3gpuE0ELNS1_3repE0EEENS1_30default_config_static_selectorELNS0_4arch9wavefront6targetE0EEEvT1_
; %bb.0:
	.section	.rodata,"a",@progbits
	.p2align	6, 0x0
	.amdhsa_kernel _ZN7rocprim17ROCPRIM_400000_NS6detail17trampoline_kernelINS0_14default_configENS1_35adjacent_difference_config_selectorILb1EiEEZNS1_24adjacent_difference_implIS3_Lb1ELb0EPiN6thrust23THRUST_200600_302600_NS16discard_iteratorINS9_11use_defaultEEENS9_5minusIiEEEE10hipError_tPvRmT2_T3_mT4_P12ihipStream_tbEUlT_E_NS1_11comp_targetILNS1_3genE0ELNS1_11target_archE4294967295ELNS1_3gpuE0ELNS1_3repE0EEENS1_30default_config_static_selectorELNS0_4arch9wavefront6targetE0EEEvT1_
		.amdhsa_group_segment_fixed_size 0
		.amdhsa_private_segment_fixed_size 0
		.amdhsa_kernarg_size 64
		.amdhsa_user_sgpr_count 15
		.amdhsa_user_sgpr_dispatch_ptr 0
		.amdhsa_user_sgpr_queue_ptr 0
		.amdhsa_user_sgpr_kernarg_segment_ptr 1
		.amdhsa_user_sgpr_dispatch_id 0
		.amdhsa_user_sgpr_private_segment_size 0
		.amdhsa_wavefront_size32 1
		.amdhsa_uses_dynamic_stack 0
		.amdhsa_enable_private_segment 0
		.amdhsa_system_sgpr_workgroup_id_x 1
		.amdhsa_system_sgpr_workgroup_id_y 0
		.amdhsa_system_sgpr_workgroup_id_z 0
		.amdhsa_system_sgpr_workgroup_info 0
		.amdhsa_system_vgpr_workitem_id 0
		.amdhsa_next_free_vgpr 1
		.amdhsa_next_free_sgpr 1
		.amdhsa_reserve_vcc 0
		.amdhsa_float_round_mode_32 0
		.amdhsa_float_round_mode_16_64 0
		.amdhsa_float_denorm_mode_32 3
		.amdhsa_float_denorm_mode_16_64 3
		.amdhsa_dx10_clamp 1
		.amdhsa_ieee_mode 1
		.amdhsa_fp16_overflow 0
		.amdhsa_workgroup_processor_mode 1
		.amdhsa_memory_ordered 1
		.amdhsa_forward_progress 0
		.amdhsa_shared_vgpr_count 0
		.amdhsa_exception_fp_ieee_invalid_op 0
		.amdhsa_exception_fp_denorm_src 0
		.amdhsa_exception_fp_ieee_div_zero 0
		.amdhsa_exception_fp_ieee_overflow 0
		.amdhsa_exception_fp_ieee_underflow 0
		.amdhsa_exception_fp_ieee_inexact 0
		.amdhsa_exception_int_div_zero 0
	.end_amdhsa_kernel
	.section	.text._ZN7rocprim17ROCPRIM_400000_NS6detail17trampoline_kernelINS0_14default_configENS1_35adjacent_difference_config_selectorILb1EiEEZNS1_24adjacent_difference_implIS3_Lb1ELb0EPiN6thrust23THRUST_200600_302600_NS16discard_iteratorINS9_11use_defaultEEENS9_5minusIiEEEE10hipError_tPvRmT2_T3_mT4_P12ihipStream_tbEUlT_E_NS1_11comp_targetILNS1_3genE0ELNS1_11target_archE4294967295ELNS1_3gpuE0ELNS1_3repE0EEENS1_30default_config_static_selectorELNS0_4arch9wavefront6targetE0EEEvT1_,"axG",@progbits,_ZN7rocprim17ROCPRIM_400000_NS6detail17trampoline_kernelINS0_14default_configENS1_35adjacent_difference_config_selectorILb1EiEEZNS1_24adjacent_difference_implIS3_Lb1ELb0EPiN6thrust23THRUST_200600_302600_NS16discard_iteratorINS9_11use_defaultEEENS9_5minusIiEEEE10hipError_tPvRmT2_T3_mT4_P12ihipStream_tbEUlT_E_NS1_11comp_targetILNS1_3genE0ELNS1_11target_archE4294967295ELNS1_3gpuE0ELNS1_3repE0EEENS1_30default_config_static_selectorELNS0_4arch9wavefront6targetE0EEEvT1_,comdat
.Lfunc_end884:
	.size	_ZN7rocprim17ROCPRIM_400000_NS6detail17trampoline_kernelINS0_14default_configENS1_35adjacent_difference_config_selectorILb1EiEEZNS1_24adjacent_difference_implIS3_Lb1ELb0EPiN6thrust23THRUST_200600_302600_NS16discard_iteratorINS9_11use_defaultEEENS9_5minusIiEEEE10hipError_tPvRmT2_T3_mT4_P12ihipStream_tbEUlT_E_NS1_11comp_targetILNS1_3genE0ELNS1_11target_archE4294967295ELNS1_3gpuE0ELNS1_3repE0EEENS1_30default_config_static_selectorELNS0_4arch9wavefront6targetE0EEEvT1_, .Lfunc_end884-_ZN7rocprim17ROCPRIM_400000_NS6detail17trampoline_kernelINS0_14default_configENS1_35adjacent_difference_config_selectorILb1EiEEZNS1_24adjacent_difference_implIS3_Lb1ELb0EPiN6thrust23THRUST_200600_302600_NS16discard_iteratorINS9_11use_defaultEEENS9_5minusIiEEEE10hipError_tPvRmT2_T3_mT4_P12ihipStream_tbEUlT_E_NS1_11comp_targetILNS1_3genE0ELNS1_11target_archE4294967295ELNS1_3gpuE0ELNS1_3repE0EEENS1_30default_config_static_selectorELNS0_4arch9wavefront6targetE0EEEvT1_
                                        ; -- End function
	.section	.AMDGPU.csdata,"",@progbits
; Kernel info:
; codeLenInByte = 0
; NumSgprs: 0
; NumVgprs: 0
; ScratchSize: 0
; MemoryBound: 0
; FloatMode: 240
; IeeeMode: 1
; LDSByteSize: 0 bytes/workgroup (compile time only)
; SGPRBlocks: 0
; VGPRBlocks: 0
; NumSGPRsForWavesPerEU: 1
; NumVGPRsForWavesPerEU: 1
; Occupancy: 16
; WaveLimiterHint : 0
; COMPUTE_PGM_RSRC2:SCRATCH_EN: 0
; COMPUTE_PGM_RSRC2:USER_SGPR: 15
; COMPUTE_PGM_RSRC2:TRAP_HANDLER: 0
; COMPUTE_PGM_RSRC2:TGID_X_EN: 1
; COMPUTE_PGM_RSRC2:TGID_Y_EN: 0
; COMPUTE_PGM_RSRC2:TGID_Z_EN: 0
; COMPUTE_PGM_RSRC2:TIDIG_COMP_CNT: 0
	.section	.text._ZN7rocprim17ROCPRIM_400000_NS6detail17trampoline_kernelINS0_14default_configENS1_35adjacent_difference_config_selectorILb1EiEEZNS1_24adjacent_difference_implIS3_Lb1ELb0EPiN6thrust23THRUST_200600_302600_NS16discard_iteratorINS9_11use_defaultEEENS9_5minusIiEEEE10hipError_tPvRmT2_T3_mT4_P12ihipStream_tbEUlT_E_NS1_11comp_targetILNS1_3genE10ELNS1_11target_archE1201ELNS1_3gpuE5ELNS1_3repE0EEENS1_30default_config_static_selectorELNS0_4arch9wavefront6targetE0EEEvT1_,"axG",@progbits,_ZN7rocprim17ROCPRIM_400000_NS6detail17trampoline_kernelINS0_14default_configENS1_35adjacent_difference_config_selectorILb1EiEEZNS1_24adjacent_difference_implIS3_Lb1ELb0EPiN6thrust23THRUST_200600_302600_NS16discard_iteratorINS9_11use_defaultEEENS9_5minusIiEEEE10hipError_tPvRmT2_T3_mT4_P12ihipStream_tbEUlT_E_NS1_11comp_targetILNS1_3genE10ELNS1_11target_archE1201ELNS1_3gpuE5ELNS1_3repE0EEENS1_30default_config_static_selectorELNS0_4arch9wavefront6targetE0EEEvT1_,comdat
	.protected	_ZN7rocprim17ROCPRIM_400000_NS6detail17trampoline_kernelINS0_14default_configENS1_35adjacent_difference_config_selectorILb1EiEEZNS1_24adjacent_difference_implIS3_Lb1ELb0EPiN6thrust23THRUST_200600_302600_NS16discard_iteratorINS9_11use_defaultEEENS9_5minusIiEEEE10hipError_tPvRmT2_T3_mT4_P12ihipStream_tbEUlT_E_NS1_11comp_targetILNS1_3genE10ELNS1_11target_archE1201ELNS1_3gpuE5ELNS1_3repE0EEENS1_30default_config_static_selectorELNS0_4arch9wavefront6targetE0EEEvT1_ ; -- Begin function _ZN7rocprim17ROCPRIM_400000_NS6detail17trampoline_kernelINS0_14default_configENS1_35adjacent_difference_config_selectorILb1EiEEZNS1_24adjacent_difference_implIS3_Lb1ELb0EPiN6thrust23THRUST_200600_302600_NS16discard_iteratorINS9_11use_defaultEEENS9_5minusIiEEEE10hipError_tPvRmT2_T3_mT4_P12ihipStream_tbEUlT_E_NS1_11comp_targetILNS1_3genE10ELNS1_11target_archE1201ELNS1_3gpuE5ELNS1_3repE0EEENS1_30default_config_static_selectorELNS0_4arch9wavefront6targetE0EEEvT1_
	.globl	_ZN7rocprim17ROCPRIM_400000_NS6detail17trampoline_kernelINS0_14default_configENS1_35adjacent_difference_config_selectorILb1EiEEZNS1_24adjacent_difference_implIS3_Lb1ELb0EPiN6thrust23THRUST_200600_302600_NS16discard_iteratorINS9_11use_defaultEEENS9_5minusIiEEEE10hipError_tPvRmT2_T3_mT4_P12ihipStream_tbEUlT_E_NS1_11comp_targetILNS1_3genE10ELNS1_11target_archE1201ELNS1_3gpuE5ELNS1_3repE0EEENS1_30default_config_static_selectorELNS0_4arch9wavefront6targetE0EEEvT1_
	.p2align	8
	.type	_ZN7rocprim17ROCPRIM_400000_NS6detail17trampoline_kernelINS0_14default_configENS1_35adjacent_difference_config_selectorILb1EiEEZNS1_24adjacent_difference_implIS3_Lb1ELb0EPiN6thrust23THRUST_200600_302600_NS16discard_iteratorINS9_11use_defaultEEENS9_5minusIiEEEE10hipError_tPvRmT2_T3_mT4_P12ihipStream_tbEUlT_E_NS1_11comp_targetILNS1_3genE10ELNS1_11target_archE1201ELNS1_3gpuE5ELNS1_3repE0EEENS1_30default_config_static_selectorELNS0_4arch9wavefront6targetE0EEEvT1_,@function
_ZN7rocprim17ROCPRIM_400000_NS6detail17trampoline_kernelINS0_14default_configENS1_35adjacent_difference_config_selectorILb1EiEEZNS1_24adjacent_difference_implIS3_Lb1ELb0EPiN6thrust23THRUST_200600_302600_NS16discard_iteratorINS9_11use_defaultEEENS9_5minusIiEEEE10hipError_tPvRmT2_T3_mT4_P12ihipStream_tbEUlT_E_NS1_11comp_targetILNS1_3genE10ELNS1_11target_archE1201ELNS1_3gpuE5ELNS1_3repE0EEENS1_30default_config_static_selectorELNS0_4arch9wavefront6targetE0EEEvT1_: ; @_ZN7rocprim17ROCPRIM_400000_NS6detail17trampoline_kernelINS0_14default_configENS1_35adjacent_difference_config_selectorILb1EiEEZNS1_24adjacent_difference_implIS3_Lb1ELb0EPiN6thrust23THRUST_200600_302600_NS16discard_iteratorINS9_11use_defaultEEENS9_5minusIiEEEE10hipError_tPvRmT2_T3_mT4_P12ihipStream_tbEUlT_E_NS1_11comp_targetILNS1_3genE10ELNS1_11target_archE1201ELNS1_3gpuE5ELNS1_3repE0EEENS1_30default_config_static_selectorELNS0_4arch9wavefront6targetE0EEEvT1_
; %bb.0:
	.section	.rodata,"a",@progbits
	.p2align	6, 0x0
	.amdhsa_kernel _ZN7rocprim17ROCPRIM_400000_NS6detail17trampoline_kernelINS0_14default_configENS1_35adjacent_difference_config_selectorILb1EiEEZNS1_24adjacent_difference_implIS3_Lb1ELb0EPiN6thrust23THRUST_200600_302600_NS16discard_iteratorINS9_11use_defaultEEENS9_5minusIiEEEE10hipError_tPvRmT2_T3_mT4_P12ihipStream_tbEUlT_E_NS1_11comp_targetILNS1_3genE10ELNS1_11target_archE1201ELNS1_3gpuE5ELNS1_3repE0EEENS1_30default_config_static_selectorELNS0_4arch9wavefront6targetE0EEEvT1_
		.amdhsa_group_segment_fixed_size 0
		.amdhsa_private_segment_fixed_size 0
		.amdhsa_kernarg_size 64
		.amdhsa_user_sgpr_count 15
		.amdhsa_user_sgpr_dispatch_ptr 0
		.amdhsa_user_sgpr_queue_ptr 0
		.amdhsa_user_sgpr_kernarg_segment_ptr 1
		.amdhsa_user_sgpr_dispatch_id 0
		.amdhsa_user_sgpr_private_segment_size 0
		.amdhsa_wavefront_size32 1
		.amdhsa_uses_dynamic_stack 0
		.amdhsa_enable_private_segment 0
		.amdhsa_system_sgpr_workgroup_id_x 1
		.amdhsa_system_sgpr_workgroup_id_y 0
		.amdhsa_system_sgpr_workgroup_id_z 0
		.amdhsa_system_sgpr_workgroup_info 0
		.amdhsa_system_vgpr_workitem_id 0
		.amdhsa_next_free_vgpr 1
		.amdhsa_next_free_sgpr 1
		.amdhsa_reserve_vcc 0
		.amdhsa_float_round_mode_32 0
		.amdhsa_float_round_mode_16_64 0
		.amdhsa_float_denorm_mode_32 3
		.amdhsa_float_denorm_mode_16_64 3
		.amdhsa_dx10_clamp 1
		.amdhsa_ieee_mode 1
		.amdhsa_fp16_overflow 0
		.amdhsa_workgroup_processor_mode 1
		.amdhsa_memory_ordered 1
		.amdhsa_forward_progress 0
		.amdhsa_shared_vgpr_count 0
		.amdhsa_exception_fp_ieee_invalid_op 0
		.amdhsa_exception_fp_denorm_src 0
		.amdhsa_exception_fp_ieee_div_zero 0
		.amdhsa_exception_fp_ieee_overflow 0
		.amdhsa_exception_fp_ieee_underflow 0
		.amdhsa_exception_fp_ieee_inexact 0
		.amdhsa_exception_int_div_zero 0
	.end_amdhsa_kernel
	.section	.text._ZN7rocprim17ROCPRIM_400000_NS6detail17trampoline_kernelINS0_14default_configENS1_35adjacent_difference_config_selectorILb1EiEEZNS1_24adjacent_difference_implIS3_Lb1ELb0EPiN6thrust23THRUST_200600_302600_NS16discard_iteratorINS9_11use_defaultEEENS9_5minusIiEEEE10hipError_tPvRmT2_T3_mT4_P12ihipStream_tbEUlT_E_NS1_11comp_targetILNS1_3genE10ELNS1_11target_archE1201ELNS1_3gpuE5ELNS1_3repE0EEENS1_30default_config_static_selectorELNS0_4arch9wavefront6targetE0EEEvT1_,"axG",@progbits,_ZN7rocprim17ROCPRIM_400000_NS6detail17trampoline_kernelINS0_14default_configENS1_35adjacent_difference_config_selectorILb1EiEEZNS1_24adjacent_difference_implIS3_Lb1ELb0EPiN6thrust23THRUST_200600_302600_NS16discard_iteratorINS9_11use_defaultEEENS9_5minusIiEEEE10hipError_tPvRmT2_T3_mT4_P12ihipStream_tbEUlT_E_NS1_11comp_targetILNS1_3genE10ELNS1_11target_archE1201ELNS1_3gpuE5ELNS1_3repE0EEENS1_30default_config_static_selectorELNS0_4arch9wavefront6targetE0EEEvT1_,comdat
.Lfunc_end885:
	.size	_ZN7rocprim17ROCPRIM_400000_NS6detail17trampoline_kernelINS0_14default_configENS1_35adjacent_difference_config_selectorILb1EiEEZNS1_24adjacent_difference_implIS3_Lb1ELb0EPiN6thrust23THRUST_200600_302600_NS16discard_iteratorINS9_11use_defaultEEENS9_5minusIiEEEE10hipError_tPvRmT2_T3_mT4_P12ihipStream_tbEUlT_E_NS1_11comp_targetILNS1_3genE10ELNS1_11target_archE1201ELNS1_3gpuE5ELNS1_3repE0EEENS1_30default_config_static_selectorELNS0_4arch9wavefront6targetE0EEEvT1_, .Lfunc_end885-_ZN7rocprim17ROCPRIM_400000_NS6detail17trampoline_kernelINS0_14default_configENS1_35adjacent_difference_config_selectorILb1EiEEZNS1_24adjacent_difference_implIS3_Lb1ELb0EPiN6thrust23THRUST_200600_302600_NS16discard_iteratorINS9_11use_defaultEEENS9_5minusIiEEEE10hipError_tPvRmT2_T3_mT4_P12ihipStream_tbEUlT_E_NS1_11comp_targetILNS1_3genE10ELNS1_11target_archE1201ELNS1_3gpuE5ELNS1_3repE0EEENS1_30default_config_static_selectorELNS0_4arch9wavefront6targetE0EEEvT1_
                                        ; -- End function
	.section	.AMDGPU.csdata,"",@progbits
; Kernel info:
; codeLenInByte = 0
; NumSgprs: 0
; NumVgprs: 0
; ScratchSize: 0
; MemoryBound: 0
; FloatMode: 240
; IeeeMode: 1
; LDSByteSize: 0 bytes/workgroup (compile time only)
; SGPRBlocks: 0
; VGPRBlocks: 0
; NumSGPRsForWavesPerEU: 1
; NumVGPRsForWavesPerEU: 1
; Occupancy: 16
; WaveLimiterHint : 0
; COMPUTE_PGM_RSRC2:SCRATCH_EN: 0
; COMPUTE_PGM_RSRC2:USER_SGPR: 15
; COMPUTE_PGM_RSRC2:TRAP_HANDLER: 0
; COMPUTE_PGM_RSRC2:TGID_X_EN: 1
; COMPUTE_PGM_RSRC2:TGID_Y_EN: 0
; COMPUTE_PGM_RSRC2:TGID_Z_EN: 0
; COMPUTE_PGM_RSRC2:TIDIG_COMP_CNT: 0
	.section	.text._ZN7rocprim17ROCPRIM_400000_NS6detail17trampoline_kernelINS0_14default_configENS1_35adjacent_difference_config_selectorILb1EiEEZNS1_24adjacent_difference_implIS3_Lb1ELb0EPiN6thrust23THRUST_200600_302600_NS16discard_iteratorINS9_11use_defaultEEENS9_5minusIiEEEE10hipError_tPvRmT2_T3_mT4_P12ihipStream_tbEUlT_E_NS1_11comp_targetILNS1_3genE5ELNS1_11target_archE942ELNS1_3gpuE9ELNS1_3repE0EEENS1_30default_config_static_selectorELNS0_4arch9wavefront6targetE0EEEvT1_,"axG",@progbits,_ZN7rocprim17ROCPRIM_400000_NS6detail17trampoline_kernelINS0_14default_configENS1_35adjacent_difference_config_selectorILb1EiEEZNS1_24adjacent_difference_implIS3_Lb1ELb0EPiN6thrust23THRUST_200600_302600_NS16discard_iteratorINS9_11use_defaultEEENS9_5minusIiEEEE10hipError_tPvRmT2_T3_mT4_P12ihipStream_tbEUlT_E_NS1_11comp_targetILNS1_3genE5ELNS1_11target_archE942ELNS1_3gpuE9ELNS1_3repE0EEENS1_30default_config_static_selectorELNS0_4arch9wavefront6targetE0EEEvT1_,comdat
	.protected	_ZN7rocprim17ROCPRIM_400000_NS6detail17trampoline_kernelINS0_14default_configENS1_35adjacent_difference_config_selectorILb1EiEEZNS1_24adjacent_difference_implIS3_Lb1ELb0EPiN6thrust23THRUST_200600_302600_NS16discard_iteratorINS9_11use_defaultEEENS9_5minusIiEEEE10hipError_tPvRmT2_T3_mT4_P12ihipStream_tbEUlT_E_NS1_11comp_targetILNS1_3genE5ELNS1_11target_archE942ELNS1_3gpuE9ELNS1_3repE0EEENS1_30default_config_static_selectorELNS0_4arch9wavefront6targetE0EEEvT1_ ; -- Begin function _ZN7rocprim17ROCPRIM_400000_NS6detail17trampoline_kernelINS0_14default_configENS1_35adjacent_difference_config_selectorILb1EiEEZNS1_24adjacent_difference_implIS3_Lb1ELb0EPiN6thrust23THRUST_200600_302600_NS16discard_iteratorINS9_11use_defaultEEENS9_5minusIiEEEE10hipError_tPvRmT2_T3_mT4_P12ihipStream_tbEUlT_E_NS1_11comp_targetILNS1_3genE5ELNS1_11target_archE942ELNS1_3gpuE9ELNS1_3repE0EEENS1_30default_config_static_selectorELNS0_4arch9wavefront6targetE0EEEvT1_
	.globl	_ZN7rocprim17ROCPRIM_400000_NS6detail17trampoline_kernelINS0_14default_configENS1_35adjacent_difference_config_selectorILb1EiEEZNS1_24adjacent_difference_implIS3_Lb1ELb0EPiN6thrust23THRUST_200600_302600_NS16discard_iteratorINS9_11use_defaultEEENS9_5minusIiEEEE10hipError_tPvRmT2_T3_mT4_P12ihipStream_tbEUlT_E_NS1_11comp_targetILNS1_3genE5ELNS1_11target_archE942ELNS1_3gpuE9ELNS1_3repE0EEENS1_30default_config_static_selectorELNS0_4arch9wavefront6targetE0EEEvT1_
	.p2align	8
	.type	_ZN7rocprim17ROCPRIM_400000_NS6detail17trampoline_kernelINS0_14default_configENS1_35adjacent_difference_config_selectorILb1EiEEZNS1_24adjacent_difference_implIS3_Lb1ELb0EPiN6thrust23THRUST_200600_302600_NS16discard_iteratorINS9_11use_defaultEEENS9_5minusIiEEEE10hipError_tPvRmT2_T3_mT4_P12ihipStream_tbEUlT_E_NS1_11comp_targetILNS1_3genE5ELNS1_11target_archE942ELNS1_3gpuE9ELNS1_3repE0EEENS1_30default_config_static_selectorELNS0_4arch9wavefront6targetE0EEEvT1_,@function
_ZN7rocprim17ROCPRIM_400000_NS6detail17trampoline_kernelINS0_14default_configENS1_35adjacent_difference_config_selectorILb1EiEEZNS1_24adjacent_difference_implIS3_Lb1ELb0EPiN6thrust23THRUST_200600_302600_NS16discard_iteratorINS9_11use_defaultEEENS9_5minusIiEEEE10hipError_tPvRmT2_T3_mT4_P12ihipStream_tbEUlT_E_NS1_11comp_targetILNS1_3genE5ELNS1_11target_archE942ELNS1_3gpuE9ELNS1_3repE0EEENS1_30default_config_static_selectorELNS0_4arch9wavefront6targetE0EEEvT1_: ; @_ZN7rocprim17ROCPRIM_400000_NS6detail17trampoline_kernelINS0_14default_configENS1_35adjacent_difference_config_selectorILb1EiEEZNS1_24adjacent_difference_implIS3_Lb1ELb0EPiN6thrust23THRUST_200600_302600_NS16discard_iteratorINS9_11use_defaultEEENS9_5minusIiEEEE10hipError_tPvRmT2_T3_mT4_P12ihipStream_tbEUlT_E_NS1_11comp_targetILNS1_3genE5ELNS1_11target_archE942ELNS1_3gpuE9ELNS1_3repE0EEENS1_30default_config_static_selectorELNS0_4arch9wavefront6targetE0EEEvT1_
; %bb.0:
	.section	.rodata,"a",@progbits
	.p2align	6, 0x0
	.amdhsa_kernel _ZN7rocprim17ROCPRIM_400000_NS6detail17trampoline_kernelINS0_14default_configENS1_35adjacent_difference_config_selectorILb1EiEEZNS1_24adjacent_difference_implIS3_Lb1ELb0EPiN6thrust23THRUST_200600_302600_NS16discard_iteratorINS9_11use_defaultEEENS9_5minusIiEEEE10hipError_tPvRmT2_T3_mT4_P12ihipStream_tbEUlT_E_NS1_11comp_targetILNS1_3genE5ELNS1_11target_archE942ELNS1_3gpuE9ELNS1_3repE0EEENS1_30default_config_static_selectorELNS0_4arch9wavefront6targetE0EEEvT1_
		.amdhsa_group_segment_fixed_size 0
		.amdhsa_private_segment_fixed_size 0
		.amdhsa_kernarg_size 64
		.amdhsa_user_sgpr_count 15
		.amdhsa_user_sgpr_dispatch_ptr 0
		.amdhsa_user_sgpr_queue_ptr 0
		.amdhsa_user_sgpr_kernarg_segment_ptr 1
		.amdhsa_user_sgpr_dispatch_id 0
		.amdhsa_user_sgpr_private_segment_size 0
		.amdhsa_wavefront_size32 1
		.amdhsa_uses_dynamic_stack 0
		.amdhsa_enable_private_segment 0
		.amdhsa_system_sgpr_workgroup_id_x 1
		.amdhsa_system_sgpr_workgroup_id_y 0
		.amdhsa_system_sgpr_workgroup_id_z 0
		.amdhsa_system_sgpr_workgroup_info 0
		.amdhsa_system_vgpr_workitem_id 0
		.amdhsa_next_free_vgpr 1
		.amdhsa_next_free_sgpr 1
		.amdhsa_reserve_vcc 0
		.amdhsa_float_round_mode_32 0
		.amdhsa_float_round_mode_16_64 0
		.amdhsa_float_denorm_mode_32 3
		.amdhsa_float_denorm_mode_16_64 3
		.amdhsa_dx10_clamp 1
		.amdhsa_ieee_mode 1
		.amdhsa_fp16_overflow 0
		.amdhsa_workgroup_processor_mode 1
		.amdhsa_memory_ordered 1
		.amdhsa_forward_progress 0
		.amdhsa_shared_vgpr_count 0
		.amdhsa_exception_fp_ieee_invalid_op 0
		.amdhsa_exception_fp_denorm_src 0
		.amdhsa_exception_fp_ieee_div_zero 0
		.amdhsa_exception_fp_ieee_overflow 0
		.amdhsa_exception_fp_ieee_underflow 0
		.amdhsa_exception_fp_ieee_inexact 0
		.amdhsa_exception_int_div_zero 0
	.end_amdhsa_kernel
	.section	.text._ZN7rocprim17ROCPRIM_400000_NS6detail17trampoline_kernelINS0_14default_configENS1_35adjacent_difference_config_selectorILb1EiEEZNS1_24adjacent_difference_implIS3_Lb1ELb0EPiN6thrust23THRUST_200600_302600_NS16discard_iteratorINS9_11use_defaultEEENS9_5minusIiEEEE10hipError_tPvRmT2_T3_mT4_P12ihipStream_tbEUlT_E_NS1_11comp_targetILNS1_3genE5ELNS1_11target_archE942ELNS1_3gpuE9ELNS1_3repE0EEENS1_30default_config_static_selectorELNS0_4arch9wavefront6targetE0EEEvT1_,"axG",@progbits,_ZN7rocprim17ROCPRIM_400000_NS6detail17trampoline_kernelINS0_14default_configENS1_35adjacent_difference_config_selectorILb1EiEEZNS1_24adjacent_difference_implIS3_Lb1ELb0EPiN6thrust23THRUST_200600_302600_NS16discard_iteratorINS9_11use_defaultEEENS9_5minusIiEEEE10hipError_tPvRmT2_T3_mT4_P12ihipStream_tbEUlT_E_NS1_11comp_targetILNS1_3genE5ELNS1_11target_archE942ELNS1_3gpuE9ELNS1_3repE0EEENS1_30default_config_static_selectorELNS0_4arch9wavefront6targetE0EEEvT1_,comdat
.Lfunc_end886:
	.size	_ZN7rocprim17ROCPRIM_400000_NS6detail17trampoline_kernelINS0_14default_configENS1_35adjacent_difference_config_selectorILb1EiEEZNS1_24adjacent_difference_implIS3_Lb1ELb0EPiN6thrust23THRUST_200600_302600_NS16discard_iteratorINS9_11use_defaultEEENS9_5minusIiEEEE10hipError_tPvRmT2_T3_mT4_P12ihipStream_tbEUlT_E_NS1_11comp_targetILNS1_3genE5ELNS1_11target_archE942ELNS1_3gpuE9ELNS1_3repE0EEENS1_30default_config_static_selectorELNS0_4arch9wavefront6targetE0EEEvT1_, .Lfunc_end886-_ZN7rocprim17ROCPRIM_400000_NS6detail17trampoline_kernelINS0_14default_configENS1_35adjacent_difference_config_selectorILb1EiEEZNS1_24adjacent_difference_implIS3_Lb1ELb0EPiN6thrust23THRUST_200600_302600_NS16discard_iteratorINS9_11use_defaultEEENS9_5minusIiEEEE10hipError_tPvRmT2_T3_mT4_P12ihipStream_tbEUlT_E_NS1_11comp_targetILNS1_3genE5ELNS1_11target_archE942ELNS1_3gpuE9ELNS1_3repE0EEENS1_30default_config_static_selectorELNS0_4arch9wavefront6targetE0EEEvT1_
                                        ; -- End function
	.section	.AMDGPU.csdata,"",@progbits
; Kernel info:
; codeLenInByte = 0
; NumSgprs: 0
; NumVgprs: 0
; ScratchSize: 0
; MemoryBound: 0
; FloatMode: 240
; IeeeMode: 1
; LDSByteSize: 0 bytes/workgroup (compile time only)
; SGPRBlocks: 0
; VGPRBlocks: 0
; NumSGPRsForWavesPerEU: 1
; NumVGPRsForWavesPerEU: 1
; Occupancy: 16
; WaveLimiterHint : 0
; COMPUTE_PGM_RSRC2:SCRATCH_EN: 0
; COMPUTE_PGM_RSRC2:USER_SGPR: 15
; COMPUTE_PGM_RSRC2:TRAP_HANDLER: 0
; COMPUTE_PGM_RSRC2:TGID_X_EN: 1
; COMPUTE_PGM_RSRC2:TGID_Y_EN: 0
; COMPUTE_PGM_RSRC2:TGID_Z_EN: 0
; COMPUTE_PGM_RSRC2:TIDIG_COMP_CNT: 0
	.section	.text._ZN7rocprim17ROCPRIM_400000_NS6detail17trampoline_kernelINS0_14default_configENS1_35adjacent_difference_config_selectorILb1EiEEZNS1_24adjacent_difference_implIS3_Lb1ELb0EPiN6thrust23THRUST_200600_302600_NS16discard_iteratorINS9_11use_defaultEEENS9_5minusIiEEEE10hipError_tPvRmT2_T3_mT4_P12ihipStream_tbEUlT_E_NS1_11comp_targetILNS1_3genE4ELNS1_11target_archE910ELNS1_3gpuE8ELNS1_3repE0EEENS1_30default_config_static_selectorELNS0_4arch9wavefront6targetE0EEEvT1_,"axG",@progbits,_ZN7rocprim17ROCPRIM_400000_NS6detail17trampoline_kernelINS0_14default_configENS1_35adjacent_difference_config_selectorILb1EiEEZNS1_24adjacent_difference_implIS3_Lb1ELb0EPiN6thrust23THRUST_200600_302600_NS16discard_iteratorINS9_11use_defaultEEENS9_5minusIiEEEE10hipError_tPvRmT2_T3_mT4_P12ihipStream_tbEUlT_E_NS1_11comp_targetILNS1_3genE4ELNS1_11target_archE910ELNS1_3gpuE8ELNS1_3repE0EEENS1_30default_config_static_selectorELNS0_4arch9wavefront6targetE0EEEvT1_,comdat
	.protected	_ZN7rocprim17ROCPRIM_400000_NS6detail17trampoline_kernelINS0_14default_configENS1_35adjacent_difference_config_selectorILb1EiEEZNS1_24adjacent_difference_implIS3_Lb1ELb0EPiN6thrust23THRUST_200600_302600_NS16discard_iteratorINS9_11use_defaultEEENS9_5minusIiEEEE10hipError_tPvRmT2_T3_mT4_P12ihipStream_tbEUlT_E_NS1_11comp_targetILNS1_3genE4ELNS1_11target_archE910ELNS1_3gpuE8ELNS1_3repE0EEENS1_30default_config_static_selectorELNS0_4arch9wavefront6targetE0EEEvT1_ ; -- Begin function _ZN7rocprim17ROCPRIM_400000_NS6detail17trampoline_kernelINS0_14default_configENS1_35adjacent_difference_config_selectorILb1EiEEZNS1_24adjacent_difference_implIS3_Lb1ELb0EPiN6thrust23THRUST_200600_302600_NS16discard_iteratorINS9_11use_defaultEEENS9_5minusIiEEEE10hipError_tPvRmT2_T3_mT4_P12ihipStream_tbEUlT_E_NS1_11comp_targetILNS1_3genE4ELNS1_11target_archE910ELNS1_3gpuE8ELNS1_3repE0EEENS1_30default_config_static_selectorELNS0_4arch9wavefront6targetE0EEEvT1_
	.globl	_ZN7rocprim17ROCPRIM_400000_NS6detail17trampoline_kernelINS0_14default_configENS1_35adjacent_difference_config_selectorILb1EiEEZNS1_24adjacent_difference_implIS3_Lb1ELb0EPiN6thrust23THRUST_200600_302600_NS16discard_iteratorINS9_11use_defaultEEENS9_5minusIiEEEE10hipError_tPvRmT2_T3_mT4_P12ihipStream_tbEUlT_E_NS1_11comp_targetILNS1_3genE4ELNS1_11target_archE910ELNS1_3gpuE8ELNS1_3repE0EEENS1_30default_config_static_selectorELNS0_4arch9wavefront6targetE0EEEvT1_
	.p2align	8
	.type	_ZN7rocprim17ROCPRIM_400000_NS6detail17trampoline_kernelINS0_14default_configENS1_35adjacent_difference_config_selectorILb1EiEEZNS1_24adjacent_difference_implIS3_Lb1ELb0EPiN6thrust23THRUST_200600_302600_NS16discard_iteratorINS9_11use_defaultEEENS9_5minusIiEEEE10hipError_tPvRmT2_T3_mT4_P12ihipStream_tbEUlT_E_NS1_11comp_targetILNS1_3genE4ELNS1_11target_archE910ELNS1_3gpuE8ELNS1_3repE0EEENS1_30default_config_static_selectorELNS0_4arch9wavefront6targetE0EEEvT1_,@function
_ZN7rocprim17ROCPRIM_400000_NS6detail17trampoline_kernelINS0_14default_configENS1_35adjacent_difference_config_selectorILb1EiEEZNS1_24adjacent_difference_implIS3_Lb1ELb0EPiN6thrust23THRUST_200600_302600_NS16discard_iteratorINS9_11use_defaultEEENS9_5minusIiEEEE10hipError_tPvRmT2_T3_mT4_P12ihipStream_tbEUlT_E_NS1_11comp_targetILNS1_3genE4ELNS1_11target_archE910ELNS1_3gpuE8ELNS1_3repE0EEENS1_30default_config_static_selectorELNS0_4arch9wavefront6targetE0EEEvT1_: ; @_ZN7rocprim17ROCPRIM_400000_NS6detail17trampoline_kernelINS0_14default_configENS1_35adjacent_difference_config_selectorILb1EiEEZNS1_24adjacent_difference_implIS3_Lb1ELb0EPiN6thrust23THRUST_200600_302600_NS16discard_iteratorINS9_11use_defaultEEENS9_5minusIiEEEE10hipError_tPvRmT2_T3_mT4_P12ihipStream_tbEUlT_E_NS1_11comp_targetILNS1_3genE4ELNS1_11target_archE910ELNS1_3gpuE8ELNS1_3repE0EEENS1_30default_config_static_selectorELNS0_4arch9wavefront6targetE0EEEvT1_
; %bb.0:
	.section	.rodata,"a",@progbits
	.p2align	6, 0x0
	.amdhsa_kernel _ZN7rocprim17ROCPRIM_400000_NS6detail17trampoline_kernelINS0_14default_configENS1_35adjacent_difference_config_selectorILb1EiEEZNS1_24adjacent_difference_implIS3_Lb1ELb0EPiN6thrust23THRUST_200600_302600_NS16discard_iteratorINS9_11use_defaultEEENS9_5minusIiEEEE10hipError_tPvRmT2_T3_mT4_P12ihipStream_tbEUlT_E_NS1_11comp_targetILNS1_3genE4ELNS1_11target_archE910ELNS1_3gpuE8ELNS1_3repE0EEENS1_30default_config_static_selectorELNS0_4arch9wavefront6targetE0EEEvT1_
		.amdhsa_group_segment_fixed_size 0
		.amdhsa_private_segment_fixed_size 0
		.amdhsa_kernarg_size 64
		.amdhsa_user_sgpr_count 15
		.amdhsa_user_sgpr_dispatch_ptr 0
		.amdhsa_user_sgpr_queue_ptr 0
		.amdhsa_user_sgpr_kernarg_segment_ptr 1
		.amdhsa_user_sgpr_dispatch_id 0
		.amdhsa_user_sgpr_private_segment_size 0
		.amdhsa_wavefront_size32 1
		.amdhsa_uses_dynamic_stack 0
		.amdhsa_enable_private_segment 0
		.amdhsa_system_sgpr_workgroup_id_x 1
		.amdhsa_system_sgpr_workgroup_id_y 0
		.amdhsa_system_sgpr_workgroup_id_z 0
		.amdhsa_system_sgpr_workgroup_info 0
		.amdhsa_system_vgpr_workitem_id 0
		.amdhsa_next_free_vgpr 1
		.amdhsa_next_free_sgpr 1
		.amdhsa_reserve_vcc 0
		.amdhsa_float_round_mode_32 0
		.amdhsa_float_round_mode_16_64 0
		.amdhsa_float_denorm_mode_32 3
		.amdhsa_float_denorm_mode_16_64 3
		.amdhsa_dx10_clamp 1
		.amdhsa_ieee_mode 1
		.amdhsa_fp16_overflow 0
		.amdhsa_workgroup_processor_mode 1
		.amdhsa_memory_ordered 1
		.amdhsa_forward_progress 0
		.amdhsa_shared_vgpr_count 0
		.amdhsa_exception_fp_ieee_invalid_op 0
		.amdhsa_exception_fp_denorm_src 0
		.amdhsa_exception_fp_ieee_div_zero 0
		.amdhsa_exception_fp_ieee_overflow 0
		.amdhsa_exception_fp_ieee_underflow 0
		.amdhsa_exception_fp_ieee_inexact 0
		.amdhsa_exception_int_div_zero 0
	.end_amdhsa_kernel
	.section	.text._ZN7rocprim17ROCPRIM_400000_NS6detail17trampoline_kernelINS0_14default_configENS1_35adjacent_difference_config_selectorILb1EiEEZNS1_24adjacent_difference_implIS3_Lb1ELb0EPiN6thrust23THRUST_200600_302600_NS16discard_iteratorINS9_11use_defaultEEENS9_5minusIiEEEE10hipError_tPvRmT2_T3_mT4_P12ihipStream_tbEUlT_E_NS1_11comp_targetILNS1_3genE4ELNS1_11target_archE910ELNS1_3gpuE8ELNS1_3repE0EEENS1_30default_config_static_selectorELNS0_4arch9wavefront6targetE0EEEvT1_,"axG",@progbits,_ZN7rocprim17ROCPRIM_400000_NS6detail17trampoline_kernelINS0_14default_configENS1_35adjacent_difference_config_selectorILb1EiEEZNS1_24adjacent_difference_implIS3_Lb1ELb0EPiN6thrust23THRUST_200600_302600_NS16discard_iteratorINS9_11use_defaultEEENS9_5minusIiEEEE10hipError_tPvRmT2_T3_mT4_P12ihipStream_tbEUlT_E_NS1_11comp_targetILNS1_3genE4ELNS1_11target_archE910ELNS1_3gpuE8ELNS1_3repE0EEENS1_30default_config_static_selectorELNS0_4arch9wavefront6targetE0EEEvT1_,comdat
.Lfunc_end887:
	.size	_ZN7rocprim17ROCPRIM_400000_NS6detail17trampoline_kernelINS0_14default_configENS1_35adjacent_difference_config_selectorILb1EiEEZNS1_24adjacent_difference_implIS3_Lb1ELb0EPiN6thrust23THRUST_200600_302600_NS16discard_iteratorINS9_11use_defaultEEENS9_5minusIiEEEE10hipError_tPvRmT2_T3_mT4_P12ihipStream_tbEUlT_E_NS1_11comp_targetILNS1_3genE4ELNS1_11target_archE910ELNS1_3gpuE8ELNS1_3repE0EEENS1_30default_config_static_selectorELNS0_4arch9wavefront6targetE0EEEvT1_, .Lfunc_end887-_ZN7rocprim17ROCPRIM_400000_NS6detail17trampoline_kernelINS0_14default_configENS1_35adjacent_difference_config_selectorILb1EiEEZNS1_24adjacent_difference_implIS3_Lb1ELb0EPiN6thrust23THRUST_200600_302600_NS16discard_iteratorINS9_11use_defaultEEENS9_5minusIiEEEE10hipError_tPvRmT2_T3_mT4_P12ihipStream_tbEUlT_E_NS1_11comp_targetILNS1_3genE4ELNS1_11target_archE910ELNS1_3gpuE8ELNS1_3repE0EEENS1_30default_config_static_selectorELNS0_4arch9wavefront6targetE0EEEvT1_
                                        ; -- End function
	.section	.AMDGPU.csdata,"",@progbits
; Kernel info:
; codeLenInByte = 0
; NumSgprs: 0
; NumVgprs: 0
; ScratchSize: 0
; MemoryBound: 0
; FloatMode: 240
; IeeeMode: 1
; LDSByteSize: 0 bytes/workgroup (compile time only)
; SGPRBlocks: 0
; VGPRBlocks: 0
; NumSGPRsForWavesPerEU: 1
; NumVGPRsForWavesPerEU: 1
; Occupancy: 16
; WaveLimiterHint : 0
; COMPUTE_PGM_RSRC2:SCRATCH_EN: 0
; COMPUTE_PGM_RSRC2:USER_SGPR: 15
; COMPUTE_PGM_RSRC2:TRAP_HANDLER: 0
; COMPUTE_PGM_RSRC2:TGID_X_EN: 1
; COMPUTE_PGM_RSRC2:TGID_Y_EN: 0
; COMPUTE_PGM_RSRC2:TGID_Z_EN: 0
; COMPUTE_PGM_RSRC2:TIDIG_COMP_CNT: 0
	.section	.text._ZN7rocprim17ROCPRIM_400000_NS6detail17trampoline_kernelINS0_14default_configENS1_35adjacent_difference_config_selectorILb1EiEEZNS1_24adjacent_difference_implIS3_Lb1ELb0EPiN6thrust23THRUST_200600_302600_NS16discard_iteratorINS9_11use_defaultEEENS9_5minusIiEEEE10hipError_tPvRmT2_T3_mT4_P12ihipStream_tbEUlT_E_NS1_11comp_targetILNS1_3genE3ELNS1_11target_archE908ELNS1_3gpuE7ELNS1_3repE0EEENS1_30default_config_static_selectorELNS0_4arch9wavefront6targetE0EEEvT1_,"axG",@progbits,_ZN7rocprim17ROCPRIM_400000_NS6detail17trampoline_kernelINS0_14default_configENS1_35adjacent_difference_config_selectorILb1EiEEZNS1_24adjacent_difference_implIS3_Lb1ELb0EPiN6thrust23THRUST_200600_302600_NS16discard_iteratorINS9_11use_defaultEEENS9_5minusIiEEEE10hipError_tPvRmT2_T3_mT4_P12ihipStream_tbEUlT_E_NS1_11comp_targetILNS1_3genE3ELNS1_11target_archE908ELNS1_3gpuE7ELNS1_3repE0EEENS1_30default_config_static_selectorELNS0_4arch9wavefront6targetE0EEEvT1_,comdat
	.protected	_ZN7rocprim17ROCPRIM_400000_NS6detail17trampoline_kernelINS0_14default_configENS1_35adjacent_difference_config_selectorILb1EiEEZNS1_24adjacent_difference_implIS3_Lb1ELb0EPiN6thrust23THRUST_200600_302600_NS16discard_iteratorINS9_11use_defaultEEENS9_5minusIiEEEE10hipError_tPvRmT2_T3_mT4_P12ihipStream_tbEUlT_E_NS1_11comp_targetILNS1_3genE3ELNS1_11target_archE908ELNS1_3gpuE7ELNS1_3repE0EEENS1_30default_config_static_selectorELNS0_4arch9wavefront6targetE0EEEvT1_ ; -- Begin function _ZN7rocprim17ROCPRIM_400000_NS6detail17trampoline_kernelINS0_14default_configENS1_35adjacent_difference_config_selectorILb1EiEEZNS1_24adjacent_difference_implIS3_Lb1ELb0EPiN6thrust23THRUST_200600_302600_NS16discard_iteratorINS9_11use_defaultEEENS9_5minusIiEEEE10hipError_tPvRmT2_T3_mT4_P12ihipStream_tbEUlT_E_NS1_11comp_targetILNS1_3genE3ELNS1_11target_archE908ELNS1_3gpuE7ELNS1_3repE0EEENS1_30default_config_static_selectorELNS0_4arch9wavefront6targetE0EEEvT1_
	.globl	_ZN7rocprim17ROCPRIM_400000_NS6detail17trampoline_kernelINS0_14default_configENS1_35adjacent_difference_config_selectorILb1EiEEZNS1_24adjacent_difference_implIS3_Lb1ELb0EPiN6thrust23THRUST_200600_302600_NS16discard_iteratorINS9_11use_defaultEEENS9_5minusIiEEEE10hipError_tPvRmT2_T3_mT4_P12ihipStream_tbEUlT_E_NS1_11comp_targetILNS1_3genE3ELNS1_11target_archE908ELNS1_3gpuE7ELNS1_3repE0EEENS1_30default_config_static_selectorELNS0_4arch9wavefront6targetE0EEEvT1_
	.p2align	8
	.type	_ZN7rocprim17ROCPRIM_400000_NS6detail17trampoline_kernelINS0_14default_configENS1_35adjacent_difference_config_selectorILb1EiEEZNS1_24adjacent_difference_implIS3_Lb1ELb0EPiN6thrust23THRUST_200600_302600_NS16discard_iteratorINS9_11use_defaultEEENS9_5minusIiEEEE10hipError_tPvRmT2_T3_mT4_P12ihipStream_tbEUlT_E_NS1_11comp_targetILNS1_3genE3ELNS1_11target_archE908ELNS1_3gpuE7ELNS1_3repE0EEENS1_30default_config_static_selectorELNS0_4arch9wavefront6targetE0EEEvT1_,@function
_ZN7rocprim17ROCPRIM_400000_NS6detail17trampoline_kernelINS0_14default_configENS1_35adjacent_difference_config_selectorILb1EiEEZNS1_24adjacent_difference_implIS3_Lb1ELb0EPiN6thrust23THRUST_200600_302600_NS16discard_iteratorINS9_11use_defaultEEENS9_5minusIiEEEE10hipError_tPvRmT2_T3_mT4_P12ihipStream_tbEUlT_E_NS1_11comp_targetILNS1_3genE3ELNS1_11target_archE908ELNS1_3gpuE7ELNS1_3repE0EEENS1_30default_config_static_selectorELNS0_4arch9wavefront6targetE0EEEvT1_: ; @_ZN7rocprim17ROCPRIM_400000_NS6detail17trampoline_kernelINS0_14default_configENS1_35adjacent_difference_config_selectorILb1EiEEZNS1_24adjacent_difference_implIS3_Lb1ELb0EPiN6thrust23THRUST_200600_302600_NS16discard_iteratorINS9_11use_defaultEEENS9_5minusIiEEEE10hipError_tPvRmT2_T3_mT4_P12ihipStream_tbEUlT_E_NS1_11comp_targetILNS1_3genE3ELNS1_11target_archE908ELNS1_3gpuE7ELNS1_3repE0EEENS1_30default_config_static_selectorELNS0_4arch9wavefront6targetE0EEEvT1_
; %bb.0:
	.section	.rodata,"a",@progbits
	.p2align	6, 0x0
	.amdhsa_kernel _ZN7rocprim17ROCPRIM_400000_NS6detail17trampoline_kernelINS0_14default_configENS1_35adjacent_difference_config_selectorILb1EiEEZNS1_24adjacent_difference_implIS3_Lb1ELb0EPiN6thrust23THRUST_200600_302600_NS16discard_iteratorINS9_11use_defaultEEENS9_5minusIiEEEE10hipError_tPvRmT2_T3_mT4_P12ihipStream_tbEUlT_E_NS1_11comp_targetILNS1_3genE3ELNS1_11target_archE908ELNS1_3gpuE7ELNS1_3repE0EEENS1_30default_config_static_selectorELNS0_4arch9wavefront6targetE0EEEvT1_
		.amdhsa_group_segment_fixed_size 0
		.amdhsa_private_segment_fixed_size 0
		.amdhsa_kernarg_size 64
		.amdhsa_user_sgpr_count 15
		.amdhsa_user_sgpr_dispatch_ptr 0
		.amdhsa_user_sgpr_queue_ptr 0
		.amdhsa_user_sgpr_kernarg_segment_ptr 1
		.amdhsa_user_sgpr_dispatch_id 0
		.amdhsa_user_sgpr_private_segment_size 0
		.amdhsa_wavefront_size32 1
		.amdhsa_uses_dynamic_stack 0
		.amdhsa_enable_private_segment 0
		.amdhsa_system_sgpr_workgroup_id_x 1
		.amdhsa_system_sgpr_workgroup_id_y 0
		.amdhsa_system_sgpr_workgroup_id_z 0
		.amdhsa_system_sgpr_workgroup_info 0
		.amdhsa_system_vgpr_workitem_id 0
		.amdhsa_next_free_vgpr 1
		.amdhsa_next_free_sgpr 1
		.amdhsa_reserve_vcc 0
		.amdhsa_float_round_mode_32 0
		.amdhsa_float_round_mode_16_64 0
		.amdhsa_float_denorm_mode_32 3
		.amdhsa_float_denorm_mode_16_64 3
		.amdhsa_dx10_clamp 1
		.amdhsa_ieee_mode 1
		.amdhsa_fp16_overflow 0
		.amdhsa_workgroup_processor_mode 1
		.amdhsa_memory_ordered 1
		.amdhsa_forward_progress 0
		.amdhsa_shared_vgpr_count 0
		.amdhsa_exception_fp_ieee_invalid_op 0
		.amdhsa_exception_fp_denorm_src 0
		.amdhsa_exception_fp_ieee_div_zero 0
		.amdhsa_exception_fp_ieee_overflow 0
		.amdhsa_exception_fp_ieee_underflow 0
		.amdhsa_exception_fp_ieee_inexact 0
		.amdhsa_exception_int_div_zero 0
	.end_amdhsa_kernel
	.section	.text._ZN7rocprim17ROCPRIM_400000_NS6detail17trampoline_kernelINS0_14default_configENS1_35adjacent_difference_config_selectorILb1EiEEZNS1_24adjacent_difference_implIS3_Lb1ELb0EPiN6thrust23THRUST_200600_302600_NS16discard_iteratorINS9_11use_defaultEEENS9_5minusIiEEEE10hipError_tPvRmT2_T3_mT4_P12ihipStream_tbEUlT_E_NS1_11comp_targetILNS1_3genE3ELNS1_11target_archE908ELNS1_3gpuE7ELNS1_3repE0EEENS1_30default_config_static_selectorELNS0_4arch9wavefront6targetE0EEEvT1_,"axG",@progbits,_ZN7rocprim17ROCPRIM_400000_NS6detail17trampoline_kernelINS0_14default_configENS1_35adjacent_difference_config_selectorILb1EiEEZNS1_24adjacent_difference_implIS3_Lb1ELb0EPiN6thrust23THRUST_200600_302600_NS16discard_iteratorINS9_11use_defaultEEENS9_5minusIiEEEE10hipError_tPvRmT2_T3_mT4_P12ihipStream_tbEUlT_E_NS1_11comp_targetILNS1_3genE3ELNS1_11target_archE908ELNS1_3gpuE7ELNS1_3repE0EEENS1_30default_config_static_selectorELNS0_4arch9wavefront6targetE0EEEvT1_,comdat
.Lfunc_end888:
	.size	_ZN7rocprim17ROCPRIM_400000_NS6detail17trampoline_kernelINS0_14default_configENS1_35adjacent_difference_config_selectorILb1EiEEZNS1_24adjacent_difference_implIS3_Lb1ELb0EPiN6thrust23THRUST_200600_302600_NS16discard_iteratorINS9_11use_defaultEEENS9_5minusIiEEEE10hipError_tPvRmT2_T3_mT4_P12ihipStream_tbEUlT_E_NS1_11comp_targetILNS1_3genE3ELNS1_11target_archE908ELNS1_3gpuE7ELNS1_3repE0EEENS1_30default_config_static_selectorELNS0_4arch9wavefront6targetE0EEEvT1_, .Lfunc_end888-_ZN7rocprim17ROCPRIM_400000_NS6detail17trampoline_kernelINS0_14default_configENS1_35adjacent_difference_config_selectorILb1EiEEZNS1_24adjacent_difference_implIS3_Lb1ELb0EPiN6thrust23THRUST_200600_302600_NS16discard_iteratorINS9_11use_defaultEEENS9_5minusIiEEEE10hipError_tPvRmT2_T3_mT4_P12ihipStream_tbEUlT_E_NS1_11comp_targetILNS1_3genE3ELNS1_11target_archE908ELNS1_3gpuE7ELNS1_3repE0EEENS1_30default_config_static_selectorELNS0_4arch9wavefront6targetE0EEEvT1_
                                        ; -- End function
	.section	.AMDGPU.csdata,"",@progbits
; Kernel info:
; codeLenInByte = 0
; NumSgprs: 0
; NumVgprs: 0
; ScratchSize: 0
; MemoryBound: 0
; FloatMode: 240
; IeeeMode: 1
; LDSByteSize: 0 bytes/workgroup (compile time only)
; SGPRBlocks: 0
; VGPRBlocks: 0
; NumSGPRsForWavesPerEU: 1
; NumVGPRsForWavesPerEU: 1
; Occupancy: 16
; WaveLimiterHint : 0
; COMPUTE_PGM_RSRC2:SCRATCH_EN: 0
; COMPUTE_PGM_RSRC2:USER_SGPR: 15
; COMPUTE_PGM_RSRC2:TRAP_HANDLER: 0
; COMPUTE_PGM_RSRC2:TGID_X_EN: 1
; COMPUTE_PGM_RSRC2:TGID_Y_EN: 0
; COMPUTE_PGM_RSRC2:TGID_Z_EN: 0
; COMPUTE_PGM_RSRC2:TIDIG_COMP_CNT: 0
	.section	.text._ZN7rocprim17ROCPRIM_400000_NS6detail17trampoline_kernelINS0_14default_configENS1_35adjacent_difference_config_selectorILb1EiEEZNS1_24adjacent_difference_implIS3_Lb1ELb0EPiN6thrust23THRUST_200600_302600_NS16discard_iteratorINS9_11use_defaultEEENS9_5minusIiEEEE10hipError_tPvRmT2_T3_mT4_P12ihipStream_tbEUlT_E_NS1_11comp_targetILNS1_3genE2ELNS1_11target_archE906ELNS1_3gpuE6ELNS1_3repE0EEENS1_30default_config_static_selectorELNS0_4arch9wavefront6targetE0EEEvT1_,"axG",@progbits,_ZN7rocprim17ROCPRIM_400000_NS6detail17trampoline_kernelINS0_14default_configENS1_35adjacent_difference_config_selectorILb1EiEEZNS1_24adjacent_difference_implIS3_Lb1ELb0EPiN6thrust23THRUST_200600_302600_NS16discard_iteratorINS9_11use_defaultEEENS9_5minusIiEEEE10hipError_tPvRmT2_T3_mT4_P12ihipStream_tbEUlT_E_NS1_11comp_targetILNS1_3genE2ELNS1_11target_archE906ELNS1_3gpuE6ELNS1_3repE0EEENS1_30default_config_static_selectorELNS0_4arch9wavefront6targetE0EEEvT1_,comdat
	.protected	_ZN7rocprim17ROCPRIM_400000_NS6detail17trampoline_kernelINS0_14default_configENS1_35adjacent_difference_config_selectorILb1EiEEZNS1_24adjacent_difference_implIS3_Lb1ELb0EPiN6thrust23THRUST_200600_302600_NS16discard_iteratorINS9_11use_defaultEEENS9_5minusIiEEEE10hipError_tPvRmT2_T3_mT4_P12ihipStream_tbEUlT_E_NS1_11comp_targetILNS1_3genE2ELNS1_11target_archE906ELNS1_3gpuE6ELNS1_3repE0EEENS1_30default_config_static_selectorELNS0_4arch9wavefront6targetE0EEEvT1_ ; -- Begin function _ZN7rocprim17ROCPRIM_400000_NS6detail17trampoline_kernelINS0_14default_configENS1_35adjacent_difference_config_selectorILb1EiEEZNS1_24adjacent_difference_implIS3_Lb1ELb0EPiN6thrust23THRUST_200600_302600_NS16discard_iteratorINS9_11use_defaultEEENS9_5minusIiEEEE10hipError_tPvRmT2_T3_mT4_P12ihipStream_tbEUlT_E_NS1_11comp_targetILNS1_3genE2ELNS1_11target_archE906ELNS1_3gpuE6ELNS1_3repE0EEENS1_30default_config_static_selectorELNS0_4arch9wavefront6targetE0EEEvT1_
	.globl	_ZN7rocprim17ROCPRIM_400000_NS6detail17trampoline_kernelINS0_14default_configENS1_35adjacent_difference_config_selectorILb1EiEEZNS1_24adjacent_difference_implIS3_Lb1ELb0EPiN6thrust23THRUST_200600_302600_NS16discard_iteratorINS9_11use_defaultEEENS9_5minusIiEEEE10hipError_tPvRmT2_T3_mT4_P12ihipStream_tbEUlT_E_NS1_11comp_targetILNS1_3genE2ELNS1_11target_archE906ELNS1_3gpuE6ELNS1_3repE0EEENS1_30default_config_static_selectorELNS0_4arch9wavefront6targetE0EEEvT1_
	.p2align	8
	.type	_ZN7rocprim17ROCPRIM_400000_NS6detail17trampoline_kernelINS0_14default_configENS1_35adjacent_difference_config_selectorILb1EiEEZNS1_24adjacent_difference_implIS3_Lb1ELb0EPiN6thrust23THRUST_200600_302600_NS16discard_iteratorINS9_11use_defaultEEENS9_5minusIiEEEE10hipError_tPvRmT2_T3_mT4_P12ihipStream_tbEUlT_E_NS1_11comp_targetILNS1_3genE2ELNS1_11target_archE906ELNS1_3gpuE6ELNS1_3repE0EEENS1_30default_config_static_selectorELNS0_4arch9wavefront6targetE0EEEvT1_,@function
_ZN7rocprim17ROCPRIM_400000_NS6detail17trampoline_kernelINS0_14default_configENS1_35adjacent_difference_config_selectorILb1EiEEZNS1_24adjacent_difference_implIS3_Lb1ELb0EPiN6thrust23THRUST_200600_302600_NS16discard_iteratorINS9_11use_defaultEEENS9_5minusIiEEEE10hipError_tPvRmT2_T3_mT4_P12ihipStream_tbEUlT_E_NS1_11comp_targetILNS1_3genE2ELNS1_11target_archE906ELNS1_3gpuE6ELNS1_3repE0EEENS1_30default_config_static_selectorELNS0_4arch9wavefront6targetE0EEEvT1_: ; @_ZN7rocprim17ROCPRIM_400000_NS6detail17trampoline_kernelINS0_14default_configENS1_35adjacent_difference_config_selectorILb1EiEEZNS1_24adjacent_difference_implIS3_Lb1ELb0EPiN6thrust23THRUST_200600_302600_NS16discard_iteratorINS9_11use_defaultEEENS9_5minusIiEEEE10hipError_tPvRmT2_T3_mT4_P12ihipStream_tbEUlT_E_NS1_11comp_targetILNS1_3genE2ELNS1_11target_archE906ELNS1_3gpuE6ELNS1_3repE0EEENS1_30default_config_static_selectorELNS0_4arch9wavefront6targetE0EEEvT1_
; %bb.0:
	.section	.rodata,"a",@progbits
	.p2align	6, 0x0
	.amdhsa_kernel _ZN7rocprim17ROCPRIM_400000_NS6detail17trampoline_kernelINS0_14default_configENS1_35adjacent_difference_config_selectorILb1EiEEZNS1_24adjacent_difference_implIS3_Lb1ELb0EPiN6thrust23THRUST_200600_302600_NS16discard_iteratorINS9_11use_defaultEEENS9_5minusIiEEEE10hipError_tPvRmT2_T3_mT4_P12ihipStream_tbEUlT_E_NS1_11comp_targetILNS1_3genE2ELNS1_11target_archE906ELNS1_3gpuE6ELNS1_3repE0EEENS1_30default_config_static_selectorELNS0_4arch9wavefront6targetE0EEEvT1_
		.amdhsa_group_segment_fixed_size 0
		.amdhsa_private_segment_fixed_size 0
		.amdhsa_kernarg_size 64
		.amdhsa_user_sgpr_count 15
		.amdhsa_user_sgpr_dispatch_ptr 0
		.amdhsa_user_sgpr_queue_ptr 0
		.amdhsa_user_sgpr_kernarg_segment_ptr 1
		.amdhsa_user_sgpr_dispatch_id 0
		.amdhsa_user_sgpr_private_segment_size 0
		.amdhsa_wavefront_size32 1
		.amdhsa_uses_dynamic_stack 0
		.amdhsa_enable_private_segment 0
		.amdhsa_system_sgpr_workgroup_id_x 1
		.amdhsa_system_sgpr_workgroup_id_y 0
		.amdhsa_system_sgpr_workgroup_id_z 0
		.amdhsa_system_sgpr_workgroup_info 0
		.amdhsa_system_vgpr_workitem_id 0
		.amdhsa_next_free_vgpr 1
		.amdhsa_next_free_sgpr 1
		.amdhsa_reserve_vcc 0
		.amdhsa_float_round_mode_32 0
		.amdhsa_float_round_mode_16_64 0
		.amdhsa_float_denorm_mode_32 3
		.amdhsa_float_denorm_mode_16_64 3
		.amdhsa_dx10_clamp 1
		.amdhsa_ieee_mode 1
		.amdhsa_fp16_overflow 0
		.amdhsa_workgroup_processor_mode 1
		.amdhsa_memory_ordered 1
		.amdhsa_forward_progress 0
		.amdhsa_shared_vgpr_count 0
		.amdhsa_exception_fp_ieee_invalid_op 0
		.amdhsa_exception_fp_denorm_src 0
		.amdhsa_exception_fp_ieee_div_zero 0
		.amdhsa_exception_fp_ieee_overflow 0
		.amdhsa_exception_fp_ieee_underflow 0
		.amdhsa_exception_fp_ieee_inexact 0
		.amdhsa_exception_int_div_zero 0
	.end_amdhsa_kernel
	.section	.text._ZN7rocprim17ROCPRIM_400000_NS6detail17trampoline_kernelINS0_14default_configENS1_35adjacent_difference_config_selectorILb1EiEEZNS1_24adjacent_difference_implIS3_Lb1ELb0EPiN6thrust23THRUST_200600_302600_NS16discard_iteratorINS9_11use_defaultEEENS9_5minusIiEEEE10hipError_tPvRmT2_T3_mT4_P12ihipStream_tbEUlT_E_NS1_11comp_targetILNS1_3genE2ELNS1_11target_archE906ELNS1_3gpuE6ELNS1_3repE0EEENS1_30default_config_static_selectorELNS0_4arch9wavefront6targetE0EEEvT1_,"axG",@progbits,_ZN7rocprim17ROCPRIM_400000_NS6detail17trampoline_kernelINS0_14default_configENS1_35adjacent_difference_config_selectorILb1EiEEZNS1_24adjacent_difference_implIS3_Lb1ELb0EPiN6thrust23THRUST_200600_302600_NS16discard_iteratorINS9_11use_defaultEEENS9_5minusIiEEEE10hipError_tPvRmT2_T3_mT4_P12ihipStream_tbEUlT_E_NS1_11comp_targetILNS1_3genE2ELNS1_11target_archE906ELNS1_3gpuE6ELNS1_3repE0EEENS1_30default_config_static_selectorELNS0_4arch9wavefront6targetE0EEEvT1_,comdat
.Lfunc_end889:
	.size	_ZN7rocprim17ROCPRIM_400000_NS6detail17trampoline_kernelINS0_14default_configENS1_35adjacent_difference_config_selectorILb1EiEEZNS1_24adjacent_difference_implIS3_Lb1ELb0EPiN6thrust23THRUST_200600_302600_NS16discard_iteratorINS9_11use_defaultEEENS9_5minusIiEEEE10hipError_tPvRmT2_T3_mT4_P12ihipStream_tbEUlT_E_NS1_11comp_targetILNS1_3genE2ELNS1_11target_archE906ELNS1_3gpuE6ELNS1_3repE0EEENS1_30default_config_static_selectorELNS0_4arch9wavefront6targetE0EEEvT1_, .Lfunc_end889-_ZN7rocprim17ROCPRIM_400000_NS6detail17trampoline_kernelINS0_14default_configENS1_35adjacent_difference_config_selectorILb1EiEEZNS1_24adjacent_difference_implIS3_Lb1ELb0EPiN6thrust23THRUST_200600_302600_NS16discard_iteratorINS9_11use_defaultEEENS9_5minusIiEEEE10hipError_tPvRmT2_T3_mT4_P12ihipStream_tbEUlT_E_NS1_11comp_targetILNS1_3genE2ELNS1_11target_archE906ELNS1_3gpuE6ELNS1_3repE0EEENS1_30default_config_static_selectorELNS0_4arch9wavefront6targetE0EEEvT1_
                                        ; -- End function
	.section	.AMDGPU.csdata,"",@progbits
; Kernel info:
; codeLenInByte = 0
; NumSgprs: 0
; NumVgprs: 0
; ScratchSize: 0
; MemoryBound: 0
; FloatMode: 240
; IeeeMode: 1
; LDSByteSize: 0 bytes/workgroup (compile time only)
; SGPRBlocks: 0
; VGPRBlocks: 0
; NumSGPRsForWavesPerEU: 1
; NumVGPRsForWavesPerEU: 1
; Occupancy: 16
; WaveLimiterHint : 0
; COMPUTE_PGM_RSRC2:SCRATCH_EN: 0
; COMPUTE_PGM_RSRC2:USER_SGPR: 15
; COMPUTE_PGM_RSRC2:TRAP_HANDLER: 0
; COMPUTE_PGM_RSRC2:TGID_X_EN: 1
; COMPUTE_PGM_RSRC2:TGID_Y_EN: 0
; COMPUTE_PGM_RSRC2:TGID_Z_EN: 0
; COMPUTE_PGM_RSRC2:TIDIG_COMP_CNT: 0
	.section	.text._ZN7rocprim17ROCPRIM_400000_NS6detail17trampoline_kernelINS0_14default_configENS1_35adjacent_difference_config_selectorILb1EiEEZNS1_24adjacent_difference_implIS3_Lb1ELb0EPiN6thrust23THRUST_200600_302600_NS16discard_iteratorINS9_11use_defaultEEENS9_5minusIiEEEE10hipError_tPvRmT2_T3_mT4_P12ihipStream_tbEUlT_E_NS1_11comp_targetILNS1_3genE9ELNS1_11target_archE1100ELNS1_3gpuE3ELNS1_3repE0EEENS1_30default_config_static_selectorELNS0_4arch9wavefront6targetE0EEEvT1_,"axG",@progbits,_ZN7rocprim17ROCPRIM_400000_NS6detail17trampoline_kernelINS0_14default_configENS1_35adjacent_difference_config_selectorILb1EiEEZNS1_24adjacent_difference_implIS3_Lb1ELb0EPiN6thrust23THRUST_200600_302600_NS16discard_iteratorINS9_11use_defaultEEENS9_5minusIiEEEE10hipError_tPvRmT2_T3_mT4_P12ihipStream_tbEUlT_E_NS1_11comp_targetILNS1_3genE9ELNS1_11target_archE1100ELNS1_3gpuE3ELNS1_3repE0EEENS1_30default_config_static_selectorELNS0_4arch9wavefront6targetE0EEEvT1_,comdat
	.protected	_ZN7rocprim17ROCPRIM_400000_NS6detail17trampoline_kernelINS0_14default_configENS1_35adjacent_difference_config_selectorILb1EiEEZNS1_24adjacent_difference_implIS3_Lb1ELb0EPiN6thrust23THRUST_200600_302600_NS16discard_iteratorINS9_11use_defaultEEENS9_5minusIiEEEE10hipError_tPvRmT2_T3_mT4_P12ihipStream_tbEUlT_E_NS1_11comp_targetILNS1_3genE9ELNS1_11target_archE1100ELNS1_3gpuE3ELNS1_3repE0EEENS1_30default_config_static_selectorELNS0_4arch9wavefront6targetE0EEEvT1_ ; -- Begin function _ZN7rocprim17ROCPRIM_400000_NS6detail17trampoline_kernelINS0_14default_configENS1_35adjacent_difference_config_selectorILb1EiEEZNS1_24adjacent_difference_implIS3_Lb1ELb0EPiN6thrust23THRUST_200600_302600_NS16discard_iteratorINS9_11use_defaultEEENS9_5minusIiEEEE10hipError_tPvRmT2_T3_mT4_P12ihipStream_tbEUlT_E_NS1_11comp_targetILNS1_3genE9ELNS1_11target_archE1100ELNS1_3gpuE3ELNS1_3repE0EEENS1_30default_config_static_selectorELNS0_4arch9wavefront6targetE0EEEvT1_
	.globl	_ZN7rocprim17ROCPRIM_400000_NS6detail17trampoline_kernelINS0_14default_configENS1_35adjacent_difference_config_selectorILb1EiEEZNS1_24adjacent_difference_implIS3_Lb1ELb0EPiN6thrust23THRUST_200600_302600_NS16discard_iteratorINS9_11use_defaultEEENS9_5minusIiEEEE10hipError_tPvRmT2_T3_mT4_P12ihipStream_tbEUlT_E_NS1_11comp_targetILNS1_3genE9ELNS1_11target_archE1100ELNS1_3gpuE3ELNS1_3repE0EEENS1_30default_config_static_selectorELNS0_4arch9wavefront6targetE0EEEvT1_
	.p2align	8
	.type	_ZN7rocprim17ROCPRIM_400000_NS6detail17trampoline_kernelINS0_14default_configENS1_35adjacent_difference_config_selectorILb1EiEEZNS1_24adjacent_difference_implIS3_Lb1ELb0EPiN6thrust23THRUST_200600_302600_NS16discard_iteratorINS9_11use_defaultEEENS9_5minusIiEEEE10hipError_tPvRmT2_T3_mT4_P12ihipStream_tbEUlT_E_NS1_11comp_targetILNS1_3genE9ELNS1_11target_archE1100ELNS1_3gpuE3ELNS1_3repE0EEENS1_30default_config_static_selectorELNS0_4arch9wavefront6targetE0EEEvT1_,@function
_ZN7rocprim17ROCPRIM_400000_NS6detail17trampoline_kernelINS0_14default_configENS1_35adjacent_difference_config_selectorILb1EiEEZNS1_24adjacent_difference_implIS3_Lb1ELb0EPiN6thrust23THRUST_200600_302600_NS16discard_iteratorINS9_11use_defaultEEENS9_5minusIiEEEE10hipError_tPvRmT2_T3_mT4_P12ihipStream_tbEUlT_E_NS1_11comp_targetILNS1_3genE9ELNS1_11target_archE1100ELNS1_3gpuE3ELNS1_3repE0EEENS1_30default_config_static_selectorELNS0_4arch9wavefront6targetE0EEEvT1_: ; @_ZN7rocprim17ROCPRIM_400000_NS6detail17trampoline_kernelINS0_14default_configENS1_35adjacent_difference_config_selectorILb1EiEEZNS1_24adjacent_difference_implIS3_Lb1ELb0EPiN6thrust23THRUST_200600_302600_NS16discard_iteratorINS9_11use_defaultEEENS9_5minusIiEEEE10hipError_tPvRmT2_T3_mT4_P12ihipStream_tbEUlT_E_NS1_11comp_targetILNS1_3genE9ELNS1_11target_archE1100ELNS1_3gpuE3ELNS1_3repE0EEENS1_30default_config_static_selectorELNS0_4arch9wavefront6targetE0EEEvT1_
; %bb.0:
	s_clause 0x1
	s_load_b128 s[4:7], s[0:1], 0x0
	s_load_b64 s[30:31], s[0:1], 0x20
	s_mov_b32 s8, s15
	s_waitcnt lgkmcnt(0)
	s_lshl_b64 s[2:3], s[6:7], 2
	s_mov_b32 s6, 0x411a7a30
	s_add_u32 s14, s4, s2
	s_addc_u32 s15, s5, s3
	s_add_u32 s2, 0x76, s6
	s_addc_u32 s3, 0, 0
	v_add_co_u32 v1, s2, 0x20000000, s2
	s_delay_alu instid0(VALU_DEP_1) | instskip(SKIP_1) | instid1(VALU_DEP_1)
	s_cmp_lg_u32 s2, 0
	s_addc_u32 s3, s3, 0x11a7b9
	v_readfirstlane_b32 s2, v1
	s_mul_i32 s4, s3, 0xfffff180
	s_delay_alu instid0(VALU_DEP_1)
	s_mul_hi_u32 s5, s2, 0xfffff180
	s_mul_i32 s6, s2, 0xfffff180
	s_sub_i32 s5, s5, s2
	s_mul_hi_u32 s7, s2, s6
	s_add_i32 s5, s5, s4
	s_mul_hi_u32 s9, s3, s6
	s_mul_i32 s4, s3, s6
	s_mul_hi_u32 s6, s2, s5
	s_mul_i32 s2, s2, s5
	s_mul_hi_u32 s10, s3, s5
	s_add_u32 s2, s7, s2
	s_addc_u32 s6, 0, s6
	s_add_u32 s2, s2, s4
	s_mul_i32 s5, s3, s5
	s_addc_u32 s2, s6, s9
	s_addc_u32 s4, s10, 0
	s_add_u32 s2, s2, s5
	s_addc_u32 s4, 0, s4
	v_add_co_u32 v1, s2, v1, s2
	s_delay_alu instid0(VALU_DEP_1) | instskip(SKIP_1) | instid1(VALU_DEP_1)
	s_cmp_lg_u32 s2, 0
	s_addc_u32 s2, s3, s4
	v_readfirstlane_b32 s3, v1
	s_mul_i32 s5, s30, s2
	s_mul_hi_u32 s4, s30, s2
	s_mul_hi_u32 s6, s31, s2
	s_mul_i32 s2, s31, s2
	s_mul_hi_u32 s7, s30, s3
	s_mul_hi_u32 s9, s31, s3
	s_mul_i32 s3, s31, s3
	s_add_u32 s5, s7, s5
	s_addc_u32 s4, 0, s4
	s_add_u32 s3, s5, s3
	s_addc_u32 s3, s4, s9
	s_addc_u32 s4, s6, 0
	s_add_u32 s2, s3, s2
	s_addc_u32 s3, 0, s4
	s_mul_i32 s5, s2, 0xe80
	s_add_u32 s4, s2, 1
	v_sub_co_u32 v1, s5, s30, s5
	s_mul_hi_u32 s6, s2, 0xe80
	s_addc_u32 s7, s3, 0
	s_mul_i32 s9, s3, 0xe80
	s_delay_alu instid0(VALU_DEP_1)
	v_subrev_co_u32 v2, s10, 0xe80, v1
	s_add_u32 s11, s2, 2
	s_addc_u32 s12, s3, 0
	s_add_i32 s6, s6, s9
	s_cmp_lg_u32 s5, 0
	v_readfirstlane_b32 s5, v2
	s_subb_u32 s6, s31, s6
	s_cmp_lg_u32 s10, 0
	s_subb_u32 s9, s6, 0
	s_delay_alu instid0(VALU_DEP_1) | instskip(SKIP_4) | instid1(SALU_CYCLE_1)
	s_cmpk_gt_u32 s5, 0xe7f
	s_cselect_b32 s5, -1, 0
	s_cmp_eq_u32 s9, 0
	v_readfirstlane_b32 s9, v1
	s_cselect_b32 s5, s5, -1
	s_cmp_lg_u32 s5, 0
	s_cselect_b32 s10, s11, s4
	s_cselect_b32 s11, s12, s7
	s_cmpk_gt_u32 s9, 0xe7f
	s_cselect_b32 s4, -1, 0
	s_cmp_eq_u32 s6, 0
	s_cselect_b32 s4, s4, -1
	s_delay_alu instid0(SALU_CYCLE_1)
	s_cmp_lg_u32 s4, 0
	s_load_b128 s[4:7], s[0:1], 0x30
	s_cselect_b32 s3, s11, s3
	s_cselect_b32 s2, s10, s2
	s_mul_i32 s0, s3, 0xe80
	s_mul_hi_u32 s1, s2, 0xe80
	s_mul_i32 s9, s2, 0xe80
	s_add_i32 s1, s1, s0
	s_sub_u32 s0, s30, s9
	s_subb_u32 s1, s31, s1
	s_mul_i32 s10, s8, 0xe80
	s_cmp_lg_u64 s[0:1], 0
	s_mov_b32 s9, 0
	s_cselect_b32 s0, -1, 0
	s_mov_b32 s1, -1
	v_cndmask_b32_e64 v1, 0, 1, s0
	s_delay_alu instid0(VALU_DEP_1) | instskip(NEXT) | instid1(VALU_DEP_1)
	v_add_co_u32 v1, s0, s2, v1
	v_add_co_ci_u32_e64 v2, null, s3, 0, s0
	s_waitcnt lgkmcnt(0)
	s_add_u32 s2, s6, s8
	s_delay_alu instid0(VALU_DEP_2) | instskip(NEXT) | instid1(VALU_DEP_2)
	v_add_co_u32 v31, vcc_lo, v1, -1
	v_add_co_ci_u32_e32 v32, vcc_lo, -1, v2, vcc_lo
	s_addc_u32 s3, s7, 0
	s_delay_alu instid0(VALU_DEP_1) | instid1(SALU_CYCLE_1)
	v_cmp_ge_u64_e64 s0, s[2:3], v[31:32]
	s_delay_alu instid0(VALU_DEP_1)
	s_and_b32 vcc_lo, exec_lo, s0
	s_cbranch_vccz .LBB890_60
; %bb.1:
	v_mul_lo_u32 v3, 0xfffff180, v31
	s_mov_b32 s11, s9
	s_mov_b32 s1, exec_lo
	s_lshl_b64 s[12:13], s[10:11], 2
	s_delay_alu instid0(SALU_CYCLE_1) | instskip(SKIP_1) | instid1(VALU_DEP_1)
	s_add_u32 s12, s14, s12
	s_addc_u32 s13, s15, s13
	v_add_nc_u32_e32 v4, s30, v3
                                        ; implicit-def: $vgpr3
	s_delay_alu instid0(VALU_DEP_1)
	v_cmpx_lt_u32_e64 v0, v4
	s_cbranch_execz .LBB890_3
; %bb.2:
	v_lshlrev_b32_e32 v3, 2, v0
	global_load_b32 v3, v3, s[12:13]
.LBB890_3:
	s_or_b32 exec_lo, exec_lo, s1
	v_or_b32_e32 v5, 0x80, v0
	s_delay_alu instid0(VALU_DEP_1)
	v_cmp_lt_u32_e32 vcc_lo, v5, v4
                                        ; implicit-def: $vgpr5
	s_and_saveexec_b32 s1, vcc_lo
	s_cbranch_execz .LBB890_5
; %bb.4:
	v_lshlrev_b32_e32 v5, 2, v0
	global_load_b32 v5, v5, s[12:13] offset:512
.LBB890_5:
	s_or_b32 exec_lo, exec_lo, s1
	v_or_b32_e32 v6, 0x100, v0
	s_delay_alu instid0(VALU_DEP_1)
	v_cmp_lt_u32_e32 vcc_lo, v6, v4
                                        ; implicit-def: $vgpr6
	s_and_saveexec_b32 s1, vcc_lo
	s_cbranch_execz .LBB890_7
; %bb.6:
	v_lshlrev_b32_e32 v6, 2, v0
	global_load_b32 v6, v6, s[12:13] offset:1024
.LBB890_7:
	s_or_b32 exec_lo, exec_lo, s1
	v_or_b32_e32 v7, 0x180, v0
	s_delay_alu instid0(VALU_DEP_1)
	v_cmp_lt_u32_e32 vcc_lo, v7, v4
                                        ; implicit-def: $vgpr7
	s_and_saveexec_b32 s1, vcc_lo
	s_cbranch_execz .LBB890_9
; %bb.8:
	v_lshlrev_b32_e32 v7, 2, v0
	global_load_b32 v7, v7, s[12:13] offset:1536
.LBB890_9:
	s_or_b32 exec_lo, exec_lo, s1
	v_or_b32_e32 v8, 0x200, v0
	s_delay_alu instid0(VALU_DEP_1)
	v_cmp_lt_u32_e32 vcc_lo, v8, v4
                                        ; implicit-def: $vgpr8
	s_and_saveexec_b32 s1, vcc_lo
	s_cbranch_execz .LBB890_11
; %bb.10:
	v_lshlrev_b32_e32 v8, 2, v0
	global_load_b32 v8, v8, s[12:13] offset:2048
.LBB890_11:
	s_or_b32 exec_lo, exec_lo, s1
	v_or_b32_e32 v9, 0x280, v0
	s_delay_alu instid0(VALU_DEP_1)
	v_cmp_lt_u32_e32 vcc_lo, v9, v4
                                        ; implicit-def: $vgpr9
	s_and_saveexec_b32 s1, vcc_lo
	s_cbranch_execz .LBB890_13
; %bb.12:
	v_lshlrev_b32_e32 v9, 2, v0
	global_load_b32 v9, v9, s[12:13] offset:2560
.LBB890_13:
	s_or_b32 exec_lo, exec_lo, s1
	v_or_b32_e32 v10, 0x300, v0
	s_delay_alu instid0(VALU_DEP_1)
	v_cmp_lt_u32_e32 vcc_lo, v10, v4
                                        ; implicit-def: $vgpr10
	s_and_saveexec_b32 s1, vcc_lo
	s_cbranch_execz .LBB890_15
; %bb.14:
	v_lshlrev_b32_e32 v10, 2, v0
	global_load_b32 v10, v10, s[12:13] offset:3072
.LBB890_15:
	s_or_b32 exec_lo, exec_lo, s1
	v_or_b32_e32 v11, 0x380, v0
	s_delay_alu instid0(VALU_DEP_1)
	v_cmp_lt_u32_e32 vcc_lo, v11, v4
                                        ; implicit-def: $vgpr11
	s_and_saveexec_b32 s1, vcc_lo
	s_cbranch_execz .LBB890_17
; %bb.16:
	v_lshlrev_b32_e32 v11, 2, v0
	global_load_b32 v11, v11, s[12:13] offset:3584
.LBB890_17:
	s_or_b32 exec_lo, exec_lo, s1
	v_or_b32_e32 v13, 0x400, v0
	s_mov_b32 s1, exec_lo
                                        ; implicit-def: $vgpr12
	s_delay_alu instid0(VALU_DEP_1)
	v_cmpx_lt_u32_e64 v13, v4
	s_cbranch_execz .LBB890_19
; %bb.18:
	v_lshlrev_b32_e32 v12, 2, v13
	global_load_b32 v12, v12, s[12:13]
.LBB890_19:
	s_or_b32 exec_lo, exec_lo, s1
	v_or_b32_e32 v14, 0x480, v0
	s_mov_b32 s1, exec_lo
                                        ; implicit-def: $vgpr13
	s_delay_alu instid0(VALU_DEP_1)
	v_cmpx_lt_u32_e64 v14, v4
	s_cbranch_execz .LBB890_21
; %bb.20:
	v_lshlrev_b32_e32 v13, 2, v14
	global_load_b32 v13, v13, s[12:13]
.LBB890_21:
	s_or_b32 exec_lo, exec_lo, s1
	v_or_b32_e32 v15, 0x500, v0
	s_mov_b32 s1, exec_lo
                                        ; implicit-def: $vgpr14
	s_delay_alu instid0(VALU_DEP_1)
	v_cmpx_lt_u32_e64 v15, v4
	s_cbranch_execz .LBB890_23
; %bb.22:
	v_lshlrev_b32_e32 v14, 2, v15
	global_load_b32 v14, v14, s[12:13]
.LBB890_23:
	s_or_b32 exec_lo, exec_lo, s1
	v_or_b32_e32 v16, 0x580, v0
	s_mov_b32 s1, exec_lo
                                        ; implicit-def: $vgpr15
	s_delay_alu instid0(VALU_DEP_1)
	v_cmpx_lt_u32_e64 v16, v4
	s_cbranch_execz .LBB890_25
; %bb.24:
	v_lshlrev_b32_e32 v15, 2, v16
	global_load_b32 v15, v15, s[12:13]
.LBB890_25:
	s_or_b32 exec_lo, exec_lo, s1
	v_or_b32_e32 v17, 0x600, v0
	s_mov_b32 s1, exec_lo
                                        ; implicit-def: $vgpr16
	s_delay_alu instid0(VALU_DEP_1)
	v_cmpx_lt_u32_e64 v17, v4
	s_cbranch_execz .LBB890_27
; %bb.26:
	v_lshlrev_b32_e32 v16, 2, v17
	global_load_b32 v16, v16, s[12:13]
.LBB890_27:
	s_or_b32 exec_lo, exec_lo, s1
	v_or_b32_e32 v18, 0x680, v0
	s_mov_b32 s1, exec_lo
                                        ; implicit-def: $vgpr17
	s_delay_alu instid0(VALU_DEP_1)
	v_cmpx_lt_u32_e64 v18, v4
	s_cbranch_execz .LBB890_29
; %bb.28:
	v_lshlrev_b32_e32 v17, 2, v18
	global_load_b32 v17, v17, s[12:13]
.LBB890_29:
	s_or_b32 exec_lo, exec_lo, s1
	v_or_b32_e32 v19, 0x700, v0
	s_mov_b32 s1, exec_lo
                                        ; implicit-def: $vgpr18
	s_delay_alu instid0(VALU_DEP_1)
	v_cmpx_lt_u32_e64 v19, v4
	s_cbranch_execz .LBB890_31
; %bb.30:
	v_lshlrev_b32_e32 v18, 2, v19
	global_load_b32 v18, v18, s[12:13]
.LBB890_31:
	s_or_b32 exec_lo, exec_lo, s1
	v_or_b32_e32 v20, 0x780, v0
	s_mov_b32 s1, exec_lo
                                        ; implicit-def: $vgpr19
	s_delay_alu instid0(VALU_DEP_1)
	v_cmpx_lt_u32_e64 v20, v4
	s_cbranch_execz .LBB890_33
; %bb.32:
	v_lshlrev_b32_e32 v19, 2, v20
	global_load_b32 v19, v19, s[12:13]
.LBB890_33:
	s_or_b32 exec_lo, exec_lo, s1
	v_or_b32_e32 v21, 0x800, v0
	s_mov_b32 s1, exec_lo
                                        ; implicit-def: $vgpr20
	s_delay_alu instid0(VALU_DEP_1)
	v_cmpx_lt_u32_e64 v21, v4
	s_cbranch_execz .LBB890_35
; %bb.34:
	v_lshlrev_b32_e32 v20, 2, v21
	global_load_b32 v20, v20, s[12:13]
.LBB890_35:
	s_or_b32 exec_lo, exec_lo, s1
	v_or_b32_e32 v22, 0x880, v0
	s_mov_b32 s1, exec_lo
                                        ; implicit-def: $vgpr21
	s_delay_alu instid0(VALU_DEP_1)
	v_cmpx_lt_u32_e64 v22, v4
	s_cbranch_execz .LBB890_37
; %bb.36:
	v_lshlrev_b32_e32 v21, 2, v22
	global_load_b32 v21, v21, s[12:13]
.LBB890_37:
	s_or_b32 exec_lo, exec_lo, s1
	v_or_b32_e32 v23, 0x900, v0
	s_mov_b32 s1, exec_lo
                                        ; implicit-def: $vgpr22
	s_delay_alu instid0(VALU_DEP_1)
	v_cmpx_lt_u32_e64 v23, v4
	s_cbranch_execz .LBB890_39
; %bb.38:
	v_lshlrev_b32_e32 v22, 2, v23
	global_load_b32 v22, v22, s[12:13]
.LBB890_39:
	s_or_b32 exec_lo, exec_lo, s1
	v_or_b32_e32 v24, 0x980, v0
	s_mov_b32 s1, exec_lo
                                        ; implicit-def: $vgpr23
	s_delay_alu instid0(VALU_DEP_1)
	v_cmpx_lt_u32_e64 v24, v4
	s_cbranch_execz .LBB890_41
; %bb.40:
	v_lshlrev_b32_e32 v23, 2, v24
	global_load_b32 v23, v23, s[12:13]
.LBB890_41:
	s_or_b32 exec_lo, exec_lo, s1
	v_or_b32_e32 v25, 0xa00, v0
	s_mov_b32 s1, exec_lo
                                        ; implicit-def: $vgpr24
	s_delay_alu instid0(VALU_DEP_1)
	v_cmpx_lt_u32_e64 v25, v4
	s_cbranch_execz .LBB890_43
; %bb.42:
	v_lshlrev_b32_e32 v24, 2, v25
	global_load_b32 v24, v24, s[12:13]
.LBB890_43:
	s_or_b32 exec_lo, exec_lo, s1
	v_or_b32_e32 v26, 0xa80, v0
	s_mov_b32 s1, exec_lo
                                        ; implicit-def: $vgpr25
	s_delay_alu instid0(VALU_DEP_1)
	v_cmpx_lt_u32_e64 v26, v4
	s_cbranch_execz .LBB890_45
; %bb.44:
	v_lshlrev_b32_e32 v25, 2, v26
	global_load_b32 v25, v25, s[12:13]
.LBB890_45:
	s_or_b32 exec_lo, exec_lo, s1
	v_or_b32_e32 v27, 0xb00, v0
	s_mov_b32 s1, exec_lo
                                        ; implicit-def: $vgpr26
	s_delay_alu instid0(VALU_DEP_1)
	v_cmpx_lt_u32_e64 v27, v4
	s_cbranch_execz .LBB890_47
; %bb.46:
	v_lshlrev_b32_e32 v26, 2, v27
	global_load_b32 v26, v26, s[12:13]
.LBB890_47:
	s_or_b32 exec_lo, exec_lo, s1
	v_or_b32_e32 v28, 0xb80, v0
	s_mov_b32 s1, exec_lo
                                        ; implicit-def: $vgpr27
	s_delay_alu instid0(VALU_DEP_1)
	v_cmpx_lt_u32_e64 v28, v4
	s_cbranch_execz .LBB890_49
; %bb.48:
	v_lshlrev_b32_e32 v27, 2, v28
	global_load_b32 v27, v27, s[12:13]
.LBB890_49:
	s_or_b32 exec_lo, exec_lo, s1
	v_or_b32_e32 v29, 0xc00, v0
	s_mov_b32 s1, exec_lo
                                        ; implicit-def: $vgpr28
	s_delay_alu instid0(VALU_DEP_1)
	v_cmpx_lt_u32_e64 v29, v4
	s_cbranch_execz .LBB890_51
; %bb.50:
	v_lshlrev_b32_e32 v28, 2, v29
	global_load_b32 v28, v28, s[12:13]
.LBB890_51:
	s_or_b32 exec_lo, exec_lo, s1
	v_or_b32_e32 v30, 0xc80, v0
	s_mov_b32 s1, exec_lo
                                        ; implicit-def: $vgpr29
	s_delay_alu instid0(VALU_DEP_1)
	v_cmpx_lt_u32_e64 v30, v4
	s_cbranch_execz .LBB890_53
; %bb.52:
	v_lshlrev_b32_e32 v29, 2, v30
	global_load_b32 v29, v29, s[12:13]
.LBB890_53:
	s_or_b32 exec_lo, exec_lo, s1
	v_or_b32_e32 v33, 0xd00, v0
	s_mov_b32 s1, exec_lo
                                        ; implicit-def: $vgpr30
	s_delay_alu instid0(VALU_DEP_1)
	v_cmpx_lt_u32_e64 v33, v4
	s_cbranch_execz .LBB890_55
; %bb.54:
	v_lshlrev_b32_e32 v30, 2, v33
	global_load_b32 v30, v30, s[12:13]
.LBB890_55:
	s_or_b32 exec_lo, exec_lo, s1
	v_or_b32_e32 v34, 0xd80, v0
	s_mov_b32 s1, exec_lo
                                        ; implicit-def: $vgpr33
	s_delay_alu instid0(VALU_DEP_1)
	v_cmpx_lt_u32_e64 v34, v4
	s_cbranch_execz .LBB890_57
; %bb.56:
	v_lshlrev_b32_e32 v33, 2, v34
	global_load_b32 v33, v33, s[12:13]
.LBB890_57:
	s_or_b32 exec_lo, exec_lo, s1
	v_or_b32_e32 v34, 0xe00, v0
	s_delay_alu instid0(VALU_DEP_1)
	v_cmp_lt_u32_e32 vcc_lo, v34, v4
                                        ; implicit-def: $vgpr4
	s_and_saveexec_b32 s1, vcc_lo
	s_cbranch_execz .LBB890_59
; %bb.58:
	v_lshlrev_b32_e32 v4, 2, v34
	global_load_b32 v4, v4, s[12:13]
.LBB890_59:
	s_or_b32 exec_lo, exec_lo, s1
	v_lshlrev_b32_e32 v34, 2, v0
	s_mov_b32 s1, 0
	s_waitcnt vmcnt(0)
	ds_store_2addr_stride64_b32 v34, v3, v5 offset1:2
	ds_store_2addr_stride64_b32 v34, v6, v7 offset0:4 offset1:6
	ds_store_2addr_stride64_b32 v34, v8, v9 offset0:8 offset1:10
	;; [unrolled: 1-line block ×13, first 2 shown]
	ds_store_b32 v34, v4 offset:14336
	s_waitcnt lgkmcnt(0)
	s_barrier
.LBB890_60:
	v_lshlrev_b32_e32 v34, 2, v0
	s_and_b32 vcc_lo, exec_lo, s1
	s_cbranch_vccz .LBB890_62
; %bb.61:
	s_mov_b32 s11, 0
	s_delay_alu instid0(SALU_CYCLE_1) | instskip(NEXT) | instid1(SALU_CYCLE_1)
	s_lshl_b64 s[10:11], s[10:11], 2
	s_add_u32 s10, s14, s10
	s_addc_u32 s11, s15, s11
	v_add_co_u32 v9, s1, s10, v34
	s_delay_alu instid0(VALU_DEP_1)
	v_add_co_ci_u32_e64 v10, null, s11, 0, s1
	s_clause 0x6
	global_load_b32 v11, v34, s[10:11] offset:512
	global_load_b32 v12, v34, s[10:11] offset:1024
	;; [unrolled: 1-line block ×7, first 2 shown]
	v_add_co_u32 v3, vcc_lo, v9, 0x2000
	v_add_co_ci_u32_e32 v4, vcc_lo, 0, v10, vcc_lo
	v_add_co_u32 v5, vcc_lo, 0x1000, v9
	v_add_co_ci_u32_e32 v6, vcc_lo, 0, v10, vcc_lo
	;; [unrolled: 2-line block ×3, first 2 shown]
	s_clause 0xa
	global_load_b32 v18, v[3:4], off offset:-4096
	global_load_b32 v19, v34, s[10:11]
	global_load_b32 v20, v[3:4], off
	global_load_b32 v21, v[5:6], off offset:512
	global_load_b32 v22, v[5:6], off offset:1024
	;; [unrolled: 1-line block ×8, first 2 shown]
	v_add_co_u32 v3, vcc_lo, 0x3000, v9
	v_add_co_ci_u32_e32 v4, vcc_lo, 0, v10, vcc_lo
	s_clause 0xa
	global_load_b32 v9, v[7:8], off offset:1024
	global_load_b32 v10, v[7:8], off offset:1536
	;; [unrolled: 1-line block ×6, first 2 shown]
	global_load_b32 v8, v[3:4], off
	global_load_b32 v30, v[3:4], off offset:512
	global_load_b32 v33, v[3:4], off offset:1024
	;; [unrolled: 1-line block ×4, first 2 shown]
	s_waitcnt vmcnt(20)
	ds_store_2addr_stride64_b32 v34, v19, v11 offset1:2
	ds_store_2addr_stride64_b32 v34, v12, v13 offset0:4 offset1:6
	ds_store_2addr_stride64_b32 v34, v14, v15 offset0:8 offset1:10
	;; [unrolled: 1-line block ×3, first 2 shown]
	s_waitcnt vmcnt(18)
	ds_store_2addr_stride64_b32 v34, v18, v21 offset0:16 offset1:18
	s_waitcnt vmcnt(16)
	ds_store_2addr_stride64_b32 v34, v22, v23 offset0:20 offset1:22
	;; [unrolled: 2-line block ×10, first 2 shown]
	s_waitcnt vmcnt(0)
	ds_store_b32 v34, v3 offset:14336
	s_waitcnt lgkmcnt(0)
	s_barrier
.LBB890_62:
	v_mul_u32_u24_e32 v3, 29, v0
	buffer_gl0_inv
	s_cmp_eq_u64 s[2:3], 0
	v_lshlrev_b32_e32 v29, 2, v3
	ds_load_b32 v33, v29 offset:112
	ds_load_2addr_b32 v[3:4], v29 offset0:26 offset1:27
	ds_load_2addr_b32 v[5:6], v29 offset0:24 offset1:25
	ds_load_2addr_b32 v[7:8], v29 offset1:1
	ds_load_2addr_b32 v[9:10], v29 offset0:2 offset1:3
	ds_load_2addr_b32 v[11:12], v29 offset0:4 offset1:5
	;; [unrolled: 1-line block ×11, first 2 shown]
	s_waitcnt lgkmcnt(0)
	s_barrier
	buffer_gl0_inv
	s_cbranch_scc1 .LBB890_67
; %bb.63:
	s_lshl_b64 s[6:7], s[6:7], 2
	v_cmp_eq_u64_e32 vcc_lo, s[2:3], v[31:32]
	s_add_u32 s1, s4, s6
	s_addc_u32 s6, s5, s7
	s_lshl_b64 s[4:5], s[8:9], 2
	s_delay_alu instid0(SALU_CYCLE_1)
	s_add_u32 s1, s1, s4
	s_addc_u32 s5, s6, s5
	s_add_u32 s4, s1, -4
	s_addc_u32 s5, s5, -1
	s_load_b32 s1, s[4:5], 0x0
	s_cbranch_vccnz .LBB890_68
; %bb.64:
	s_waitcnt lgkmcnt(0)
	v_mov_b32_e32 v31, s1
	s_mov_b32 s3, 0
	s_mov_b32 s4, exec_lo
	ds_store_b32 v34, v33
	s_waitcnt lgkmcnt(0)
	s_barrier
	buffer_gl0_inv
	v_cmpx_ne_u32_e32 0, v0
	s_cbranch_execz .LBB890_66
; %bb.65:
	v_add_nc_u32_e32 v31, -4, v34
	ds_load_b32 v31, v31
.LBB890_66:
	s_or_b32 exec_lo, exec_lo, s4
	s_waitcnt lgkmcnt(0)
	v_sub_nc_u32_e32 v31, v7, v31
	s_branch .LBB890_69
.LBB890_67:
                                        ; implicit-def: $vgpr31
                                        ; implicit-def: $vgpr61
                                        ; implicit-def: $vgpr60
                                        ; implicit-def: $vgpr59
                                        ; implicit-def: $vgpr58
                                        ; implicit-def: $vgpr57
                                        ; implicit-def: $vgpr56
                                        ; implicit-def: $vgpr55
                                        ; implicit-def: $vgpr54
                                        ; implicit-def: $vgpr53
                                        ; implicit-def: $vgpr52
                                        ; implicit-def: $vgpr51
                                        ; implicit-def: $vgpr50
                                        ; implicit-def: $vgpr49
                                        ; implicit-def: $vgpr48
                                        ; implicit-def: $vgpr47
                                        ; implicit-def: $vgpr46
                                        ; implicit-def: $vgpr45
                                        ; implicit-def: $vgpr44
                                        ; implicit-def: $vgpr43
                                        ; implicit-def: $vgpr42
                                        ; implicit-def: $vgpr41
                                        ; implicit-def: $vgpr40
                                        ; implicit-def: $vgpr39
                                        ; implicit-def: $vgpr38
                                        ; implicit-def: $vgpr37
                                        ; implicit-def: $vgpr36
                                        ; implicit-def: $vgpr35
                                        ; implicit-def: $vgpr32
	s_branch .LBB890_74
.LBB890_68:
	s_mov_b32 s3, -1
                                        ; implicit-def: $vgpr31
.LBB890_69:
	v_dual_mov_b32 v61, v7 :: v_dual_mov_b32 v60, v8
	v_dual_mov_b32 v59, v9 :: v_dual_mov_b32 v58, v10
	;; [unrolled: 1-line block ×14, first 2 shown]
	s_and_b32 vcc_lo, exec_lo, s3
	s_cbranch_vccz .LBB890_73
; %bb.70:
	v_mul_u32_u24_e32 v31, 29, v0
	s_waitcnt lgkmcnt(0)
	v_mov_b32_e32 v60, s1
	s_mov_b32 s1, exec_lo
	ds_store_b32 v34, v33
	s_waitcnt lgkmcnt(0)
	s_barrier
	buffer_gl0_inv
	v_cmpx_ne_u32_e32 0, v0
	s_cbranch_execz .LBB890_72
; %bb.71:
	v_add_nc_u32_e32 v32, -4, v34
	ds_load_b32 v60, v32
.LBB890_72:
	s_or_b32 exec_lo, exec_lo, s1
	v_add_nc_u32_e32 v32, 28, v31
	s_mul_i32 s1, s2, 0xfffff180
	v_add_nc_u32_e32 v36, 26, v31
	s_add_i32 s1, s1, s30
	v_add_nc_u32_e32 v37, 25, v31
	v_cmp_gt_u32_e32 vcc_lo, s1, v32
	v_add_nc_u32_e32 v35, 27, v31
	v_add_nc_u32_e32 v38, 24, v31
	v_add_nc_u32_e32 v39, 23, v31
	v_add_nc_u32_e32 v40, 22, v31
	v_cndmask_b32_e32 v32, 0, v4, vcc_lo
	v_cmp_gt_u32_e32 vcc_lo, s1, v35
	v_add_nc_u32_e32 v41, 21, v31
	v_add_nc_u32_e32 v42, 20, v31
	v_add_nc_u32_e32 v43, 19, v31
	v_add_nc_u32_e32 v44, 18, v31
	v_cndmask_b32_e32 v35, 0, v3, vcc_lo
	;; [unrolled: 6-line block ×3, first 2 shown]
	v_cmp_gt_u32_e32 vcc_lo, s1, v37
	v_add_nc_u32_e32 v49, 13, v31
	v_add_nc_u32_e32 v50, 12, v31
	v_add_nc_u32_e32 v51, 11, v31
	v_dual_cndmask_b32 v37, 0, v5 :: v_dual_add_nc_u32 v52, 10, v31
	v_cmp_gt_u32_e32 vcc_lo, s1, v38
	v_add_nc_u32_e32 v53, 9, v31
	v_add_nc_u32_e32 v54, 8, v31
	;; [unrolled: 1-line block ×4, first 2 shown]
	v_cndmask_b32_e32 v38, 0, v30, vcc_lo
	v_cmp_gt_u32_e32 vcc_lo, s1, v39
	v_add_nc_u32_e32 v57, 5, v31
	v_add_nc_u32_e32 v58, 4, v31
	;; [unrolled: 1-line block ×4, first 2 shown]
	v_cndmask_b32_e32 v39, 0, v29, vcc_lo
	v_cmp_gt_u32_e32 vcc_lo, s1, v40
	v_add_nc_u32_e32 v62, 1, v31
	v_cndmask_b32_e32 v40, 0, v28, vcc_lo
	v_cmp_gt_u32_e32 vcc_lo, s1, v41
	v_cndmask_b32_e32 v41, 0, v27, vcc_lo
	v_cmp_gt_u32_e32 vcc_lo, s1, v42
	;; [unrolled: 2-line block ×20, first 2 shown]
	s_waitcnt lgkmcnt(0)
	v_cndmask_b32_e32 v31, 0, v60, vcc_lo
	v_cmp_gt_u32_e32 vcc_lo, s1, v61
	s_delay_alu instid0(VALU_DEP_2)
	v_sub_nc_u32_e32 v31, v7, v31
	v_cndmask_b32_e32 v60, 0, v8, vcc_lo
	v_cmp_gt_u32_e32 vcc_lo, s1, v62
	v_cndmask_b32_e32 v61, 0, v7, vcc_lo
.LBB890_73:
	s_waitcnt lgkmcnt(0)
	s_cbranch_execnz .LBB890_84
.LBB890_74:
	v_cmp_eq_u64_e32 vcc_lo, 1, v[1:2]
	v_cmp_ne_u32_e64 s1, 0, v0
	s_cbranch_vccnz .LBB890_78
; %bb.75:
	v_mov_b32_e32 v1, 0
	v_mov_b32_e32 v31, v7
	s_mov_b32 s2, 0
	ds_store_b32 v34, v33
	s_waitcnt lgkmcnt(0)
	s_barrier
	buffer_gl0_inv
	s_and_saveexec_b32 s3, s1
	s_cbranch_execz .LBB890_77
; %bb.76:
	v_add_nc_u32_e32 v1, -4, v34
	ds_load_b32 v1, v1
	s_waitcnt lgkmcnt(0)
	v_sub_nc_u32_e32 v31, v7, v1
	v_mov_b32_e32 v1, v0
.LBB890_77:
	s_or_b32 exec_lo, exec_lo, s3
	s_branch .LBB890_79
.LBB890_78:
	s_mov_b32 s2, -1
                                        ; implicit-def: $vgpr31
                                        ; implicit-def: $vgpr1
.LBB890_79:
	v_dual_mov_b32 v60, v8 :: v_dual_mov_b32 v59, v9
	v_dual_mov_b32 v58, v10 :: v_dual_mov_b32 v57, v11
	;; [unrolled: 1-line block ×13, first 2 shown]
	v_mov_b32_e32 v32, v4
	s_and_not1_b32 vcc_lo, exec_lo, s2
	s_cbranch_vccnz .LBB890_83
; %bb.80:
	v_mad_u32_u24 v1, v0, 29, 28
	v_mad_u32_u24 v2, v0, 29, 27
	;; [unrolled: 1-line block ×4, first 2 shown]
	v_mul_u32_u24_e32 v31, 29, v0
	v_cmp_gt_u32_e32 vcc_lo, s30, v1
	v_mad_u32_u24 v1, v0, 29, 25
	v_cmp_gt_u32_e64 s1, s30, v2
	v_mad_u32_u24 v2, v0, 29, 24
	v_cmp_gt_u32_e64 s2, s30, v32
	;; [unrolled: 2-line block ×5, first 2 shown]
	v_cmp_gt_u32_e64 s6, s30, v35
	v_cmp_gt_u32_e64 s7, s30, v1
	v_mad_u32_u24 v1, v0, 29, 18
	v_cmp_gt_u32_e64 s8, s30, v2
	v_mad_u32_u24 v2, v0, 29, 16
	v_mad_u32_u24 v32, v0, 29, 19
	;; [unrolled: 1-line block ×3, first 2 shown]
	v_cmp_gt_u32_e64 s10, s30, v1
	v_mad_u32_u24 v1, v0, 29, 15
	v_cmp_gt_u32_e64 s12, s30, v2
	v_mad_u32_u24 v2, v0, 29, 13
	v_cmp_gt_u32_e64 s9, s30, v32
	v_cmp_gt_u32_e64 s11, s30, v35
	;; [unrolled: 1-line block ×3, first 2 shown]
	v_mad_u32_u24 v1, v0, 29, 11
	v_mad_u32_u24 v32, v0, 29, 14
	;; [unrolled: 1-line block ×3, first 2 shown]
	v_cmp_gt_u32_e64 s15, s30, v2
	v_mad_u32_u24 v2, v0, 29, 10
	v_cmp_gt_u32_e64 s17, s30, v1
	v_mad_u32_u24 v1, v0, 29, 8
	v_cmp_gt_u32_e64 s14, s30, v32
	v_cmp_gt_u32_e64 s16, s30, v35
	v_mad_u32_u24 v32, v0, 29, 9
	v_mad_u32_u24 v35, v0, 29, 7
	v_cmp_gt_u32_e64 s18, s30, v2
	v_mad_u32_u24 v2, v0, 29, 6
	v_cmp_gt_u32_e64 s20, s30, v1
	;; [unrolled: 2-line block ×3, first 2 shown]
	v_cmp_gt_u32_e64 s21, s30, v35
	v_mad_u32_u24 v32, v0, 29, 4
	v_cmp_gt_u32_e64 s22, s30, v2
	v_mad_u32_u24 v2, v0, 29, 3
	v_mad_u32_u24 v35, v0, 29, 2
	v_cmp_gt_u32_e64 s23, s30, v1
	v_mad_u32_u24 v1, v0, 29, 1
	v_cmp_ne_u32_e64 s28, 0, v0
	v_cmp_gt_u32_e64 s29, s30, v31
	v_cmp_gt_u32_e64 s24, s30, v32
	;; [unrolled: 1-line block ×5, first 2 shown]
	v_mov_b32_e32 v31, v7
	s_and_b32 s29, s28, s29
	ds_store_b32 v34, v33
	s_waitcnt lgkmcnt(0)
	s_barrier
	buffer_gl0_inv
	s_and_saveexec_b32 s28, s29
	s_cbranch_execz .LBB890_82
; %bb.81:
	v_add_nc_u32_e32 v1, -4, v34
	ds_load_b32 v1, v1
	s_waitcnt lgkmcnt(0)
	v_sub_nc_u32_e32 v31, v7, v1
.LBB890_82:
	s_or_b32 exec_lo, exec_lo, s28
	v_dual_cndmask_b32 v32, 0, v4 :: v_dual_mov_b32 v1, v0
	v_cndmask_b32_e64 v35, 0, v3, s1
	v_cndmask_b32_e64 v36, 0, v6, s2
	;; [unrolled: 1-line block ×27, first 2 shown]
.LBB890_83:
	s_delay_alu instid0(VALU_DEP_1)
	v_dual_mov_b32 v0, v1 :: v_dual_mov_b32 v61, v7
.LBB890_84:
	s_delay_alu instid0(VALU_DEP_1) | instskip(NEXT) | instid1(VALU_DEP_2)
	v_sub_nc_u32_e32 v1, v8, v61
	v_mul_u32_u24_e32 v0, 0x74, v0
	v_sub_nc_u32_e32 v2, v9, v60
	v_sub_nc_u32_e32 v7, v10, v59
	;; [unrolled: 1-line block ×6, first 2 shown]
	s_and_b32 vcc_lo, exec_lo, s0
	s_mov_b32 s0, -1
	v_sub_nc_u32_e32 v12, v15, v54
	v_sub_nc_u32_e32 v13, v16, v53
	;; [unrolled: 1-line block ×21, first 2 shown]
	s_barrier
	buffer_gl0_inv
	ds_store_2addr_b32 v0, v31, v1 offset1:1
	ds_store_2addr_b32 v0, v2, v7 offset0:2 offset1:3
	ds_store_2addr_b32 v0, v8, v9 offset0:4 offset1:5
	;; [unrolled: 1-line block ×13, first 2 shown]
	ds_store_b32 v0, v28 offset:112
	s_waitcnt lgkmcnt(0)
	s_cbranch_vccnz .LBB890_87
; %bb.85:
	s_and_not1_b32 vcc_lo, exec_lo, s0
	s_cbranch_vccz .LBB890_88
.LBB890_86:
	buffer_gl0_inv
	s_endpgm
.LBB890_87:
	s_barrier
	s_cbranch_execnz .LBB890_86
.LBB890_88:
	s_barrier
	buffer_gl0_inv
	s_endpgm
	.section	.rodata,"a",@progbits
	.p2align	6, 0x0
	.amdhsa_kernel _ZN7rocprim17ROCPRIM_400000_NS6detail17trampoline_kernelINS0_14default_configENS1_35adjacent_difference_config_selectorILb1EiEEZNS1_24adjacent_difference_implIS3_Lb1ELb0EPiN6thrust23THRUST_200600_302600_NS16discard_iteratorINS9_11use_defaultEEENS9_5minusIiEEEE10hipError_tPvRmT2_T3_mT4_P12ihipStream_tbEUlT_E_NS1_11comp_targetILNS1_3genE9ELNS1_11target_archE1100ELNS1_3gpuE3ELNS1_3repE0EEENS1_30default_config_static_selectorELNS0_4arch9wavefront6targetE0EEEvT1_
		.amdhsa_group_segment_fixed_size 14848
		.amdhsa_private_segment_fixed_size 0
		.amdhsa_kernarg_size 64
		.amdhsa_user_sgpr_count 15
		.amdhsa_user_sgpr_dispatch_ptr 0
		.amdhsa_user_sgpr_queue_ptr 0
		.amdhsa_user_sgpr_kernarg_segment_ptr 1
		.amdhsa_user_sgpr_dispatch_id 0
		.amdhsa_user_sgpr_private_segment_size 0
		.amdhsa_wavefront_size32 1
		.amdhsa_uses_dynamic_stack 0
		.amdhsa_enable_private_segment 0
		.amdhsa_system_sgpr_workgroup_id_x 1
		.amdhsa_system_sgpr_workgroup_id_y 0
		.amdhsa_system_sgpr_workgroup_id_z 0
		.amdhsa_system_sgpr_workgroup_info 0
		.amdhsa_system_vgpr_workitem_id 0
		.amdhsa_next_free_vgpr 63
		.amdhsa_next_free_sgpr 32
		.amdhsa_reserve_vcc 1
		.amdhsa_float_round_mode_32 0
		.amdhsa_float_round_mode_16_64 0
		.amdhsa_float_denorm_mode_32 3
		.amdhsa_float_denorm_mode_16_64 3
		.amdhsa_dx10_clamp 1
		.amdhsa_ieee_mode 1
		.amdhsa_fp16_overflow 0
		.amdhsa_workgroup_processor_mode 1
		.amdhsa_memory_ordered 1
		.amdhsa_forward_progress 0
		.amdhsa_shared_vgpr_count 0
		.amdhsa_exception_fp_ieee_invalid_op 0
		.amdhsa_exception_fp_denorm_src 0
		.amdhsa_exception_fp_ieee_div_zero 0
		.amdhsa_exception_fp_ieee_overflow 0
		.amdhsa_exception_fp_ieee_underflow 0
		.amdhsa_exception_fp_ieee_inexact 0
		.amdhsa_exception_int_div_zero 0
	.end_amdhsa_kernel
	.section	.text._ZN7rocprim17ROCPRIM_400000_NS6detail17trampoline_kernelINS0_14default_configENS1_35adjacent_difference_config_selectorILb1EiEEZNS1_24adjacent_difference_implIS3_Lb1ELb0EPiN6thrust23THRUST_200600_302600_NS16discard_iteratorINS9_11use_defaultEEENS9_5minusIiEEEE10hipError_tPvRmT2_T3_mT4_P12ihipStream_tbEUlT_E_NS1_11comp_targetILNS1_3genE9ELNS1_11target_archE1100ELNS1_3gpuE3ELNS1_3repE0EEENS1_30default_config_static_selectorELNS0_4arch9wavefront6targetE0EEEvT1_,"axG",@progbits,_ZN7rocprim17ROCPRIM_400000_NS6detail17trampoline_kernelINS0_14default_configENS1_35adjacent_difference_config_selectorILb1EiEEZNS1_24adjacent_difference_implIS3_Lb1ELb0EPiN6thrust23THRUST_200600_302600_NS16discard_iteratorINS9_11use_defaultEEENS9_5minusIiEEEE10hipError_tPvRmT2_T3_mT4_P12ihipStream_tbEUlT_E_NS1_11comp_targetILNS1_3genE9ELNS1_11target_archE1100ELNS1_3gpuE3ELNS1_3repE0EEENS1_30default_config_static_selectorELNS0_4arch9wavefront6targetE0EEEvT1_,comdat
.Lfunc_end890:
	.size	_ZN7rocprim17ROCPRIM_400000_NS6detail17trampoline_kernelINS0_14default_configENS1_35adjacent_difference_config_selectorILb1EiEEZNS1_24adjacent_difference_implIS3_Lb1ELb0EPiN6thrust23THRUST_200600_302600_NS16discard_iteratorINS9_11use_defaultEEENS9_5minusIiEEEE10hipError_tPvRmT2_T3_mT4_P12ihipStream_tbEUlT_E_NS1_11comp_targetILNS1_3genE9ELNS1_11target_archE1100ELNS1_3gpuE3ELNS1_3repE0EEENS1_30default_config_static_selectorELNS0_4arch9wavefront6targetE0EEEvT1_, .Lfunc_end890-_ZN7rocprim17ROCPRIM_400000_NS6detail17trampoline_kernelINS0_14default_configENS1_35adjacent_difference_config_selectorILb1EiEEZNS1_24adjacent_difference_implIS3_Lb1ELb0EPiN6thrust23THRUST_200600_302600_NS16discard_iteratorINS9_11use_defaultEEENS9_5minusIiEEEE10hipError_tPvRmT2_T3_mT4_P12ihipStream_tbEUlT_E_NS1_11comp_targetILNS1_3genE9ELNS1_11target_archE1100ELNS1_3gpuE3ELNS1_3repE0EEENS1_30default_config_static_selectorELNS0_4arch9wavefront6targetE0EEEvT1_
                                        ; -- End function
	.section	.AMDGPU.csdata,"",@progbits
; Kernel info:
; codeLenInByte = 4664
; NumSgprs: 34
; NumVgprs: 63
; ScratchSize: 0
; MemoryBound: 0
; FloatMode: 240
; IeeeMode: 1
; LDSByteSize: 14848 bytes/workgroup (compile time only)
; SGPRBlocks: 4
; VGPRBlocks: 7
; NumSGPRsForWavesPerEU: 34
; NumVGPRsForWavesPerEU: 63
; Occupancy: 8
; WaveLimiterHint : 1
; COMPUTE_PGM_RSRC2:SCRATCH_EN: 0
; COMPUTE_PGM_RSRC2:USER_SGPR: 15
; COMPUTE_PGM_RSRC2:TRAP_HANDLER: 0
; COMPUTE_PGM_RSRC2:TGID_X_EN: 1
; COMPUTE_PGM_RSRC2:TGID_Y_EN: 0
; COMPUTE_PGM_RSRC2:TGID_Z_EN: 0
; COMPUTE_PGM_RSRC2:TIDIG_COMP_CNT: 0
	.section	.text._ZN7rocprim17ROCPRIM_400000_NS6detail17trampoline_kernelINS0_14default_configENS1_35adjacent_difference_config_selectorILb1EiEEZNS1_24adjacent_difference_implIS3_Lb1ELb0EPiN6thrust23THRUST_200600_302600_NS16discard_iteratorINS9_11use_defaultEEENS9_5minusIiEEEE10hipError_tPvRmT2_T3_mT4_P12ihipStream_tbEUlT_E_NS1_11comp_targetILNS1_3genE8ELNS1_11target_archE1030ELNS1_3gpuE2ELNS1_3repE0EEENS1_30default_config_static_selectorELNS0_4arch9wavefront6targetE0EEEvT1_,"axG",@progbits,_ZN7rocprim17ROCPRIM_400000_NS6detail17trampoline_kernelINS0_14default_configENS1_35adjacent_difference_config_selectorILb1EiEEZNS1_24adjacent_difference_implIS3_Lb1ELb0EPiN6thrust23THRUST_200600_302600_NS16discard_iteratorINS9_11use_defaultEEENS9_5minusIiEEEE10hipError_tPvRmT2_T3_mT4_P12ihipStream_tbEUlT_E_NS1_11comp_targetILNS1_3genE8ELNS1_11target_archE1030ELNS1_3gpuE2ELNS1_3repE0EEENS1_30default_config_static_selectorELNS0_4arch9wavefront6targetE0EEEvT1_,comdat
	.protected	_ZN7rocprim17ROCPRIM_400000_NS6detail17trampoline_kernelINS0_14default_configENS1_35adjacent_difference_config_selectorILb1EiEEZNS1_24adjacent_difference_implIS3_Lb1ELb0EPiN6thrust23THRUST_200600_302600_NS16discard_iteratorINS9_11use_defaultEEENS9_5minusIiEEEE10hipError_tPvRmT2_T3_mT4_P12ihipStream_tbEUlT_E_NS1_11comp_targetILNS1_3genE8ELNS1_11target_archE1030ELNS1_3gpuE2ELNS1_3repE0EEENS1_30default_config_static_selectorELNS0_4arch9wavefront6targetE0EEEvT1_ ; -- Begin function _ZN7rocprim17ROCPRIM_400000_NS6detail17trampoline_kernelINS0_14default_configENS1_35adjacent_difference_config_selectorILb1EiEEZNS1_24adjacent_difference_implIS3_Lb1ELb0EPiN6thrust23THRUST_200600_302600_NS16discard_iteratorINS9_11use_defaultEEENS9_5minusIiEEEE10hipError_tPvRmT2_T3_mT4_P12ihipStream_tbEUlT_E_NS1_11comp_targetILNS1_3genE8ELNS1_11target_archE1030ELNS1_3gpuE2ELNS1_3repE0EEENS1_30default_config_static_selectorELNS0_4arch9wavefront6targetE0EEEvT1_
	.globl	_ZN7rocprim17ROCPRIM_400000_NS6detail17trampoline_kernelINS0_14default_configENS1_35adjacent_difference_config_selectorILb1EiEEZNS1_24adjacent_difference_implIS3_Lb1ELb0EPiN6thrust23THRUST_200600_302600_NS16discard_iteratorINS9_11use_defaultEEENS9_5minusIiEEEE10hipError_tPvRmT2_T3_mT4_P12ihipStream_tbEUlT_E_NS1_11comp_targetILNS1_3genE8ELNS1_11target_archE1030ELNS1_3gpuE2ELNS1_3repE0EEENS1_30default_config_static_selectorELNS0_4arch9wavefront6targetE0EEEvT1_
	.p2align	8
	.type	_ZN7rocprim17ROCPRIM_400000_NS6detail17trampoline_kernelINS0_14default_configENS1_35adjacent_difference_config_selectorILb1EiEEZNS1_24adjacent_difference_implIS3_Lb1ELb0EPiN6thrust23THRUST_200600_302600_NS16discard_iteratorINS9_11use_defaultEEENS9_5minusIiEEEE10hipError_tPvRmT2_T3_mT4_P12ihipStream_tbEUlT_E_NS1_11comp_targetILNS1_3genE8ELNS1_11target_archE1030ELNS1_3gpuE2ELNS1_3repE0EEENS1_30default_config_static_selectorELNS0_4arch9wavefront6targetE0EEEvT1_,@function
_ZN7rocprim17ROCPRIM_400000_NS6detail17trampoline_kernelINS0_14default_configENS1_35adjacent_difference_config_selectorILb1EiEEZNS1_24adjacent_difference_implIS3_Lb1ELb0EPiN6thrust23THRUST_200600_302600_NS16discard_iteratorINS9_11use_defaultEEENS9_5minusIiEEEE10hipError_tPvRmT2_T3_mT4_P12ihipStream_tbEUlT_E_NS1_11comp_targetILNS1_3genE8ELNS1_11target_archE1030ELNS1_3gpuE2ELNS1_3repE0EEENS1_30default_config_static_selectorELNS0_4arch9wavefront6targetE0EEEvT1_: ; @_ZN7rocprim17ROCPRIM_400000_NS6detail17trampoline_kernelINS0_14default_configENS1_35adjacent_difference_config_selectorILb1EiEEZNS1_24adjacent_difference_implIS3_Lb1ELb0EPiN6thrust23THRUST_200600_302600_NS16discard_iteratorINS9_11use_defaultEEENS9_5minusIiEEEE10hipError_tPvRmT2_T3_mT4_P12ihipStream_tbEUlT_E_NS1_11comp_targetILNS1_3genE8ELNS1_11target_archE1030ELNS1_3gpuE2ELNS1_3repE0EEENS1_30default_config_static_selectorELNS0_4arch9wavefront6targetE0EEEvT1_
; %bb.0:
	.section	.rodata,"a",@progbits
	.p2align	6, 0x0
	.amdhsa_kernel _ZN7rocprim17ROCPRIM_400000_NS6detail17trampoline_kernelINS0_14default_configENS1_35adjacent_difference_config_selectorILb1EiEEZNS1_24adjacent_difference_implIS3_Lb1ELb0EPiN6thrust23THRUST_200600_302600_NS16discard_iteratorINS9_11use_defaultEEENS9_5minusIiEEEE10hipError_tPvRmT2_T3_mT4_P12ihipStream_tbEUlT_E_NS1_11comp_targetILNS1_3genE8ELNS1_11target_archE1030ELNS1_3gpuE2ELNS1_3repE0EEENS1_30default_config_static_selectorELNS0_4arch9wavefront6targetE0EEEvT1_
		.amdhsa_group_segment_fixed_size 0
		.amdhsa_private_segment_fixed_size 0
		.amdhsa_kernarg_size 64
		.amdhsa_user_sgpr_count 15
		.amdhsa_user_sgpr_dispatch_ptr 0
		.amdhsa_user_sgpr_queue_ptr 0
		.amdhsa_user_sgpr_kernarg_segment_ptr 1
		.amdhsa_user_sgpr_dispatch_id 0
		.amdhsa_user_sgpr_private_segment_size 0
		.amdhsa_wavefront_size32 1
		.amdhsa_uses_dynamic_stack 0
		.amdhsa_enable_private_segment 0
		.amdhsa_system_sgpr_workgroup_id_x 1
		.amdhsa_system_sgpr_workgroup_id_y 0
		.amdhsa_system_sgpr_workgroup_id_z 0
		.amdhsa_system_sgpr_workgroup_info 0
		.amdhsa_system_vgpr_workitem_id 0
		.amdhsa_next_free_vgpr 1
		.amdhsa_next_free_sgpr 1
		.amdhsa_reserve_vcc 0
		.amdhsa_float_round_mode_32 0
		.amdhsa_float_round_mode_16_64 0
		.amdhsa_float_denorm_mode_32 3
		.amdhsa_float_denorm_mode_16_64 3
		.amdhsa_dx10_clamp 1
		.amdhsa_ieee_mode 1
		.amdhsa_fp16_overflow 0
		.amdhsa_workgroup_processor_mode 1
		.amdhsa_memory_ordered 1
		.amdhsa_forward_progress 0
		.amdhsa_shared_vgpr_count 0
		.amdhsa_exception_fp_ieee_invalid_op 0
		.amdhsa_exception_fp_denorm_src 0
		.amdhsa_exception_fp_ieee_div_zero 0
		.amdhsa_exception_fp_ieee_overflow 0
		.amdhsa_exception_fp_ieee_underflow 0
		.amdhsa_exception_fp_ieee_inexact 0
		.amdhsa_exception_int_div_zero 0
	.end_amdhsa_kernel
	.section	.text._ZN7rocprim17ROCPRIM_400000_NS6detail17trampoline_kernelINS0_14default_configENS1_35adjacent_difference_config_selectorILb1EiEEZNS1_24adjacent_difference_implIS3_Lb1ELb0EPiN6thrust23THRUST_200600_302600_NS16discard_iteratorINS9_11use_defaultEEENS9_5minusIiEEEE10hipError_tPvRmT2_T3_mT4_P12ihipStream_tbEUlT_E_NS1_11comp_targetILNS1_3genE8ELNS1_11target_archE1030ELNS1_3gpuE2ELNS1_3repE0EEENS1_30default_config_static_selectorELNS0_4arch9wavefront6targetE0EEEvT1_,"axG",@progbits,_ZN7rocprim17ROCPRIM_400000_NS6detail17trampoline_kernelINS0_14default_configENS1_35adjacent_difference_config_selectorILb1EiEEZNS1_24adjacent_difference_implIS3_Lb1ELb0EPiN6thrust23THRUST_200600_302600_NS16discard_iteratorINS9_11use_defaultEEENS9_5minusIiEEEE10hipError_tPvRmT2_T3_mT4_P12ihipStream_tbEUlT_E_NS1_11comp_targetILNS1_3genE8ELNS1_11target_archE1030ELNS1_3gpuE2ELNS1_3repE0EEENS1_30default_config_static_selectorELNS0_4arch9wavefront6targetE0EEEvT1_,comdat
.Lfunc_end891:
	.size	_ZN7rocprim17ROCPRIM_400000_NS6detail17trampoline_kernelINS0_14default_configENS1_35adjacent_difference_config_selectorILb1EiEEZNS1_24adjacent_difference_implIS3_Lb1ELb0EPiN6thrust23THRUST_200600_302600_NS16discard_iteratorINS9_11use_defaultEEENS9_5minusIiEEEE10hipError_tPvRmT2_T3_mT4_P12ihipStream_tbEUlT_E_NS1_11comp_targetILNS1_3genE8ELNS1_11target_archE1030ELNS1_3gpuE2ELNS1_3repE0EEENS1_30default_config_static_selectorELNS0_4arch9wavefront6targetE0EEEvT1_, .Lfunc_end891-_ZN7rocprim17ROCPRIM_400000_NS6detail17trampoline_kernelINS0_14default_configENS1_35adjacent_difference_config_selectorILb1EiEEZNS1_24adjacent_difference_implIS3_Lb1ELb0EPiN6thrust23THRUST_200600_302600_NS16discard_iteratorINS9_11use_defaultEEENS9_5minusIiEEEE10hipError_tPvRmT2_T3_mT4_P12ihipStream_tbEUlT_E_NS1_11comp_targetILNS1_3genE8ELNS1_11target_archE1030ELNS1_3gpuE2ELNS1_3repE0EEENS1_30default_config_static_selectorELNS0_4arch9wavefront6targetE0EEEvT1_
                                        ; -- End function
	.section	.AMDGPU.csdata,"",@progbits
; Kernel info:
; codeLenInByte = 0
; NumSgprs: 0
; NumVgprs: 0
; ScratchSize: 0
; MemoryBound: 0
; FloatMode: 240
; IeeeMode: 1
; LDSByteSize: 0 bytes/workgroup (compile time only)
; SGPRBlocks: 0
; VGPRBlocks: 0
; NumSGPRsForWavesPerEU: 1
; NumVGPRsForWavesPerEU: 1
; Occupancy: 16
; WaveLimiterHint : 0
; COMPUTE_PGM_RSRC2:SCRATCH_EN: 0
; COMPUTE_PGM_RSRC2:USER_SGPR: 15
; COMPUTE_PGM_RSRC2:TRAP_HANDLER: 0
; COMPUTE_PGM_RSRC2:TGID_X_EN: 1
; COMPUTE_PGM_RSRC2:TGID_Y_EN: 0
; COMPUTE_PGM_RSRC2:TGID_Z_EN: 0
; COMPUTE_PGM_RSRC2:TIDIG_COMP_CNT: 0
	.section	.text._ZN7rocprim17ROCPRIM_400000_NS6detail17trampoline_kernelINS0_14default_configENS1_25transform_config_selectorIsLb0EEEZNS1_14transform_implILb0ES3_S5_NS0_18transform_iteratorINS0_17counting_iteratorImlEEZNS1_24adjacent_difference_implIS3_Lb1ELb0EPsN6thrust23THRUST_200600_302600_NS16discard_iteratorINSD_11use_defaultEEENSD_5minusIsEEEE10hipError_tPvRmT2_T3_mT4_P12ihipStream_tbEUlmE_sEESB_NS0_8identityIvEEEESJ_SM_SN_mSO_SQ_bEUlT_E_NS1_11comp_targetILNS1_3genE0ELNS1_11target_archE4294967295ELNS1_3gpuE0ELNS1_3repE0EEENS1_30default_config_static_selectorELNS0_4arch9wavefront6targetE0EEEvT1_,"axG",@progbits,_ZN7rocprim17ROCPRIM_400000_NS6detail17trampoline_kernelINS0_14default_configENS1_25transform_config_selectorIsLb0EEEZNS1_14transform_implILb0ES3_S5_NS0_18transform_iteratorINS0_17counting_iteratorImlEEZNS1_24adjacent_difference_implIS3_Lb1ELb0EPsN6thrust23THRUST_200600_302600_NS16discard_iteratorINSD_11use_defaultEEENSD_5minusIsEEEE10hipError_tPvRmT2_T3_mT4_P12ihipStream_tbEUlmE_sEESB_NS0_8identityIvEEEESJ_SM_SN_mSO_SQ_bEUlT_E_NS1_11comp_targetILNS1_3genE0ELNS1_11target_archE4294967295ELNS1_3gpuE0ELNS1_3repE0EEENS1_30default_config_static_selectorELNS0_4arch9wavefront6targetE0EEEvT1_,comdat
	.protected	_ZN7rocprim17ROCPRIM_400000_NS6detail17trampoline_kernelINS0_14default_configENS1_25transform_config_selectorIsLb0EEEZNS1_14transform_implILb0ES3_S5_NS0_18transform_iteratorINS0_17counting_iteratorImlEEZNS1_24adjacent_difference_implIS3_Lb1ELb0EPsN6thrust23THRUST_200600_302600_NS16discard_iteratorINSD_11use_defaultEEENSD_5minusIsEEEE10hipError_tPvRmT2_T3_mT4_P12ihipStream_tbEUlmE_sEESB_NS0_8identityIvEEEESJ_SM_SN_mSO_SQ_bEUlT_E_NS1_11comp_targetILNS1_3genE0ELNS1_11target_archE4294967295ELNS1_3gpuE0ELNS1_3repE0EEENS1_30default_config_static_selectorELNS0_4arch9wavefront6targetE0EEEvT1_ ; -- Begin function _ZN7rocprim17ROCPRIM_400000_NS6detail17trampoline_kernelINS0_14default_configENS1_25transform_config_selectorIsLb0EEEZNS1_14transform_implILb0ES3_S5_NS0_18transform_iteratorINS0_17counting_iteratorImlEEZNS1_24adjacent_difference_implIS3_Lb1ELb0EPsN6thrust23THRUST_200600_302600_NS16discard_iteratorINSD_11use_defaultEEENSD_5minusIsEEEE10hipError_tPvRmT2_T3_mT4_P12ihipStream_tbEUlmE_sEESB_NS0_8identityIvEEEESJ_SM_SN_mSO_SQ_bEUlT_E_NS1_11comp_targetILNS1_3genE0ELNS1_11target_archE4294967295ELNS1_3gpuE0ELNS1_3repE0EEENS1_30default_config_static_selectorELNS0_4arch9wavefront6targetE0EEEvT1_
	.globl	_ZN7rocprim17ROCPRIM_400000_NS6detail17trampoline_kernelINS0_14default_configENS1_25transform_config_selectorIsLb0EEEZNS1_14transform_implILb0ES3_S5_NS0_18transform_iteratorINS0_17counting_iteratorImlEEZNS1_24adjacent_difference_implIS3_Lb1ELb0EPsN6thrust23THRUST_200600_302600_NS16discard_iteratorINSD_11use_defaultEEENSD_5minusIsEEEE10hipError_tPvRmT2_T3_mT4_P12ihipStream_tbEUlmE_sEESB_NS0_8identityIvEEEESJ_SM_SN_mSO_SQ_bEUlT_E_NS1_11comp_targetILNS1_3genE0ELNS1_11target_archE4294967295ELNS1_3gpuE0ELNS1_3repE0EEENS1_30default_config_static_selectorELNS0_4arch9wavefront6targetE0EEEvT1_
	.p2align	8
	.type	_ZN7rocprim17ROCPRIM_400000_NS6detail17trampoline_kernelINS0_14default_configENS1_25transform_config_selectorIsLb0EEEZNS1_14transform_implILb0ES3_S5_NS0_18transform_iteratorINS0_17counting_iteratorImlEEZNS1_24adjacent_difference_implIS3_Lb1ELb0EPsN6thrust23THRUST_200600_302600_NS16discard_iteratorINSD_11use_defaultEEENSD_5minusIsEEEE10hipError_tPvRmT2_T3_mT4_P12ihipStream_tbEUlmE_sEESB_NS0_8identityIvEEEESJ_SM_SN_mSO_SQ_bEUlT_E_NS1_11comp_targetILNS1_3genE0ELNS1_11target_archE4294967295ELNS1_3gpuE0ELNS1_3repE0EEENS1_30default_config_static_selectorELNS0_4arch9wavefront6targetE0EEEvT1_,@function
_ZN7rocprim17ROCPRIM_400000_NS6detail17trampoline_kernelINS0_14default_configENS1_25transform_config_selectorIsLb0EEEZNS1_14transform_implILb0ES3_S5_NS0_18transform_iteratorINS0_17counting_iteratorImlEEZNS1_24adjacent_difference_implIS3_Lb1ELb0EPsN6thrust23THRUST_200600_302600_NS16discard_iteratorINSD_11use_defaultEEENSD_5minusIsEEEE10hipError_tPvRmT2_T3_mT4_P12ihipStream_tbEUlmE_sEESB_NS0_8identityIvEEEESJ_SM_SN_mSO_SQ_bEUlT_E_NS1_11comp_targetILNS1_3genE0ELNS1_11target_archE4294967295ELNS1_3gpuE0ELNS1_3repE0EEENS1_30default_config_static_selectorELNS0_4arch9wavefront6targetE0EEEvT1_: ; @_ZN7rocprim17ROCPRIM_400000_NS6detail17trampoline_kernelINS0_14default_configENS1_25transform_config_selectorIsLb0EEEZNS1_14transform_implILb0ES3_S5_NS0_18transform_iteratorINS0_17counting_iteratorImlEEZNS1_24adjacent_difference_implIS3_Lb1ELb0EPsN6thrust23THRUST_200600_302600_NS16discard_iteratorINSD_11use_defaultEEENSD_5minusIsEEEE10hipError_tPvRmT2_T3_mT4_P12ihipStream_tbEUlmE_sEESB_NS0_8identityIvEEEESJ_SM_SN_mSO_SQ_bEUlT_E_NS1_11comp_targetILNS1_3genE0ELNS1_11target_archE4294967295ELNS1_3gpuE0ELNS1_3repE0EEENS1_30default_config_static_selectorELNS0_4arch9wavefront6targetE0EEEvT1_
; %bb.0:
	.section	.rodata,"a",@progbits
	.p2align	6, 0x0
	.amdhsa_kernel _ZN7rocprim17ROCPRIM_400000_NS6detail17trampoline_kernelINS0_14default_configENS1_25transform_config_selectorIsLb0EEEZNS1_14transform_implILb0ES3_S5_NS0_18transform_iteratorINS0_17counting_iteratorImlEEZNS1_24adjacent_difference_implIS3_Lb1ELb0EPsN6thrust23THRUST_200600_302600_NS16discard_iteratorINSD_11use_defaultEEENSD_5minusIsEEEE10hipError_tPvRmT2_T3_mT4_P12ihipStream_tbEUlmE_sEESB_NS0_8identityIvEEEESJ_SM_SN_mSO_SQ_bEUlT_E_NS1_11comp_targetILNS1_3genE0ELNS1_11target_archE4294967295ELNS1_3gpuE0ELNS1_3repE0EEENS1_30default_config_static_selectorELNS0_4arch9wavefront6targetE0EEEvT1_
		.amdhsa_group_segment_fixed_size 0
		.amdhsa_private_segment_fixed_size 0
		.amdhsa_kernarg_size 56
		.amdhsa_user_sgpr_count 15
		.amdhsa_user_sgpr_dispatch_ptr 0
		.amdhsa_user_sgpr_queue_ptr 0
		.amdhsa_user_sgpr_kernarg_segment_ptr 1
		.amdhsa_user_sgpr_dispatch_id 0
		.amdhsa_user_sgpr_private_segment_size 0
		.amdhsa_wavefront_size32 1
		.amdhsa_uses_dynamic_stack 0
		.amdhsa_enable_private_segment 0
		.amdhsa_system_sgpr_workgroup_id_x 1
		.amdhsa_system_sgpr_workgroup_id_y 0
		.amdhsa_system_sgpr_workgroup_id_z 0
		.amdhsa_system_sgpr_workgroup_info 0
		.amdhsa_system_vgpr_workitem_id 0
		.amdhsa_next_free_vgpr 1
		.amdhsa_next_free_sgpr 1
		.amdhsa_reserve_vcc 0
		.amdhsa_float_round_mode_32 0
		.amdhsa_float_round_mode_16_64 0
		.amdhsa_float_denorm_mode_32 3
		.amdhsa_float_denorm_mode_16_64 3
		.amdhsa_dx10_clamp 1
		.amdhsa_ieee_mode 1
		.amdhsa_fp16_overflow 0
		.amdhsa_workgroup_processor_mode 1
		.amdhsa_memory_ordered 1
		.amdhsa_forward_progress 0
		.amdhsa_shared_vgpr_count 0
		.amdhsa_exception_fp_ieee_invalid_op 0
		.amdhsa_exception_fp_denorm_src 0
		.amdhsa_exception_fp_ieee_div_zero 0
		.amdhsa_exception_fp_ieee_overflow 0
		.amdhsa_exception_fp_ieee_underflow 0
		.amdhsa_exception_fp_ieee_inexact 0
		.amdhsa_exception_int_div_zero 0
	.end_amdhsa_kernel
	.section	.text._ZN7rocprim17ROCPRIM_400000_NS6detail17trampoline_kernelINS0_14default_configENS1_25transform_config_selectorIsLb0EEEZNS1_14transform_implILb0ES3_S5_NS0_18transform_iteratorINS0_17counting_iteratorImlEEZNS1_24adjacent_difference_implIS3_Lb1ELb0EPsN6thrust23THRUST_200600_302600_NS16discard_iteratorINSD_11use_defaultEEENSD_5minusIsEEEE10hipError_tPvRmT2_T3_mT4_P12ihipStream_tbEUlmE_sEESB_NS0_8identityIvEEEESJ_SM_SN_mSO_SQ_bEUlT_E_NS1_11comp_targetILNS1_3genE0ELNS1_11target_archE4294967295ELNS1_3gpuE0ELNS1_3repE0EEENS1_30default_config_static_selectorELNS0_4arch9wavefront6targetE0EEEvT1_,"axG",@progbits,_ZN7rocprim17ROCPRIM_400000_NS6detail17trampoline_kernelINS0_14default_configENS1_25transform_config_selectorIsLb0EEEZNS1_14transform_implILb0ES3_S5_NS0_18transform_iteratorINS0_17counting_iteratorImlEEZNS1_24adjacent_difference_implIS3_Lb1ELb0EPsN6thrust23THRUST_200600_302600_NS16discard_iteratorINSD_11use_defaultEEENSD_5minusIsEEEE10hipError_tPvRmT2_T3_mT4_P12ihipStream_tbEUlmE_sEESB_NS0_8identityIvEEEESJ_SM_SN_mSO_SQ_bEUlT_E_NS1_11comp_targetILNS1_3genE0ELNS1_11target_archE4294967295ELNS1_3gpuE0ELNS1_3repE0EEENS1_30default_config_static_selectorELNS0_4arch9wavefront6targetE0EEEvT1_,comdat
.Lfunc_end892:
	.size	_ZN7rocprim17ROCPRIM_400000_NS6detail17trampoline_kernelINS0_14default_configENS1_25transform_config_selectorIsLb0EEEZNS1_14transform_implILb0ES3_S5_NS0_18transform_iteratorINS0_17counting_iteratorImlEEZNS1_24adjacent_difference_implIS3_Lb1ELb0EPsN6thrust23THRUST_200600_302600_NS16discard_iteratorINSD_11use_defaultEEENSD_5minusIsEEEE10hipError_tPvRmT2_T3_mT4_P12ihipStream_tbEUlmE_sEESB_NS0_8identityIvEEEESJ_SM_SN_mSO_SQ_bEUlT_E_NS1_11comp_targetILNS1_3genE0ELNS1_11target_archE4294967295ELNS1_3gpuE0ELNS1_3repE0EEENS1_30default_config_static_selectorELNS0_4arch9wavefront6targetE0EEEvT1_, .Lfunc_end892-_ZN7rocprim17ROCPRIM_400000_NS6detail17trampoline_kernelINS0_14default_configENS1_25transform_config_selectorIsLb0EEEZNS1_14transform_implILb0ES3_S5_NS0_18transform_iteratorINS0_17counting_iteratorImlEEZNS1_24adjacent_difference_implIS3_Lb1ELb0EPsN6thrust23THRUST_200600_302600_NS16discard_iteratorINSD_11use_defaultEEENSD_5minusIsEEEE10hipError_tPvRmT2_T3_mT4_P12ihipStream_tbEUlmE_sEESB_NS0_8identityIvEEEESJ_SM_SN_mSO_SQ_bEUlT_E_NS1_11comp_targetILNS1_3genE0ELNS1_11target_archE4294967295ELNS1_3gpuE0ELNS1_3repE0EEENS1_30default_config_static_selectorELNS0_4arch9wavefront6targetE0EEEvT1_
                                        ; -- End function
	.section	.AMDGPU.csdata,"",@progbits
; Kernel info:
; codeLenInByte = 0
; NumSgprs: 0
; NumVgprs: 0
; ScratchSize: 0
; MemoryBound: 0
; FloatMode: 240
; IeeeMode: 1
; LDSByteSize: 0 bytes/workgroup (compile time only)
; SGPRBlocks: 0
; VGPRBlocks: 0
; NumSGPRsForWavesPerEU: 1
; NumVGPRsForWavesPerEU: 1
; Occupancy: 16
; WaveLimiterHint : 0
; COMPUTE_PGM_RSRC2:SCRATCH_EN: 0
; COMPUTE_PGM_RSRC2:USER_SGPR: 15
; COMPUTE_PGM_RSRC2:TRAP_HANDLER: 0
; COMPUTE_PGM_RSRC2:TGID_X_EN: 1
; COMPUTE_PGM_RSRC2:TGID_Y_EN: 0
; COMPUTE_PGM_RSRC2:TGID_Z_EN: 0
; COMPUTE_PGM_RSRC2:TIDIG_COMP_CNT: 0
	.section	.text._ZN7rocprim17ROCPRIM_400000_NS6detail17trampoline_kernelINS0_14default_configENS1_25transform_config_selectorIsLb0EEEZNS1_14transform_implILb0ES3_S5_NS0_18transform_iteratorINS0_17counting_iteratorImlEEZNS1_24adjacent_difference_implIS3_Lb1ELb0EPsN6thrust23THRUST_200600_302600_NS16discard_iteratorINSD_11use_defaultEEENSD_5minusIsEEEE10hipError_tPvRmT2_T3_mT4_P12ihipStream_tbEUlmE_sEESB_NS0_8identityIvEEEESJ_SM_SN_mSO_SQ_bEUlT_E_NS1_11comp_targetILNS1_3genE5ELNS1_11target_archE942ELNS1_3gpuE9ELNS1_3repE0EEENS1_30default_config_static_selectorELNS0_4arch9wavefront6targetE0EEEvT1_,"axG",@progbits,_ZN7rocprim17ROCPRIM_400000_NS6detail17trampoline_kernelINS0_14default_configENS1_25transform_config_selectorIsLb0EEEZNS1_14transform_implILb0ES3_S5_NS0_18transform_iteratorINS0_17counting_iteratorImlEEZNS1_24adjacent_difference_implIS3_Lb1ELb0EPsN6thrust23THRUST_200600_302600_NS16discard_iteratorINSD_11use_defaultEEENSD_5minusIsEEEE10hipError_tPvRmT2_T3_mT4_P12ihipStream_tbEUlmE_sEESB_NS0_8identityIvEEEESJ_SM_SN_mSO_SQ_bEUlT_E_NS1_11comp_targetILNS1_3genE5ELNS1_11target_archE942ELNS1_3gpuE9ELNS1_3repE0EEENS1_30default_config_static_selectorELNS0_4arch9wavefront6targetE0EEEvT1_,comdat
	.protected	_ZN7rocprim17ROCPRIM_400000_NS6detail17trampoline_kernelINS0_14default_configENS1_25transform_config_selectorIsLb0EEEZNS1_14transform_implILb0ES3_S5_NS0_18transform_iteratorINS0_17counting_iteratorImlEEZNS1_24adjacent_difference_implIS3_Lb1ELb0EPsN6thrust23THRUST_200600_302600_NS16discard_iteratorINSD_11use_defaultEEENSD_5minusIsEEEE10hipError_tPvRmT2_T3_mT4_P12ihipStream_tbEUlmE_sEESB_NS0_8identityIvEEEESJ_SM_SN_mSO_SQ_bEUlT_E_NS1_11comp_targetILNS1_3genE5ELNS1_11target_archE942ELNS1_3gpuE9ELNS1_3repE0EEENS1_30default_config_static_selectorELNS0_4arch9wavefront6targetE0EEEvT1_ ; -- Begin function _ZN7rocprim17ROCPRIM_400000_NS6detail17trampoline_kernelINS0_14default_configENS1_25transform_config_selectorIsLb0EEEZNS1_14transform_implILb0ES3_S5_NS0_18transform_iteratorINS0_17counting_iteratorImlEEZNS1_24adjacent_difference_implIS3_Lb1ELb0EPsN6thrust23THRUST_200600_302600_NS16discard_iteratorINSD_11use_defaultEEENSD_5minusIsEEEE10hipError_tPvRmT2_T3_mT4_P12ihipStream_tbEUlmE_sEESB_NS0_8identityIvEEEESJ_SM_SN_mSO_SQ_bEUlT_E_NS1_11comp_targetILNS1_3genE5ELNS1_11target_archE942ELNS1_3gpuE9ELNS1_3repE0EEENS1_30default_config_static_selectorELNS0_4arch9wavefront6targetE0EEEvT1_
	.globl	_ZN7rocprim17ROCPRIM_400000_NS6detail17trampoline_kernelINS0_14default_configENS1_25transform_config_selectorIsLb0EEEZNS1_14transform_implILb0ES3_S5_NS0_18transform_iteratorINS0_17counting_iteratorImlEEZNS1_24adjacent_difference_implIS3_Lb1ELb0EPsN6thrust23THRUST_200600_302600_NS16discard_iteratorINSD_11use_defaultEEENSD_5minusIsEEEE10hipError_tPvRmT2_T3_mT4_P12ihipStream_tbEUlmE_sEESB_NS0_8identityIvEEEESJ_SM_SN_mSO_SQ_bEUlT_E_NS1_11comp_targetILNS1_3genE5ELNS1_11target_archE942ELNS1_3gpuE9ELNS1_3repE0EEENS1_30default_config_static_selectorELNS0_4arch9wavefront6targetE0EEEvT1_
	.p2align	8
	.type	_ZN7rocprim17ROCPRIM_400000_NS6detail17trampoline_kernelINS0_14default_configENS1_25transform_config_selectorIsLb0EEEZNS1_14transform_implILb0ES3_S5_NS0_18transform_iteratorINS0_17counting_iteratorImlEEZNS1_24adjacent_difference_implIS3_Lb1ELb0EPsN6thrust23THRUST_200600_302600_NS16discard_iteratorINSD_11use_defaultEEENSD_5minusIsEEEE10hipError_tPvRmT2_T3_mT4_P12ihipStream_tbEUlmE_sEESB_NS0_8identityIvEEEESJ_SM_SN_mSO_SQ_bEUlT_E_NS1_11comp_targetILNS1_3genE5ELNS1_11target_archE942ELNS1_3gpuE9ELNS1_3repE0EEENS1_30default_config_static_selectorELNS0_4arch9wavefront6targetE0EEEvT1_,@function
_ZN7rocprim17ROCPRIM_400000_NS6detail17trampoline_kernelINS0_14default_configENS1_25transform_config_selectorIsLb0EEEZNS1_14transform_implILb0ES3_S5_NS0_18transform_iteratorINS0_17counting_iteratorImlEEZNS1_24adjacent_difference_implIS3_Lb1ELb0EPsN6thrust23THRUST_200600_302600_NS16discard_iteratorINSD_11use_defaultEEENSD_5minusIsEEEE10hipError_tPvRmT2_T3_mT4_P12ihipStream_tbEUlmE_sEESB_NS0_8identityIvEEEESJ_SM_SN_mSO_SQ_bEUlT_E_NS1_11comp_targetILNS1_3genE5ELNS1_11target_archE942ELNS1_3gpuE9ELNS1_3repE0EEENS1_30default_config_static_selectorELNS0_4arch9wavefront6targetE0EEEvT1_: ; @_ZN7rocprim17ROCPRIM_400000_NS6detail17trampoline_kernelINS0_14default_configENS1_25transform_config_selectorIsLb0EEEZNS1_14transform_implILb0ES3_S5_NS0_18transform_iteratorINS0_17counting_iteratorImlEEZNS1_24adjacent_difference_implIS3_Lb1ELb0EPsN6thrust23THRUST_200600_302600_NS16discard_iteratorINSD_11use_defaultEEENSD_5minusIsEEEE10hipError_tPvRmT2_T3_mT4_P12ihipStream_tbEUlmE_sEESB_NS0_8identityIvEEEESJ_SM_SN_mSO_SQ_bEUlT_E_NS1_11comp_targetILNS1_3genE5ELNS1_11target_archE942ELNS1_3gpuE9ELNS1_3repE0EEENS1_30default_config_static_selectorELNS0_4arch9wavefront6targetE0EEEvT1_
; %bb.0:
	.section	.rodata,"a",@progbits
	.p2align	6, 0x0
	.amdhsa_kernel _ZN7rocprim17ROCPRIM_400000_NS6detail17trampoline_kernelINS0_14default_configENS1_25transform_config_selectorIsLb0EEEZNS1_14transform_implILb0ES3_S5_NS0_18transform_iteratorINS0_17counting_iteratorImlEEZNS1_24adjacent_difference_implIS3_Lb1ELb0EPsN6thrust23THRUST_200600_302600_NS16discard_iteratorINSD_11use_defaultEEENSD_5minusIsEEEE10hipError_tPvRmT2_T3_mT4_P12ihipStream_tbEUlmE_sEESB_NS0_8identityIvEEEESJ_SM_SN_mSO_SQ_bEUlT_E_NS1_11comp_targetILNS1_3genE5ELNS1_11target_archE942ELNS1_3gpuE9ELNS1_3repE0EEENS1_30default_config_static_selectorELNS0_4arch9wavefront6targetE0EEEvT1_
		.amdhsa_group_segment_fixed_size 0
		.amdhsa_private_segment_fixed_size 0
		.amdhsa_kernarg_size 56
		.amdhsa_user_sgpr_count 15
		.amdhsa_user_sgpr_dispatch_ptr 0
		.amdhsa_user_sgpr_queue_ptr 0
		.amdhsa_user_sgpr_kernarg_segment_ptr 1
		.amdhsa_user_sgpr_dispatch_id 0
		.amdhsa_user_sgpr_private_segment_size 0
		.amdhsa_wavefront_size32 1
		.amdhsa_uses_dynamic_stack 0
		.amdhsa_enable_private_segment 0
		.amdhsa_system_sgpr_workgroup_id_x 1
		.amdhsa_system_sgpr_workgroup_id_y 0
		.amdhsa_system_sgpr_workgroup_id_z 0
		.amdhsa_system_sgpr_workgroup_info 0
		.amdhsa_system_vgpr_workitem_id 0
		.amdhsa_next_free_vgpr 1
		.amdhsa_next_free_sgpr 1
		.amdhsa_reserve_vcc 0
		.amdhsa_float_round_mode_32 0
		.amdhsa_float_round_mode_16_64 0
		.amdhsa_float_denorm_mode_32 3
		.amdhsa_float_denorm_mode_16_64 3
		.amdhsa_dx10_clamp 1
		.amdhsa_ieee_mode 1
		.amdhsa_fp16_overflow 0
		.amdhsa_workgroup_processor_mode 1
		.amdhsa_memory_ordered 1
		.amdhsa_forward_progress 0
		.amdhsa_shared_vgpr_count 0
		.amdhsa_exception_fp_ieee_invalid_op 0
		.amdhsa_exception_fp_denorm_src 0
		.amdhsa_exception_fp_ieee_div_zero 0
		.amdhsa_exception_fp_ieee_overflow 0
		.amdhsa_exception_fp_ieee_underflow 0
		.amdhsa_exception_fp_ieee_inexact 0
		.amdhsa_exception_int_div_zero 0
	.end_amdhsa_kernel
	.section	.text._ZN7rocprim17ROCPRIM_400000_NS6detail17trampoline_kernelINS0_14default_configENS1_25transform_config_selectorIsLb0EEEZNS1_14transform_implILb0ES3_S5_NS0_18transform_iteratorINS0_17counting_iteratorImlEEZNS1_24adjacent_difference_implIS3_Lb1ELb0EPsN6thrust23THRUST_200600_302600_NS16discard_iteratorINSD_11use_defaultEEENSD_5minusIsEEEE10hipError_tPvRmT2_T3_mT4_P12ihipStream_tbEUlmE_sEESB_NS0_8identityIvEEEESJ_SM_SN_mSO_SQ_bEUlT_E_NS1_11comp_targetILNS1_3genE5ELNS1_11target_archE942ELNS1_3gpuE9ELNS1_3repE0EEENS1_30default_config_static_selectorELNS0_4arch9wavefront6targetE0EEEvT1_,"axG",@progbits,_ZN7rocprim17ROCPRIM_400000_NS6detail17trampoline_kernelINS0_14default_configENS1_25transform_config_selectorIsLb0EEEZNS1_14transform_implILb0ES3_S5_NS0_18transform_iteratorINS0_17counting_iteratorImlEEZNS1_24adjacent_difference_implIS3_Lb1ELb0EPsN6thrust23THRUST_200600_302600_NS16discard_iteratorINSD_11use_defaultEEENSD_5minusIsEEEE10hipError_tPvRmT2_T3_mT4_P12ihipStream_tbEUlmE_sEESB_NS0_8identityIvEEEESJ_SM_SN_mSO_SQ_bEUlT_E_NS1_11comp_targetILNS1_3genE5ELNS1_11target_archE942ELNS1_3gpuE9ELNS1_3repE0EEENS1_30default_config_static_selectorELNS0_4arch9wavefront6targetE0EEEvT1_,comdat
.Lfunc_end893:
	.size	_ZN7rocprim17ROCPRIM_400000_NS6detail17trampoline_kernelINS0_14default_configENS1_25transform_config_selectorIsLb0EEEZNS1_14transform_implILb0ES3_S5_NS0_18transform_iteratorINS0_17counting_iteratorImlEEZNS1_24adjacent_difference_implIS3_Lb1ELb0EPsN6thrust23THRUST_200600_302600_NS16discard_iteratorINSD_11use_defaultEEENSD_5minusIsEEEE10hipError_tPvRmT2_T3_mT4_P12ihipStream_tbEUlmE_sEESB_NS0_8identityIvEEEESJ_SM_SN_mSO_SQ_bEUlT_E_NS1_11comp_targetILNS1_3genE5ELNS1_11target_archE942ELNS1_3gpuE9ELNS1_3repE0EEENS1_30default_config_static_selectorELNS0_4arch9wavefront6targetE0EEEvT1_, .Lfunc_end893-_ZN7rocprim17ROCPRIM_400000_NS6detail17trampoline_kernelINS0_14default_configENS1_25transform_config_selectorIsLb0EEEZNS1_14transform_implILb0ES3_S5_NS0_18transform_iteratorINS0_17counting_iteratorImlEEZNS1_24adjacent_difference_implIS3_Lb1ELb0EPsN6thrust23THRUST_200600_302600_NS16discard_iteratorINSD_11use_defaultEEENSD_5minusIsEEEE10hipError_tPvRmT2_T3_mT4_P12ihipStream_tbEUlmE_sEESB_NS0_8identityIvEEEESJ_SM_SN_mSO_SQ_bEUlT_E_NS1_11comp_targetILNS1_3genE5ELNS1_11target_archE942ELNS1_3gpuE9ELNS1_3repE0EEENS1_30default_config_static_selectorELNS0_4arch9wavefront6targetE0EEEvT1_
                                        ; -- End function
	.section	.AMDGPU.csdata,"",@progbits
; Kernel info:
; codeLenInByte = 0
; NumSgprs: 0
; NumVgprs: 0
; ScratchSize: 0
; MemoryBound: 0
; FloatMode: 240
; IeeeMode: 1
; LDSByteSize: 0 bytes/workgroup (compile time only)
; SGPRBlocks: 0
; VGPRBlocks: 0
; NumSGPRsForWavesPerEU: 1
; NumVGPRsForWavesPerEU: 1
; Occupancy: 16
; WaveLimiterHint : 0
; COMPUTE_PGM_RSRC2:SCRATCH_EN: 0
; COMPUTE_PGM_RSRC2:USER_SGPR: 15
; COMPUTE_PGM_RSRC2:TRAP_HANDLER: 0
; COMPUTE_PGM_RSRC2:TGID_X_EN: 1
; COMPUTE_PGM_RSRC2:TGID_Y_EN: 0
; COMPUTE_PGM_RSRC2:TGID_Z_EN: 0
; COMPUTE_PGM_RSRC2:TIDIG_COMP_CNT: 0
	.section	.text._ZN7rocprim17ROCPRIM_400000_NS6detail17trampoline_kernelINS0_14default_configENS1_25transform_config_selectorIsLb0EEEZNS1_14transform_implILb0ES3_S5_NS0_18transform_iteratorINS0_17counting_iteratorImlEEZNS1_24adjacent_difference_implIS3_Lb1ELb0EPsN6thrust23THRUST_200600_302600_NS16discard_iteratorINSD_11use_defaultEEENSD_5minusIsEEEE10hipError_tPvRmT2_T3_mT4_P12ihipStream_tbEUlmE_sEESB_NS0_8identityIvEEEESJ_SM_SN_mSO_SQ_bEUlT_E_NS1_11comp_targetILNS1_3genE4ELNS1_11target_archE910ELNS1_3gpuE8ELNS1_3repE0EEENS1_30default_config_static_selectorELNS0_4arch9wavefront6targetE0EEEvT1_,"axG",@progbits,_ZN7rocprim17ROCPRIM_400000_NS6detail17trampoline_kernelINS0_14default_configENS1_25transform_config_selectorIsLb0EEEZNS1_14transform_implILb0ES3_S5_NS0_18transform_iteratorINS0_17counting_iteratorImlEEZNS1_24adjacent_difference_implIS3_Lb1ELb0EPsN6thrust23THRUST_200600_302600_NS16discard_iteratorINSD_11use_defaultEEENSD_5minusIsEEEE10hipError_tPvRmT2_T3_mT4_P12ihipStream_tbEUlmE_sEESB_NS0_8identityIvEEEESJ_SM_SN_mSO_SQ_bEUlT_E_NS1_11comp_targetILNS1_3genE4ELNS1_11target_archE910ELNS1_3gpuE8ELNS1_3repE0EEENS1_30default_config_static_selectorELNS0_4arch9wavefront6targetE0EEEvT1_,comdat
	.protected	_ZN7rocprim17ROCPRIM_400000_NS6detail17trampoline_kernelINS0_14default_configENS1_25transform_config_selectorIsLb0EEEZNS1_14transform_implILb0ES3_S5_NS0_18transform_iteratorINS0_17counting_iteratorImlEEZNS1_24adjacent_difference_implIS3_Lb1ELb0EPsN6thrust23THRUST_200600_302600_NS16discard_iteratorINSD_11use_defaultEEENSD_5minusIsEEEE10hipError_tPvRmT2_T3_mT4_P12ihipStream_tbEUlmE_sEESB_NS0_8identityIvEEEESJ_SM_SN_mSO_SQ_bEUlT_E_NS1_11comp_targetILNS1_3genE4ELNS1_11target_archE910ELNS1_3gpuE8ELNS1_3repE0EEENS1_30default_config_static_selectorELNS0_4arch9wavefront6targetE0EEEvT1_ ; -- Begin function _ZN7rocprim17ROCPRIM_400000_NS6detail17trampoline_kernelINS0_14default_configENS1_25transform_config_selectorIsLb0EEEZNS1_14transform_implILb0ES3_S5_NS0_18transform_iteratorINS0_17counting_iteratorImlEEZNS1_24adjacent_difference_implIS3_Lb1ELb0EPsN6thrust23THRUST_200600_302600_NS16discard_iteratorINSD_11use_defaultEEENSD_5minusIsEEEE10hipError_tPvRmT2_T3_mT4_P12ihipStream_tbEUlmE_sEESB_NS0_8identityIvEEEESJ_SM_SN_mSO_SQ_bEUlT_E_NS1_11comp_targetILNS1_3genE4ELNS1_11target_archE910ELNS1_3gpuE8ELNS1_3repE0EEENS1_30default_config_static_selectorELNS0_4arch9wavefront6targetE0EEEvT1_
	.globl	_ZN7rocprim17ROCPRIM_400000_NS6detail17trampoline_kernelINS0_14default_configENS1_25transform_config_selectorIsLb0EEEZNS1_14transform_implILb0ES3_S5_NS0_18transform_iteratorINS0_17counting_iteratorImlEEZNS1_24adjacent_difference_implIS3_Lb1ELb0EPsN6thrust23THRUST_200600_302600_NS16discard_iteratorINSD_11use_defaultEEENSD_5minusIsEEEE10hipError_tPvRmT2_T3_mT4_P12ihipStream_tbEUlmE_sEESB_NS0_8identityIvEEEESJ_SM_SN_mSO_SQ_bEUlT_E_NS1_11comp_targetILNS1_3genE4ELNS1_11target_archE910ELNS1_3gpuE8ELNS1_3repE0EEENS1_30default_config_static_selectorELNS0_4arch9wavefront6targetE0EEEvT1_
	.p2align	8
	.type	_ZN7rocprim17ROCPRIM_400000_NS6detail17trampoline_kernelINS0_14default_configENS1_25transform_config_selectorIsLb0EEEZNS1_14transform_implILb0ES3_S5_NS0_18transform_iteratorINS0_17counting_iteratorImlEEZNS1_24adjacent_difference_implIS3_Lb1ELb0EPsN6thrust23THRUST_200600_302600_NS16discard_iteratorINSD_11use_defaultEEENSD_5minusIsEEEE10hipError_tPvRmT2_T3_mT4_P12ihipStream_tbEUlmE_sEESB_NS0_8identityIvEEEESJ_SM_SN_mSO_SQ_bEUlT_E_NS1_11comp_targetILNS1_3genE4ELNS1_11target_archE910ELNS1_3gpuE8ELNS1_3repE0EEENS1_30default_config_static_selectorELNS0_4arch9wavefront6targetE0EEEvT1_,@function
_ZN7rocprim17ROCPRIM_400000_NS6detail17trampoline_kernelINS0_14default_configENS1_25transform_config_selectorIsLb0EEEZNS1_14transform_implILb0ES3_S5_NS0_18transform_iteratorINS0_17counting_iteratorImlEEZNS1_24adjacent_difference_implIS3_Lb1ELb0EPsN6thrust23THRUST_200600_302600_NS16discard_iteratorINSD_11use_defaultEEENSD_5minusIsEEEE10hipError_tPvRmT2_T3_mT4_P12ihipStream_tbEUlmE_sEESB_NS0_8identityIvEEEESJ_SM_SN_mSO_SQ_bEUlT_E_NS1_11comp_targetILNS1_3genE4ELNS1_11target_archE910ELNS1_3gpuE8ELNS1_3repE0EEENS1_30default_config_static_selectorELNS0_4arch9wavefront6targetE0EEEvT1_: ; @_ZN7rocprim17ROCPRIM_400000_NS6detail17trampoline_kernelINS0_14default_configENS1_25transform_config_selectorIsLb0EEEZNS1_14transform_implILb0ES3_S5_NS0_18transform_iteratorINS0_17counting_iteratorImlEEZNS1_24adjacent_difference_implIS3_Lb1ELb0EPsN6thrust23THRUST_200600_302600_NS16discard_iteratorINSD_11use_defaultEEENSD_5minusIsEEEE10hipError_tPvRmT2_T3_mT4_P12ihipStream_tbEUlmE_sEESB_NS0_8identityIvEEEESJ_SM_SN_mSO_SQ_bEUlT_E_NS1_11comp_targetILNS1_3genE4ELNS1_11target_archE910ELNS1_3gpuE8ELNS1_3repE0EEENS1_30default_config_static_selectorELNS0_4arch9wavefront6targetE0EEEvT1_
; %bb.0:
	.section	.rodata,"a",@progbits
	.p2align	6, 0x0
	.amdhsa_kernel _ZN7rocprim17ROCPRIM_400000_NS6detail17trampoline_kernelINS0_14default_configENS1_25transform_config_selectorIsLb0EEEZNS1_14transform_implILb0ES3_S5_NS0_18transform_iteratorINS0_17counting_iteratorImlEEZNS1_24adjacent_difference_implIS3_Lb1ELb0EPsN6thrust23THRUST_200600_302600_NS16discard_iteratorINSD_11use_defaultEEENSD_5minusIsEEEE10hipError_tPvRmT2_T3_mT4_P12ihipStream_tbEUlmE_sEESB_NS0_8identityIvEEEESJ_SM_SN_mSO_SQ_bEUlT_E_NS1_11comp_targetILNS1_3genE4ELNS1_11target_archE910ELNS1_3gpuE8ELNS1_3repE0EEENS1_30default_config_static_selectorELNS0_4arch9wavefront6targetE0EEEvT1_
		.amdhsa_group_segment_fixed_size 0
		.amdhsa_private_segment_fixed_size 0
		.amdhsa_kernarg_size 56
		.amdhsa_user_sgpr_count 15
		.amdhsa_user_sgpr_dispatch_ptr 0
		.amdhsa_user_sgpr_queue_ptr 0
		.amdhsa_user_sgpr_kernarg_segment_ptr 1
		.amdhsa_user_sgpr_dispatch_id 0
		.amdhsa_user_sgpr_private_segment_size 0
		.amdhsa_wavefront_size32 1
		.amdhsa_uses_dynamic_stack 0
		.amdhsa_enable_private_segment 0
		.amdhsa_system_sgpr_workgroup_id_x 1
		.amdhsa_system_sgpr_workgroup_id_y 0
		.amdhsa_system_sgpr_workgroup_id_z 0
		.amdhsa_system_sgpr_workgroup_info 0
		.amdhsa_system_vgpr_workitem_id 0
		.amdhsa_next_free_vgpr 1
		.amdhsa_next_free_sgpr 1
		.amdhsa_reserve_vcc 0
		.amdhsa_float_round_mode_32 0
		.amdhsa_float_round_mode_16_64 0
		.amdhsa_float_denorm_mode_32 3
		.amdhsa_float_denorm_mode_16_64 3
		.amdhsa_dx10_clamp 1
		.amdhsa_ieee_mode 1
		.amdhsa_fp16_overflow 0
		.amdhsa_workgroup_processor_mode 1
		.amdhsa_memory_ordered 1
		.amdhsa_forward_progress 0
		.amdhsa_shared_vgpr_count 0
		.amdhsa_exception_fp_ieee_invalid_op 0
		.amdhsa_exception_fp_denorm_src 0
		.amdhsa_exception_fp_ieee_div_zero 0
		.amdhsa_exception_fp_ieee_overflow 0
		.amdhsa_exception_fp_ieee_underflow 0
		.amdhsa_exception_fp_ieee_inexact 0
		.amdhsa_exception_int_div_zero 0
	.end_amdhsa_kernel
	.section	.text._ZN7rocprim17ROCPRIM_400000_NS6detail17trampoline_kernelINS0_14default_configENS1_25transform_config_selectorIsLb0EEEZNS1_14transform_implILb0ES3_S5_NS0_18transform_iteratorINS0_17counting_iteratorImlEEZNS1_24adjacent_difference_implIS3_Lb1ELb0EPsN6thrust23THRUST_200600_302600_NS16discard_iteratorINSD_11use_defaultEEENSD_5minusIsEEEE10hipError_tPvRmT2_T3_mT4_P12ihipStream_tbEUlmE_sEESB_NS0_8identityIvEEEESJ_SM_SN_mSO_SQ_bEUlT_E_NS1_11comp_targetILNS1_3genE4ELNS1_11target_archE910ELNS1_3gpuE8ELNS1_3repE0EEENS1_30default_config_static_selectorELNS0_4arch9wavefront6targetE0EEEvT1_,"axG",@progbits,_ZN7rocprim17ROCPRIM_400000_NS6detail17trampoline_kernelINS0_14default_configENS1_25transform_config_selectorIsLb0EEEZNS1_14transform_implILb0ES3_S5_NS0_18transform_iteratorINS0_17counting_iteratorImlEEZNS1_24adjacent_difference_implIS3_Lb1ELb0EPsN6thrust23THRUST_200600_302600_NS16discard_iteratorINSD_11use_defaultEEENSD_5minusIsEEEE10hipError_tPvRmT2_T3_mT4_P12ihipStream_tbEUlmE_sEESB_NS0_8identityIvEEEESJ_SM_SN_mSO_SQ_bEUlT_E_NS1_11comp_targetILNS1_3genE4ELNS1_11target_archE910ELNS1_3gpuE8ELNS1_3repE0EEENS1_30default_config_static_selectorELNS0_4arch9wavefront6targetE0EEEvT1_,comdat
.Lfunc_end894:
	.size	_ZN7rocprim17ROCPRIM_400000_NS6detail17trampoline_kernelINS0_14default_configENS1_25transform_config_selectorIsLb0EEEZNS1_14transform_implILb0ES3_S5_NS0_18transform_iteratorINS0_17counting_iteratorImlEEZNS1_24adjacent_difference_implIS3_Lb1ELb0EPsN6thrust23THRUST_200600_302600_NS16discard_iteratorINSD_11use_defaultEEENSD_5minusIsEEEE10hipError_tPvRmT2_T3_mT4_P12ihipStream_tbEUlmE_sEESB_NS0_8identityIvEEEESJ_SM_SN_mSO_SQ_bEUlT_E_NS1_11comp_targetILNS1_3genE4ELNS1_11target_archE910ELNS1_3gpuE8ELNS1_3repE0EEENS1_30default_config_static_selectorELNS0_4arch9wavefront6targetE0EEEvT1_, .Lfunc_end894-_ZN7rocprim17ROCPRIM_400000_NS6detail17trampoline_kernelINS0_14default_configENS1_25transform_config_selectorIsLb0EEEZNS1_14transform_implILb0ES3_S5_NS0_18transform_iteratorINS0_17counting_iteratorImlEEZNS1_24adjacent_difference_implIS3_Lb1ELb0EPsN6thrust23THRUST_200600_302600_NS16discard_iteratorINSD_11use_defaultEEENSD_5minusIsEEEE10hipError_tPvRmT2_T3_mT4_P12ihipStream_tbEUlmE_sEESB_NS0_8identityIvEEEESJ_SM_SN_mSO_SQ_bEUlT_E_NS1_11comp_targetILNS1_3genE4ELNS1_11target_archE910ELNS1_3gpuE8ELNS1_3repE0EEENS1_30default_config_static_selectorELNS0_4arch9wavefront6targetE0EEEvT1_
                                        ; -- End function
	.section	.AMDGPU.csdata,"",@progbits
; Kernel info:
; codeLenInByte = 0
; NumSgprs: 0
; NumVgprs: 0
; ScratchSize: 0
; MemoryBound: 0
; FloatMode: 240
; IeeeMode: 1
; LDSByteSize: 0 bytes/workgroup (compile time only)
; SGPRBlocks: 0
; VGPRBlocks: 0
; NumSGPRsForWavesPerEU: 1
; NumVGPRsForWavesPerEU: 1
; Occupancy: 16
; WaveLimiterHint : 0
; COMPUTE_PGM_RSRC2:SCRATCH_EN: 0
; COMPUTE_PGM_RSRC2:USER_SGPR: 15
; COMPUTE_PGM_RSRC2:TRAP_HANDLER: 0
; COMPUTE_PGM_RSRC2:TGID_X_EN: 1
; COMPUTE_PGM_RSRC2:TGID_Y_EN: 0
; COMPUTE_PGM_RSRC2:TGID_Z_EN: 0
; COMPUTE_PGM_RSRC2:TIDIG_COMP_CNT: 0
	.section	.text._ZN7rocprim17ROCPRIM_400000_NS6detail17trampoline_kernelINS0_14default_configENS1_25transform_config_selectorIsLb0EEEZNS1_14transform_implILb0ES3_S5_NS0_18transform_iteratorINS0_17counting_iteratorImlEEZNS1_24adjacent_difference_implIS3_Lb1ELb0EPsN6thrust23THRUST_200600_302600_NS16discard_iteratorINSD_11use_defaultEEENSD_5minusIsEEEE10hipError_tPvRmT2_T3_mT4_P12ihipStream_tbEUlmE_sEESB_NS0_8identityIvEEEESJ_SM_SN_mSO_SQ_bEUlT_E_NS1_11comp_targetILNS1_3genE3ELNS1_11target_archE908ELNS1_3gpuE7ELNS1_3repE0EEENS1_30default_config_static_selectorELNS0_4arch9wavefront6targetE0EEEvT1_,"axG",@progbits,_ZN7rocprim17ROCPRIM_400000_NS6detail17trampoline_kernelINS0_14default_configENS1_25transform_config_selectorIsLb0EEEZNS1_14transform_implILb0ES3_S5_NS0_18transform_iteratorINS0_17counting_iteratorImlEEZNS1_24adjacent_difference_implIS3_Lb1ELb0EPsN6thrust23THRUST_200600_302600_NS16discard_iteratorINSD_11use_defaultEEENSD_5minusIsEEEE10hipError_tPvRmT2_T3_mT4_P12ihipStream_tbEUlmE_sEESB_NS0_8identityIvEEEESJ_SM_SN_mSO_SQ_bEUlT_E_NS1_11comp_targetILNS1_3genE3ELNS1_11target_archE908ELNS1_3gpuE7ELNS1_3repE0EEENS1_30default_config_static_selectorELNS0_4arch9wavefront6targetE0EEEvT1_,comdat
	.protected	_ZN7rocprim17ROCPRIM_400000_NS6detail17trampoline_kernelINS0_14default_configENS1_25transform_config_selectorIsLb0EEEZNS1_14transform_implILb0ES3_S5_NS0_18transform_iteratorINS0_17counting_iteratorImlEEZNS1_24adjacent_difference_implIS3_Lb1ELb0EPsN6thrust23THRUST_200600_302600_NS16discard_iteratorINSD_11use_defaultEEENSD_5minusIsEEEE10hipError_tPvRmT2_T3_mT4_P12ihipStream_tbEUlmE_sEESB_NS0_8identityIvEEEESJ_SM_SN_mSO_SQ_bEUlT_E_NS1_11comp_targetILNS1_3genE3ELNS1_11target_archE908ELNS1_3gpuE7ELNS1_3repE0EEENS1_30default_config_static_selectorELNS0_4arch9wavefront6targetE0EEEvT1_ ; -- Begin function _ZN7rocprim17ROCPRIM_400000_NS6detail17trampoline_kernelINS0_14default_configENS1_25transform_config_selectorIsLb0EEEZNS1_14transform_implILb0ES3_S5_NS0_18transform_iteratorINS0_17counting_iteratorImlEEZNS1_24adjacent_difference_implIS3_Lb1ELb0EPsN6thrust23THRUST_200600_302600_NS16discard_iteratorINSD_11use_defaultEEENSD_5minusIsEEEE10hipError_tPvRmT2_T3_mT4_P12ihipStream_tbEUlmE_sEESB_NS0_8identityIvEEEESJ_SM_SN_mSO_SQ_bEUlT_E_NS1_11comp_targetILNS1_3genE3ELNS1_11target_archE908ELNS1_3gpuE7ELNS1_3repE0EEENS1_30default_config_static_selectorELNS0_4arch9wavefront6targetE0EEEvT1_
	.globl	_ZN7rocprim17ROCPRIM_400000_NS6detail17trampoline_kernelINS0_14default_configENS1_25transform_config_selectorIsLb0EEEZNS1_14transform_implILb0ES3_S5_NS0_18transform_iteratorINS0_17counting_iteratorImlEEZNS1_24adjacent_difference_implIS3_Lb1ELb0EPsN6thrust23THRUST_200600_302600_NS16discard_iteratorINSD_11use_defaultEEENSD_5minusIsEEEE10hipError_tPvRmT2_T3_mT4_P12ihipStream_tbEUlmE_sEESB_NS0_8identityIvEEEESJ_SM_SN_mSO_SQ_bEUlT_E_NS1_11comp_targetILNS1_3genE3ELNS1_11target_archE908ELNS1_3gpuE7ELNS1_3repE0EEENS1_30default_config_static_selectorELNS0_4arch9wavefront6targetE0EEEvT1_
	.p2align	8
	.type	_ZN7rocprim17ROCPRIM_400000_NS6detail17trampoline_kernelINS0_14default_configENS1_25transform_config_selectorIsLb0EEEZNS1_14transform_implILb0ES3_S5_NS0_18transform_iteratorINS0_17counting_iteratorImlEEZNS1_24adjacent_difference_implIS3_Lb1ELb0EPsN6thrust23THRUST_200600_302600_NS16discard_iteratorINSD_11use_defaultEEENSD_5minusIsEEEE10hipError_tPvRmT2_T3_mT4_P12ihipStream_tbEUlmE_sEESB_NS0_8identityIvEEEESJ_SM_SN_mSO_SQ_bEUlT_E_NS1_11comp_targetILNS1_3genE3ELNS1_11target_archE908ELNS1_3gpuE7ELNS1_3repE0EEENS1_30default_config_static_selectorELNS0_4arch9wavefront6targetE0EEEvT1_,@function
_ZN7rocprim17ROCPRIM_400000_NS6detail17trampoline_kernelINS0_14default_configENS1_25transform_config_selectorIsLb0EEEZNS1_14transform_implILb0ES3_S5_NS0_18transform_iteratorINS0_17counting_iteratorImlEEZNS1_24adjacent_difference_implIS3_Lb1ELb0EPsN6thrust23THRUST_200600_302600_NS16discard_iteratorINSD_11use_defaultEEENSD_5minusIsEEEE10hipError_tPvRmT2_T3_mT4_P12ihipStream_tbEUlmE_sEESB_NS0_8identityIvEEEESJ_SM_SN_mSO_SQ_bEUlT_E_NS1_11comp_targetILNS1_3genE3ELNS1_11target_archE908ELNS1_3gpuE7ELNS1_3repE0EEENS1_30default_config_static_selectorELNS0_4arch9wavefront6targetE0EEEvT1_: ; @_ZN7rocprim17ROCPRIM_400000_NS6detail17trampoline_kernelINS0_14default_configENS1_25transform_config_selectorIsLb0EEEZNS1_14transform_implILb0ES3_S5_NS0_18transform_iteratorINS0_17counting_iteratorImlEEZNS1_24adjacent_difference_implIS3_Lb1ELb0EPsN6thrust23THRUST_200600_302600_NS16discard_iteratorINSD_11use_defaultEEENSD_5minusIsEEEE10hipError_tPvRmT2_T3_mT4_P12ihipStream_tbEUlmE_sEESB_NS0_8identityIvEEEESJ_SM_SN_mSO_SQ_bEUlT_E_NS1_11comp_targetILNS1_3genE3ELNS1_11target_archE908ELNS1_3gpuE7ELNS1_3repE0EEENS1_30default_config_static_selectorELNS0_4arch9wavefront6targetE0EEEvT1_
; %bb.0:
	.section	.rodata,"a",@progbits
	.p2align	6, 0x0
	.amdhsa_kernel _ZN7rocprim17ROCPRIM_400000_NS6detail17trampoline_kernelINS0_14default_configENS1_25transform_config_selectorIsLb0EEEZNS1_14transform_implILb0ES3_S5_NS0_18transform_iteratorINS0_17counting_iteratorImlEEZNS1_24adjacent_difference_implIS3_Lb1ELb0EPsN6thrust23THRUST_200600_302600_NS16discard_iteratorINSD_11use_defaultEEENSD_5minusIsEEEE10hipError_tPvRmT2_T3_mT4_P12ihipStream_tbEUlmE_sEESB_NS0_8identityIvEEEESJ_SM_SN_mSO_SQ_bEUlT_E_NS1_11comp_targetILNS1_3genE3ELNS1_11target_archE908ELNS1_3gpuE7ELNS1_3repE0EEENS1_30default_config_static_selectorELNS0_4arch9wavefront6targetE0EEEvT1_
		.amdhsa_group_segment_fixed_size 0
		.amdhsa_private_segment_fixed_size 0
		.amdhsa_kernarg_size 56
		.amdhsa_user_sgpr_count 15
		.amdhsa_user_sgpr_dispatch_ptr 0
		.amdhsa_user_sgpr_queue_ptr 0
		.amdhsa_user_sgpr_kernarg_segment_ptr 1
		.amdhsa_user_sgpr_dispatch_id 0
		.amdhsa_user_sgpr_private_segment_size 0
		.amdhsa_wavefront_size32 1
		.amdhsa_uses_dynamic_stack 0
		.amdhsa_enable_private_segment 0
		.amdhsa_system_sgpr_workgroup_id_x 1
		.amdhsa_system_sgpr_workgroup_id_y 0
		.amdhsa_system_sgpr_workgroup_id_z 0
		.amdhsa_system_sgpr_workgroup_info 0
		.amdhsa_system_vgpr_workitem_id 0
		.amdhsa_next_free_vgpr 1
		.amdhsa_next_free_sgpr 1
		.amdhsa_reserve_vcc 0
		.amdhsa_float_round_mode_32 0
		.amdhsa_float_round_mode_16_64 0
		.amdhsa_float_denorm_mode_32 3
		.amdhsa_float_denorm_mode_16_64 3
		.amdhsa_dx10_clamp 1
		.amdhsa_ieee_mode 1
		.amdhsa_fp16_overflow 0
		.amdhsa_workgroup_processor_mode 1
		.amdhsa_memory_ordered 1
		.amdhsa_forward_progress 0
		.amdhsa_shared_vgpr_count 0
		.amdhsa_exception_fp_ieee_invalid_op 0
		.amdhsa_exception_fp_denorm_src 0
		.amdhsa_exception_fp_ieee_div_zero 0
		.amdhsa_exception_fp_ieee_overflow 0
		.amdhsa_exception_fp_ieee_underflow 0
		.amdhsa_exception_fp_ieee_inexact 0
		.amdhsa_exception_int_div_zero 0
	.end_amdhsa_kernel
	.section	.text._ZN7rocprim17ROCPRIM_400000_NS6detail17trampoline_kernelINS0_14default_configENS1_25transform_config_selectorIsLb0EEEZNS1_14transform_implILb0ES3_S5_NS0_18transform_iteratorINS0_17counting_iteratorImlEEZNS1_24adjacent_difference_implIS3_Lb1ELb0EPsN6thrust23THRUST_200600_302600_NS16discard_iteratorINSD_11use_defaultEEENSD_5minusIsEEEE10hipError_tPvRmT2_T3_mT4_P12ihipStream_tbEUlmE_sEESB_NS0_8identityIvEEEESJ_SM_SN_mSO_SQ_bEUlT_E_NS1_11comp_targetILNS1_3genE3ELNS1_11target_archE908ELNS1_3gpuE7ELNS1_3repE0EEENS1_30default_config_static_selectorELNS0_4arch9wavefront6targetE0EEEvT1_,"axG",@progbits,_ZN7rocprim17ROCPRIM_400000_NS6detail17trampoline_kernelINS0_14default_configENS1_25transform_config_selectorIsLb0EEEZNS1_14transform_implILb0ES3_S5_NS0_18transform_iteratorINS0_17counting_iteratorImlEEZNS1_24adjacent_difference_implIS3_Lb1ELb0EPsN6thrust23THRUST_200600_302600_NS16discard_iteratorINSD_11use_defaultEEENSD_5minusIsEEEE10hipError_tPvRmT2_T3_mT4_P12ihipStream_tbEUlmE_sEESB_NS0_8identityIvEEEESJ_SM_SN_mSO_SQ_bEUlT_E_NS1_11comp_targetILNS1_3genE3ELNS1_11target_archE908ELNS1_3gpuE7ELNS1_3repE0EEENS1_30default_config_static_selectorELNS0_4arch9wavefront6targetE0EEEvT1_,comdat
.Lfunc_end895:
	.size	_ZN7rocprim17ROCPRIM_400000_NS6detail17trampoline_kernelINS0_14default_configENS1_25transform_config_selectorIsLb0EEEZNS1_14transform_implILb0ES3_S5_NS0_18transform_iteratorINS0_17counting_iteratorImlEEZNS1_24adjacent_difference_implIS3_Lb1ELb0EPsN6thrust23THRUST_200600_302600_NS16discard_iteratorINSD_11use_defaultEEENSD_5minusIsEEEE10hipError_tPvRmT2_T3_mT4_P12ihipStream_tbEUlmE_sEESB_NS0_8identityIvEEEESJ_SM_SN_mSO_SQ_bEUlT_E_NS1_11comp_targetILNS1_3genE3ELNS1_11target_archE908ELNS1_3gpuE7ELNS1_3repE0EEENS1_30default_config_static_selectorELNS0_4arch9wavefront6targetE0EEEvT1_, .Lfunc_end895-_ZN7rocprim17ROCPRIM_400000_NS6detail17trampoline_kernelINS0_14default_configENS1_25transform_config_selectorIsLb0EEEZNS1_14transform_implILb0ES3_S5_NS0_18transform_iteratorINS0_17counting_iteratorImlEEZNS1_24adjacent_difference_implIS3_Lb1ELb0EPsN6thrust23THRUST_200600_302600_NS16discard_iteratorINSD_11use_defaultEEENSD_5minusIsEEEE10hipError_tPvRmT2_T3_mT4_P12ihipStream_tbEUlmE_sEESB_NS0_8identityIvEEEESJ_SM_SN_mSO_SQ_bEUlT_E_NS1_11comp_targetILNS1_3genE3ELNS1_11target_archE908ELNS1_3gpuE7ELNS1_3repE0EEENS1_30default_config_static_selectorELNS0_4arch9wavefront6targetE0EEEvT1_
                                        ; -- End function
	.section	.AMDGPU.csdata,"",@progbits
; Kernel info:
; codeLenInByte = 0
; NumSgprs: 0
; NumVgprs: 0
; ScratchSize: 0
; MemoryBound: 0
; FloatMode: 240
; IeeeMode: 1
; LDSByteSize: 0 bytes/workgroup (compile time only)
; SGPRBlocks: 0
; VGPRBlocks: 0
; NumSGPRsForWavesPerEU: 1
; NumVGPRsForWavesPerEU: 1
; Occupancy: 16
; WaveLimiterHint : 0
; COMPUTE_PGM_RSRC2:SCRATCH_EN: 0
; COMPUTE_PGM_RSRC2:USER_SGPR: 15
; COMPUTE_PGM_RSRC2:TRAP_HANDLER: 0
; COMPUTE_PGM_RSRC2:TGID_X_EN: 1
; COMPUTE_PGM_RSRC2:TGID_Y_EN: 0
; COMPUTE_PGM_RSRC2:TGID_Z_EN: 0
; COMPUTE_PGM_RSRC2:TIDIG_COMP_CNT: 0
	.section	.text._ZN7rocprim17ROCPRIM_400000_NS6detail17trampoline_kernelINS0_14default_configENS1_25transform_config_selectorIsLb0EEEZNS1_14transform_implILb0ES3_S5_NS0_18transform_iteratorINS0_17counting_iteratorImlEEZNS1_24adjacent_difference_implIS3_Lb1ELb0EPsN6thrust23THRUST_200600_302600_NS16discard_iteratorINSD_11use_defaultEEENSD_5minusIsEEEE10hipError_tPvRmT2_T3_mT4_P12ihipStream_tbEUlmE_sEESB_NS0_8identityIvEEEESJ_SM_SN_mSO_SQ_bEUlT_E_NS1_11comp_targetILNS1_3genE2ELNS1_11target_archE906ELNS1_3gpuE6ELNS1_3repE0EEENS1_30default_config_static_selectorELNS0_4arch9wavefront6targetE0EEEvT1_,"axG",@progbits,_ZN7rocprim17ROCPRIM_400000_NS6detail17trampoline_kernelINS0_14default_configENS1_25transform_config_selectorIsLb0EEEZNS1_14transform_implILb0ES3_S5_NS0_18transform_iteratorINS0_17counting_iteratorImlEEZNS1_24adjacent_difference_implIS3_Lb1ELb0EPsN6thrust23THRUST_200600_302600_NS16discard_iteratorINSD_11use_defaultEEENSD_5minusIsEEEE10hipError_tPvRmT2_T3_mT4_P12ihipStream_tbEUlmE_sEESB_NS0_8identityIvEEEESJ_SM_SN_mSO_SQ_bEUlT_E_NS1_11comp_targetILNS1_3genE2ELNS1_11target_archE906ELNS1_3gpuE6ELNS1_3repE0EEENS1_30default_config_static_selectorELNS0_4arch9wavefront6targetE0EEEvT1_,comdat
	.protected	_ZN7rocprim17ROCPRIM_400000_NS6detail17trampoline_kernelINS0_14default_configENS1_25transform_config_selectorIsLb0EEEZNS1_14transform_implILb0ES3_S5_NS0_18transform_iteratorINS0_17counting_iteratorImlEEZNS1_24adjacent_difference_implIS3_Lb1ELb0EPsN6thrust23THRUST_200600_302600_NS16discard_iteratorINSD_11use_defaultEEENSD_5minusIsEEEE10hipError_tPvRmT2_T3_mT4_P12ihipStream_tbEUlmE_sEESB_NS0_8identityIvEEEESJ_SM_SN_mSO_SQ_bEUlT_E_NS1_11comp_targetILNS1_3genE2ELNS1_11target_archE906ELNS1_3gpuE6ELNS1_3repE0EEENS1_30default_config_static_selectorELNS0_4arch9wavefront6targetE0EEEvT1_ ; -- Begin function _ZN7rocprim17ROCPRIM_400000_NS6detail17trampoline_kernelINS0_14default_configENS1_25transform_config_selectorIsLb0EEEZNS1_14transform_implILb0ES3_S5_NS0_18transform_iteratorINS0_17counting_iteratorImlEEZNS1_24adjacent_difference_implIS3_Lb1ELb0EPsN6thrust23THRUST_200600_302600_NS16discard_iteratorINSD_11use_defaultEEENSD_5minusIsEEEE10hipError_tPvRmT2_T3_mT4_P12ihipStream_tbEUlmE_sEESB_NS0_8identityIvEEEESJ_SM_SN_mSO_SQ_bEUlT_E_NS1_11comp_targetILNS1_3genE2ELNS1_11target_archE906ELNS1_3gpuE6ELNS1_3repE0EEENS1_30default_config_static_selectorELNS0_4arch9wavefront6targetE0EEEvT1_
	.globl	_ZN7rocprim17ROCPRIM_400000_NS6detail17trampoline_kernelINS0_14default_configENS1_25transform_config_selectorIsLb0EEEZNS1_14transform_implILb0ES3_S5_NS0_18transform_iteratorINS0_17counting_iteratorImlEEZNS1_24adjacent_difference_implIS3_Lb1ELb0EPsN6thrust23THRUST_200600_302600_NS16discard_iteratorINSD_11use_defaultEEENSD_5minusIsEEEE10hipError_tPvRmT2_T3_mT4_P12ihipStream_tbEUlmE_sEESB_NS0_8identityIvEEEESJ_SM_SN_mSO_SQ_bEUlT_E_NS1_11comp_targetILNS1_3genE2ELNS1_11target_archE906ELNS1_3gpuE6ELNS1_3repE0EEENS1_30default_config_static_selectorELNS0_4arch9wavefront6targetE0EEEvT1_
	.p2align	8
	.type	_ZN7rocprim17ROCPRIM_400000_NS6detail17trampoline_kernelINS0_14default_configENS1_25transform_config_selectorIsLb0EEEZNS1_14transform_implILb0ES3_S5_NS0_18transform_iteratorINS0_17counting_iteratorImlEEZNS1_24adjacent_difference_implIS3_Lb1ELb0EPsN6thrust23THRUST_200600_302600_NS16discard_iteratorINSD_11use_defaultEEENSD_5minusIsEEEE10hipError_tPvRmT2_T3_mT4_P12ihipStream_tbEUlmE_sEESB_NS0_8identityIvEEEESJ_SM_SN_mSO_SQ_bEUlT_E_NS1_11comp_targetILNS1_3genE2ELNS1_11target_archE906ELNS1_3gpuE6ELNS1_3repE0EEENS1_30default_config_static_selectorELNS0_4arch9wavefront6targetE0EEEvT1_,@function
_ZN7rocprim17ROCPRIM_400000_NS6detail17trampoline_kernelINS0_14default_configENS1_25transform_config_selectorIsLb0EEEZNS1_14transform_implILb0ES3_S5_NS0_18transform_iteratorINS0_17counting_iteratorImlEEZNS1_24adjacent_difference_implIS3_Lb1ELb0EPsN6thrust23THRUST_200600_302600_NS16discard_iteratorINSD_11use_defaultEEENSD_5minusIsEEEE10hipError_tPvRmT2_T3_mT4_P12ihipStream_tbEUlmE_sEESB_NS0_8identityIvEEEESJ_SM_SN_mSO_SQ_bEUlT_E_NS1_11comp_targetILNS1_3genE2ELNS1_11target_archE906ELNS1_3gpuE6ELNS1_3repE0EEENS1_30default_config_static_selectorELNS0_4arch9wavefront6targetE0EEEvT1_: ; @_ZN7rocprim17ROCPRIM_400000_NS6detail17trampoline_kernelINS0_14default_configENS1_25transform_config_selectorIsLb0EEEZNS1_14transform_implILb0ES3_S5_NS0_18transform_iteratorINS0_17counting_iteratorImlEEZNS1_24adjacent_difference_implIS3_Lb1ELb0EPsN6thrust23THRUST_200600_302600_NS16discard_iteratorINSD_11use_defaultEEENSD_5minusIsEEEE10hipError_tPvRmT2_T3_mT4_P12ihipStream_tbEUlmE_sEESB_NS0_8identityIvEEEESJ_SM_SN_mSO_SQ_bEUlT_E_NS1_11comp_targetILNS1_3genE2ELNS1_11target_archE906ELNS1_3gpuE6ELNS1_3repE0EEENS1_30default_config_static_selectorELNS0_4arch9wavefront6targetE0EEEvT1_
; %bb.0:
	.section	.rodata,"a",@progbits
	.p2align	6, 0x0
	.amdhsa_kernel _ZN7rocprim17ROCPRIM_400000_NS6detail17trampoline_kernelINS0_14default_configENS1_25transform_config_selectorIsLb0EEEZNS1_14transform_implILb0ES3_S5_NS0_18transform_iteratorINS0_17counting_iteratorImlEEZNS1_24adjacent_difference_implIS3_Lb1ELb0EPsN6thrust23THRUST_200600_302600_NS16discard_iteratorINSD_11use_defaultEEENSD_5minusIsEEEE10hipError_tPvRmT2_T3_mT4_P12ihipStream_tbEUlmE_sEESB_NS0_8identityIvEEEESJ_SM_SN_mSO_SQ_bEUlT_E_NS1_11comp_targetILNS1_3genE2ELNS1_11target_archE906ELNS1_3gpuE6ELNS1_3repE0EEENS1_30default_config_static_selectorELNS0_4arch9wavefront6targetE0EEEvT1_
		.amdhsa_group_segment_fixed_size 0
		.amdhsa_private_segment_fixed_size 0
		.amdhsa_kernarg_size 56
		.amdhsa_user_sgpr_count 15
		.amdhsa_user_sgpr_dispatch_ptr 0
		.amdhsa_user_sgpr_queue_ptr 0
		.amdhsa_user_sgpr_kernarg_segment_ptr 1
		.amdhsa_user_sgpr_dispatch_id 0
		.amdhsa_user_sgpr_private_segment_size 0
		.amdhsa_wavefront_size32 1
		.amdhsa_uses_dynamic_stack 0
		.amdhsa_enable_private_segment 0
		.amdhsa_system_sgpr_workgroup_id_x 1
		.amdhsa_system_sgpr_workgroup_id_y 0
		.amdhsa_system_sgpr_workgroup_id_z 0
		.amdhsa_system_sgpr_workgroup_info 0
		.amdhsa_system_vgpr_workitem_id 0
		.amdhsa_next_free_vgpr 1
		.amdhsa_next_free_sgpr 1
		.amdhsa_reserve_vcc 0
		.amdhsa_float_round_mode_32 0
		.amdhsa_float_round_mode_16_64 0
		.amdhsa_float_denorm_mode_32 3
		.amdhsa_float_denorm_mode_16_64 3
		.amdhsa_dx10_clamp 1
		.amdhsa_ieee_mode 1
		.amdhsa_fp16_overflow 0
		.amdhsa_workgroup_processor_mode 1
		.amdhsa_memory_ordered 1
		.amdhsa_forward_progress 0
		.amdhsa_shared_vgpr_count 0
		.amdhsa_exception_fp_ieee_invalid_op 0
		.amdhsa_exception_fp_denorm_src 0
		.amdhsa_exception_fp_ieee_div_zero 0
		.amdhsa_exception_fp_ieee_overflow 0
		.amdhsa_exception_fp_ieee_underflow 0
		.amdhsa_exception_fp_ieee_inexact 0
		.amdhsa_exception_int_div_zero 0
	.end_amdhsa_kernel
	.section	.text._ZN7rocprim17ROCPRIM_400000_NS6detail17trampoline_kernelINS0_14default_configENS1_25transform_config_selectorIsLb0EEEZNS1_14transform_implILb0ES3_S5_NS0_18transform_iteratorINS0_17counting_iteratorImlEEZNS1_24adjacent_difference_implIS3_Lb1ELb0EPsN6thrust23THRUST_200600_302600_NS16discard_iteratorINSD_11use_defaultEEENSD_5minusIsEEEE10hipError_tPvRmT2_T3_mT4_P12ihipStream_tbEUlmE_sEESB_NS0_8identityIvEEEESJ_SM_SN_mSO_SQ_bEUlT_E_NS1_11comp_targetILNS1_3genE2ELNS1_11target_archE906ELNS1_3gpuE6ELNS1_3repE0EEENS1_30default_config_static_selectorELNS0_4arch9wavefront6targetE0EEEvT1_,"axG",@progbits,_ZN7rocprim17ROCPRIM_400000_NS6detail17trampoline_kernelINS0_14default_configENS1_25transform_config_selectorIsLb0EEEZNS1_14transform_implILb0ES3_S5_NS0_18transform_iteratorINS0_17counting_iteratorImlEEZNS1_24adjacent_difference_implIS3_Lb1ELb0EPsN6thrust23THRUST_200600_302600_NS16discard_iteratorINSD_11use_defaultEEENSD_5minusIsEEEE10hipError_tPvRmT2_T3_mT4_P12ihipStream_tbEUlmE_sEESB_NS0_8identityIvEEEESJ_SM_SN_mSO_SQ_bEUlT_E_NS1_11comp_targetILNS1_3genE2ELNS1_11target_archE906ELNS1_3gpuE6ELNS1_3repE0EEENS1_30default_config_static_selectorELNS0_4arch9wavefront6targetE0EEEvT1_,comdat
.Lfunc_end896:
	.size	_ZN7rocprim17ROCPRIM_400000_NS6detail17trampoline_kernelINS0_14default_configENS1_25transform_config_selectorIsLb0EEEZNS1_14transform_implILb0ES3_S5_NS0_18transform_iteratorINS0_17counting_iteratorImlEEZNS1_24adjacent_difference_implIS3_Lb1ELb0EPsN6thrust23THRUST_200600_302600_NS16discard_iteratorINSD_11use_defaultEEENSD_5minusIsEEEE10hipError_tPvRmT2_T3_mT4_P12ihipStream_tbEUlmE_sEESB_NS0_8identityIvEEEESJ_SM_SN_mSO_SQ_bEUlT_E_NS1_11comp_targetILNS1_3genE2ELNS1_11target_archE906ELNS1_3gpuE6ELNS1_3repE0EEENS1_30default_config_static_selectorELNS0_4arch9wavefront6targetE0EEEvT1_, .Lfunc_end896-_ZN7rocprim17ROCPRIM_400000_NS6detail17trampoline_kernelINS0_14default_configENS1_25transform_config_selectorIsLb0EEEZNS1_14transform_implILb0ES3_S5_NS0_18transform_iteratorINS0_17counting_iteratorImlEEZNS1_24adjacent_difference_implIS3_Lb1ELb0EPsN6thrust23THRUST_200600_302600_NS16discard_iteratorINSD_11use_defaultEEENSD_5minusIsEEEE10hipError_tPvRmT2_T3_mT4_P12ihipStream_tbEUlmE_sEESB_NS0_8identityIvEEEESJ_SM_SN_mSO_SQ_bEUlT_E_NS1_11comp_targetILNS1_3genE2ELNS1_11target_archE906ELNS1_3gpuE6ELNS1_3repE0EEENS1_30default_config_static_selectorELNS0_4arch9wavefront6targetE0EEEvT1_
                                        ; -- End function
	.section	.AMDGPU.csdata,"",@progbits
; Kernel info:
; codeLenInByte = 0
; NumSgprs: 0
; NumVgprs: 0
; ScratchSize: 0
; MemoryBound: 0
; FloatMode: 240
; IeeeMode: 1
; LDSByteSize: 0 bytes/workgroup (compile time only)
; SGPRBlocks: 0
; VGPRBlocks: 0
; NumSGPRsForWavesPerEU: 1
; NumVGPRsForWavesPerEU: 1
; Occupancy: 16
; WaveLimiterHint : 0
; COMPUTE_PGM_RSRC2:SCRATCH_EN: 0
; COMPUTE_PGM_RSRC2:USER_SGPR: 15
; COMPUTE_PGM_RSRC2:TRAP_HANDLER: 0
; COMPUTE_PGM_RSRC2:TGID_X_EN: 1
; COMPUTE_PGM_RSRC2:TGID_Y_EN: 0
; COMPUTE_PGM_RSRC2:TGID_Z_EN: 0
; COMPUTE_PGM_RSRC2:TIDIG_COMP_CNT: 0
	.section	.text._ZN7rocprim17ROCPRIM_400000_NS6detail17trampoline_kernelINS0_14default_configENS1_25transform_config_selectorIsLb0EEEZNS1_14transform_implILb0ES3_S5_NS0_18transform_iteratorINS0_17counting_iteratorImlEEZNS1_24adjacent_difference_implIS3_Lb1ELb0EPsN6thrust23THRUST_200600_302600_NS16discard_iteratorINSD_11use_defaultEEENSD_5minusIsEEEE10hipError_tPvRmT2_T3_mT4_P12ihipStream_tbEUlmE_sEESB_NS0_8identityIvEEEESJ_SM_SN_mSO_SQ_bEUlT_E_NS1_11comp_targetILNS1_3genE10ELNS1_11target_archE1201ELNS1_3gpuE5ELNS1_3repE0EEENS1_30default_config_static_selectorELNS0_4arch9wavefront6targetE0EEEvT1_,"axG",@progbits,_ZN7rocprim17ROCPRIM_400000_NS6detail17trampoline_kernelINS0_14default_configENS1_25transform_config_selectorIsLb0EEEZNS1_14transform_implILb0ES3_S5_NS0_18transform_iteratorINS0_17counting_iteratorImlEEZNS1_24adjacent_difference_implIS3_Lb1ELb0EPsN6thrust23THRUST_200600_302600_NS16discard_iteratorINSD_11use_defaultEEENSD_5minusIsEEEE10hipError_tPvRmT2_T3_mT4_P12ihipStream_tbEUlmE_sEESB_NS0_8identityIvEEEESJ_SM_SN_mSO_SQ_bEUlT_E_NS1_11comp_targetILNS1_3genE10ELNS1_11target_archE1201ELNS1_3gpuE5ELNS1_3repE0EEENS1_30default_config_static_selectorELNS0_4arch9wavefront6targetE0EEEvT1_,comdat
	.protected	_ZN7rocprim17ROCPRIM_400000_NS6detail17trampoline_kernelINS0_14default_configENS1_25transform_config_selectorIsLb0EEEZNS1_14transform_implILb0ES3_S5_NS0_18transform_iteratorINS0_17counting_iteratorImlEEZNS1_24adjacent_difference_implIS3_Lb1ELb0EPsN6thrust23THRUST_200600_302600_NS16discard_iteratorINSD_11use_defaultEEENSD_5minusIsEEEE10hipError_tPvRmT2_T3_mT4_P12ihipStream_tbEUlmE_sEESB_NS0_8identityIvEEEESJ_SM_SN_mSO_SQ_bEUlT_E_NS1_11comp_targetILNS1_3genE10ELNS1_11target_archE1201ELNS1_3gpuE5ELNS1_3repE0EEENS1_30default_config_static_selectorELNS0_4arch9wavefront6targetE0EEEvT1_ ; -- Begin function _ZN7rocprim17ROCPRIM_400000_NS6detail17trampoline_kernelINS0_14default_configENS1_25transform_config_selectorIsLb0EEEZNS1_14transform_implILb0ES3_S5_NS0_18transform_iteratorINS0_17counting_iteratorImlEEZNS1_24adjacent_difference_implIS3_Lb1ELb0EPsN6thrust23THRUST_200600_302600_NS16discard_iteratorINSD_11use_defaultEEENSD_5minusIsEEEE10hipError_tPvRmT2_T3_mT4_P12ihipStream_tbEUlmE_sEESB_NS0_8identityIvEEEESJ_SM_SN_mSO_SQ_bEUlT_E_NS1_11comp_targetILNS1_3genE10ELNS1_11target_archE1201ELNS1_3gpuE5ELNS1_3repE0EEENS1_30default_config_static_selectorELNS0_4arch9wavefront6targetE0EEEvT1_
	.globl	_ZN7rocprim17ROCPRIM_400000_NS6detail17trampoline_kernelINS0_14default_configENS1_25transform_config_selectorIsLb0EEEZNS1_14transform_implILb0ES3_S5_NS0_18transform_iteratorINS0_17counting_iteratorImlEEZNS1_24adjacent_difference_implIS3_Lb1ELb0EPsN6thrust23THRUST_200600_302600_NS16discard_iteratorINSD_11use_defaultEEENSD_5minusIsEEEE10hipError_tPvRmT2_T3_mT4_P12ihipStream_tbEUlmE_sEESB_NS0_8identityIvEEEESJ_SM_SN_mSO_SQ_bEUlT_E_NS1_11comp_targetILNS1_3genE10ELNS1_11target_archE1201ELNS1_3gpuE5ELNS1_3repE0EEENS1_30default_config_static_selectorELNS0_4arch9wavefront6targetE0EEEvT1_
	.p2align	8
	.type	_ZN7rocprim17ROCPRIM_400000_NS6detail17trampoline_kernelINS0_14default_configENS1_25transform_config_selectorIsLb0EEEZNS1_14transform_implILb0ES3_S5_NS0_18transform_iteratorINS0_17counting_iteratorImlEEZNS1_24adjacent_difference_implIS3_Lb1ELb0EPsN6thrust23THRUST_200600_302600_NS16discard_iteratorINSD_11use_defaultEEENSD_5minusIsEEEE10hipError_tPvRmT2_T3_mT4_P12ihipStream_tbEUlmE_sEESB_NS0_8identityIvEEEESJ_SM_SN_mSO_SQ_bEUlT_E_NS1_11comp_targetILNS1_3genE10ELNS1_11target_archE1201ELNS1_3gpuE5ELNS1_3repE0EEENS1_30default_config_static_selectorELNS0_4arch9wavefront6targetE0EEEvT1_,@function
_ZN7rocprim17ROCPRIM_400000_NS6detail17trampoline_kernelINS0_14default_configENS1_25transform_config_selectorIsLb0EEEZNS1_14transform_implILb0ES3_S5_NS0_18transform_iteratorINS0_17counting_iteratorImlEEZNS1_24adjacent_difference_implIS3_Lb1ELb0EPsN6thrust23THRUST_200600_302600_NS16discard_iteratorINSD_11use_defaultEEENSD_5minusIsEEEE10hipError_tPvRmT2_T3_mT4_P12ihipStream_tbEUlmE_sEESB_NS0_8identityIvEEEESJ_SM_SN_mSO_SQ_bEUlT_E_NS1_11comp_targetILNS1_3genE10ELNS1_11target_archE1201ELNS1_3gpuE5ELNS1_3repE0EEENS1_30default_config_static_selectorELNS0_4arch9wavefront6targetE0EEEvT1_: ; @_ZN7rocprim17ROCPRIM_400000_NS6detail17trampoline_kernelINS0_14default_configENS1_25transform_config_selectorIsLb0EEEZNS1_14transform_implILb0ES3_S5_NS0_18transform_iteratorINS0_17counting_iteratorImlEEZNS1_24adjacent_difference_implIS3_Lb1ELb0EPsN6thrust23THRUST_200600_302600_NS16discard_iteratorINSD_11use_defaultEEENSD_5minusIsEEEE10hipError_tPvRmT2_T3_mT4_P12ihipStream_tbEUlmE_sEESB_NS0_8identityIvEEEESJ_SM_SN_mSO_SQ_bEUlT_E_NS1_11comp_targetILNS1_3genE10ELNS1_11target_archE1201ELNS1_3gpuE5ELNS1_3repE0EEENS1_30default_config_static_selectorELNS0_4arch9wavefront6targetE0EEEvT1_
; %bb.0:
	.section	.rodata,"a",@progbits
	.p2align	6, 0x0
	.amdhsa_kernel _ZN7rocprim17ROCPRIM_400000_NS6detail17trampoline_kernelINS0_14default_configENS1_25transform_config_selectorIsLb0EEEZNS1_14transform_implILb0ES3_S5_NS0_18transform_iteratorINS0_17counting_iteratorImlEEZNS1_24adjacent_difference_implIS3_Lb1ELb0EPsN6thrust23THRUST_200600_302600_NS16discard_iteratorINSD_11use_defaultEEENSD_5minusIsEEEE10hipError_tPvRmT2_T3_mT4_P12ihipStream_tbEUlmE_sEESB_NS0_8identityIvEEEESJ_SM_SN_mSO_SQ_bEUlT_E_NS1_11comp_targetILNS1_3genE10ELNS1_11target_archE1201ELNS1_3gpuE5ELNS1_3repE0EEENS1_30default_config_static_selectorELNS0_4arch9wavefront6targetE0EEEvT1_
		.amdhsa_group_segment_fixed_size 0
		.amdhsa_private_segment_fixed_size 0
		.amdhsa_kernarg_size 56
		.amdhsa_user_sgpr_count 15
		.amdhsa_user_sgpr_dispatch_ptr 0
		.amdhsa_user_sgpr_queue_ptr 0
		.amdhsa_user_sgpr_kernarg_segment_ptr 1
		.amdhsa_user_sgpr_dispatch_id 0
		.amdhsa_user_sgpr_private_segment_size 0
		.amdhsa_wavefront_size32 1
		.amdhsa_uses_dynamic_stack 0
		.amdhsa_enable_private_segment 0
		.amdhsa_system_sgpr_workgroup_id_x 1
		.amdhsa_system_sgpr_workgroup_id_y 0
		.amdhsa_system_sgpr_workgroup_id_z 0
		.amdhsa_system_sgpr_workgroup_info 0
		.amdhsa_system_vgpr_workitem_id 0
		.amdhsa_next_free_vgpr 1
		.amdhsa_next_free_sgpr 1
		.amdhsa_reserve_vcc 0
		.amdhsa_float_round_mode_32 0
		.amdhsa_float_round_mode_16_64 0
		.amdhsa_float_denorm_mode_32 3
		.amdhsa_float_denorm_mode_16_64 3
		.amdhsa_dx10_clamp 1
		.amdhsa_ieee_mode 1
		.amdhsa_fp16_overflow 0
		.amdhsa_workgroup_processor_mode 1
		.amdhsa_memory_ordered 1
		.amdhsa_forward_progress 0
		.amdhsa_shared_vgpr_count 0
		.amdhsa_exception_fp_ieee_invalid_op 0
		.amdhsa_exception_fp_denorm_src 0
		.amdhsa_exception_fp_ieee_div_zero 0
		.amdhsa_exception_fp_ieee_overflow 0
		.amdhsa_exception_fp_ieee_underflow 0
		.amdhsa_exception_fp_ieee_inexact 0
		.amdhsa_exception_int_div_zero 0
	.end_amdhsa_kernel
	.section	.text._ZN7rocprim17ROCPRIM_400000_NS6detail17trampoline_kernelINS0_14default_configENS1_25transform_config_selectorIsLb0EEEZNS1_14transform_implILb0ES3_S5_NS0_18transform_iteratorINS0_17counting_iteratorImlEEZNS1_24adjacent_difference_implIS3_Lb1ELb0EPsN6thrust23THRUST_200600_302600_NS16discard_iteratorINSD_11use_defaultEEENSD_5minusIsEEEE10hipError_tPvRmT2_T3_mT4_P12ihipStream_tbEUlmE_sEESB_NS0_8identityIvEEEESJ_SM_SN_mSO_SQ_bEUlT_E_NS1_11comp_targetILNS1_3genE10ELNS1_11target_archE1201ELNS1_3gpuE5ELNS1_3repE0EEENS1_30default_config_static_selectorELNS0_4arch9wavefront6targetE0EEEvT1_,"axG",@progbits,_ZN7rocprim17ROCPRIM_400000_NS6detail17trampoline_kernelINS0_14default_configENS1_25transform_config_selectorIsLb0EEEZNS1_14transform_implILb0ES3_S5_NS0_18transform_iteratorINS0_17counting_iteratorImlEEZNS1_24adjacent_difference_implIS3_Lb1ELb0EPsN6thrust23THRUST_200600_302600_NS16discard_iteratorINSD_11use_defaultEEENSD_5minusIsEEEE10hipError_tPvRmT2_T3_mT4_P12ihipStream_tbEUlmE_sEESB_NS0_8identityIvEEEESJ_SM_SN_mSO_SQ_bEUlT_E_NS1_11comp_targetILNS1_3genE10ELNS1_11target_archE1201ELNS1_3gpuE5ELNS1_3repE0EEENS1_30default_config_static_selectorELNS0_4arch9wavefront6targetE0EEEvT1_,comdat
.Lfunc_end897:
	.size	_ZN7rocprim17ROCPRIM_400000_NS6detail17trampoline_kernelINS0_14default_configENS1_25transform_config_selectorIsLb0EEEZNS1_14transform_implILb0ES3_S5_NS0_18transform_iteratorINS0_17counting_iteratorImlEEZNS1_24adjacent_difference_implIS3_Lb1ELb0EPsN6thrust23THRUST_200600_302600_NS16discard_iteratorINSD_11use_defaultEEENSD_5minusIsEEEE10hipError_tPvRmT2_T3_mT4_P12ihipStream_tbEUlmE_sEESB_NS0_8identityIvEEEESJ_SM_SN_mSO_SQ_bEUlT_E_NS1_11comp_targetILNS1_3genE10ELNS1_11target_archE1201ELNS1_3gpuE5ELNS1_3repE0EEENS1_30default_config_static_selectorELNS0_4arch9wavefront6targetE0EEEvT1_, .Lfunc_end897-_ZN7rocprim17ROCPRIM_400000_NS6detail17trampoline_kernelINS0_14default_configENS1_25transform_config_selectorIsLb0EEEZNS1_14transform_implILb0ES3_S5_NS0_18transform_iteratorINS0_17counting_iteratorImlEEZNS1_24adjacent_difference_implIS3_Lb1ELb0EPsN6thrust23THRUST_200600_302600_NS16discard_iteratorINSD_11use_defaultEEENSD_5minusIsEEEE10hipError_tPvRmT2_T3_mT4_P12ihipStream_tbEUlmE_sEESB_NS0_8identityIvEEEESJ_SM_SN_mSO_SQ_bEUlT_E_NS1_11comp_targetILNS1_3genE10ELNS1_11target_archE1201ELNS1_3gpuE5ELNS1_3repE0EEENS1_30default_config_static_selectorELNS0_4arch9wavefront6targetE0EEEvT1_
                                        ; -- End function
	.section	.AMDGPU.csdata,"",@progbits
; Kernel info:
; codeLenInByte = 0
; NumSgprs: 0
; NumVgprs: 0
; ScratchSize: 0
; MemoryBound: 0
; FloatMode: 240
; IeeeMode: 1
; LDSByteSize: 0 bytes/workgroup (compile time only)
; SGPRBlocks: 0
; VGPRBlocks: 0
; NumSGPRsForWavesPerEU: 1
; NumVGPRsForWavesPerEU: 1
; Occupancy: 16
; WaveLimiterHint : 0
; COMPUTE_PGM_RSRC2:SCRATCH_EN: 0
; COMPUTE_PGM_RSRC2:USER_SGPR: 15
; COMPUTE_PGM_RSRC2:TRAP_HANDLER: 0
; COMPUTE_PGM_RSRC2:TGID_X_EN: 1
; COMPUTE_PGM_RSRC2:TGID_Y_EN: 0
; COMPUTE_PGM_RSRC2:TGID_Z_EN: 0
; COMPUTE_PGM_RSRC2:TIDIG_COMP_CNT: 0
	.section	.text._ZN7rocprim17ROCPRIM_400000_NS6detail17trampoline_kernelINS0_14default_configENS1_25transform_config_selectorIsLb0EEEZNS1_14transform_implILb0ES3_S5_NS0_18transform_iteratorINS0_17counting_iteratorImlEEZNS1_24adjacent_difference_implIS3_Lb1ELb0EPsN6thrust23THRUST_200600_302600_NS16discard_iteratorINSD_11use_defaultEEENSD_5minusIsEEEE10hipError_tPvRmT2_T3_mT4_P12ihipStream_tbEUlmE_sEESB_NS0_8identityIvEEEESJ_SM_SN_mSO_SQ_bEUlT_E_NS1_11comp_targetILNS1_3genE10ELNS1_11target_archE1200ELNS1_3gpuE4ELNS1_3repE0EEENS1_30default_config_static_selectorELNS0_4arch9wavefront6targetE0EEEvT1_,"axG",@progbits,_ZN7rocprim17ROCPRIM_400000_NS6detail17trampoline_kernelINS0_14default_configENS1_25transform_config_selectorIsLb0EEEZNS1_14transform_implILb0ES3_S5_NS0_18transform_iteratorINS0_17counting_iteratorImlEEZNS1_24adjacent_difference_implIS3_Lb1ELb0EPsN6thrust23THRUST_200600_302600_NS16discard_iteratorINSD_11use_defaultEEENSD_5minusIsEEEE10hipError_tPvRmT2_T3_mT4_P12ihipStream_tbEUlmE_sEESB_NS0_8identityIvEEEESJ_SM_SN_mSO_SQ_bEUlT_E_NS1_11comp_targetILNS1_3genE10ELNS1_11target_archE1200ELNS1_3gpuE4ELNS1_3repE0EEENS1_30default_config_static_selectorELNS0_4arch9wavefront6targetE0EEEvT1_,comdat
	.protected	_ZN7rocprim17ROCPRIM_400000_NS6detail17trampoline_kernelINS0_14default_configENS1_25transform_config_selectorIsLb0EEEZNS1_14transform_implILb0ES3_S5_NS0_18transform_iteratorINS0_17counting_iteratorImlEEZNS1_24adjacent_difference_implIS3_Lb1ELb0EPsN6thrust23THRUST_200600_302600_NS16discard_iteratorINSD_11use_defaultEEENSD_5minusIsEEEE10hipError_tPvRmT2_T3_mT4_P12ihipStream_tbEUlmE_sEESB_NS0_8identityIvEEEESJ_SM_SN_mSO_SQ_bEUlT_E_NS1_11comp_targetILNS1_3genE10ELNS1_11target_archE1200ELNS1_3gpuE4ELNS1_3repE0EEENS1_30default_config_static_selectorELNS0_4arch9wavefront6targetE0EEEvT1_ ; -- Begin function _ZN7rocprim17ROCPRIM_400000_NS6detail17trampoline_kernelINS0_14default_configENS1_25transform_config_selectorIsLb0EEEZNS1_14transform_implILb0ES3_S5_NS0_18transform_iteratorINS0_17counting_iteratorImlEEZNS1_24adjacent_difference_implIS3_Lb1ELb0EPsN6thrust23THRUST_200600_302600_NS16discard_iteratorINSD_11use_defaultEEENSD_5minusIsEEEE10hipError_tPvRmT2_T3_mT4_P12ihipStream_tbEUlmE_sEESB_NS0_8identityIvEEEESJ_SM_SN_mSO_SQ_bEUlT_E_NS1_11comp_targetILNS1_3genE10ELNS1_11target_archE1200ELNS1_3gpuE4ELNS1_3repE0EEENS1_30default_config_static_selectorELNS0_4arch9wavefront6targetE0EEEvT1_
	.globl	_ZN7rocprim17ROCPRIM_400000_NS6detail17trampoline_kernelINS0_14default_configENS1_25transform_config_selectorIsLb0EEEZNS1_14transform_implILb0ES3_S5_NS0_18transform_iteratorINS0_17counting_iteratorImlEEZNS1_24adjacent_difference_implIS3_Lb1ELb0EPsN6thrust23THRUST_200600_302600_NS16discard_iteratorINSD_11use_defaultEEENSD_5minusIsEEEE10hipError_tPvRmT2_T3_mT4_P12ihipStream_tbEUlmE_sEESB_NS0_8identityIvEEEESJ_SM_SN_mSO_SQ_bEUlT_E_NS1_11comp_targetILNS1_3genE10ELNS1_11target_archE1200ELNS1_3gpuE4ELNS1_3repE0EEENS1_30default_config_static_selectorELNS0_4arch9wavefront6targetE0EEEvT1_
	.p2align	8
	.type	_ZN7rocprim17ROCPRIM_400000_NS6detail17trampoline_kernelINS0_14default_configENS1_25transform_config_selectorIsLb0EEEZNS1_14transform_implILb0ES3_S5_NS0_18transform_iteratorINS0_17counting_iteratorImlEEZNS1_24adjacent_difference_implIS3_Lb1ELb0EPsN6thrust23THRUST_200600_302600_NS16discard_iteratorINSD_11use_defaultEEENSD_5minusIsEEEE10hipError_tPvRmT2_T3_mT4_P12ihipStream_tbEUlmE_sEESB_NS0_8identityIvEEEESJ_SM_SN_mSO_SQ_bEUlT_E_NS1_11comp_targetILNS1_3genE10ELNS1_11target_archE1200ELNS1_3gpuE4ELNS1_3repE0EEENS1_30default_config_static_selectorELNS0_4arch9wavefront6targetE0EEEvT1_,@function
_ZN7rocprim17ROCPRIM_400000_NS6detail17trampoline_kernelINS0_14default_configENS1_25transform_config_selectorIsLb0EEEZNS1_14transform_implILb0ES3_S5_NS0_18transform_iteratorINS0_17counting_iteratorImlEEZNS1_24adjacent_difference_implIS3_Lb1ELb0EPsN6thrust23THRUST_200600_302600_NS16discard_iteratorINSD_11use_defaultEEENSD_5minusIsEEEE10hipError_tPvRmT2_T3_mT4_P12ihipStream_tbEUlmE_sEESB_NS0_8identityIvEEEESJ_SM_SN_mSO_SQ_bEUlT_E_NS1_11comp_targetILNS1_3genE10ELNS1_11target_archE1200ELNS1_3gpuE4ELNS1_3repE0EEENS1_30default_config_static_selectorELNS0_4arch9wavefront6targetE0EEEvT1_: ; @_ZN7rocprim17ROCPRIM_400000_NS6detail17trampoline_kernelINS0_14default_configENS1_25transform_config_selectorIsLb0EEEZNS1_14transform_implILb0ES3_S5_NS0_18transform_iteratorINS0_17counting_iteratorImlEEZNS1_24adjacent_difference_implIS3_Lb1ELb0EPsN6thrust23THRUST_200600_302600_NS16discard_iteratorINSD_11use_defaultEEENSD_5minusIsEEEE10hipError_tPvRmT2_T3_mT4_P12ihipStream_tbEUlmE_sEESB_NS0_8identityIvEEEESJ_SM_SN_mSO_SQ_bEUlT_E_NS1_11comp_targetILNS1_3genE10ELNS1_11target_archE1200ELNS1_3gpuE4ELNS1_3repE0EEENS1_30default_config_static_selectorELNS0_4arch9wavefront6targetE0EEEvT1_
; %bb.0:
	.section	.rodata,"a",@progbits
	.p2align	6, 0x0
	.amdhsa_kernel _ZN7rocprim17ROCPRIM_400000_NS6detail17trampoline_kernelINS0_14default_configENS1_25transform_config_selectorIsLb0EEEZNS1_14transform_implILb0ES3_S5_NS0_18transform_iteratorINS0_17counting_iteratorImlEEZNS1_24adjacent_difference_implIS3_Lb1ELb0EPsN6thrust23THRUST_200600_302600_NS16discard_iteratorINSD_11use_defaultEEENSD_5minusIsEEEE10hipError_tPvRmT2_T3_mT4_P12ihipStream_tbEUlmE_sEESB_NS0_8identityIvEEEESJ_SM_SN_mSO_SQ_bEUlT_E_NS1_11comp_targetILNS1_3genE10ELNS1_11target_archE1200ELNS1_3gpuE4ELNS1_3repE0EEENS1_30default_config_static_selectorELNS0_4arch9wavefront6targetE0EEEvT1_
		.amdhsa_group_segment_fixed_size 0
		.amdhsa_private_segment_fixed_size 0
		.amdhsa_kernarg_size 56
		.amdhsa_user_sgpr_count 15
		.amdhsa_user_sgpr_dispatch_ptr 0
		.amdhsa_user_sgpr_queue_ptr 0
		.amdhsa_user_sgpr_kernarg_segment_ptr 1
		.amdhsa_user_sgpr_dispatch_id 0
		.amdhsa_user_sgpr_private_segment_size 0
		.amdhsa_wavefront_size32 1
		.amdhsa_uses_dynamic_stack 0
		.amdhsa_enable_private_segment 0
		.amdhsa_system_sgpr_workgroup_id_x 1
		.amdhsa_system_sgpr_workgroup_id_y 0
		.amdhsa_system_sgpr_workgroup_id_z 0
		.amdhsa_system_sgpr_workgroup_info 0
		.amdhsa_system_vgpr_workitem_id 0
		.amdhsa_next_free_vgpr 1
		.amdhsa_next_free_sgpr 1
		.amdhsa_reserve_vcc 0
		.amdhsa_float_round_mode_32 0
		.amdhsa_float_round_mode_16_64 0
		.amdhsa_float_denorm_mode_32 3
		.amdhsa_float_denorm_mode_16_64 3
		.amdhsa_dx10_clamp 1
		.amdhsa_ieee_mode 1
		.amdhsa_fp16_overflow 0
		.amdhsa_workgroup_processor_mode 1
		.amdhsa_memory_ordered 1
		.amdhsa_forward_progress 0
		.amdhsa_shared_vgpr_count 0
		.amdhsa_exception_fp_ieee_invalid_op 0
		.amdhsa_exception_fp_denorm_src 0
		.amdhsa_exception_fp_ieee_div_zero 0
		.amdhsa_exception_fp_ieee_overflow 0
		.amdhsa_exception_fp_ieee_underflow 0
		.amdhsa_exception_fp_ieee_inexact 0
		.amdhsa_exception_int_div_zero 0
	.end_amdhsa_kernel
	.section	.text._ZN7rocprim17ROCPRIM_400000_NS6detail17trampoline_kernelINS0_14default_configENS1_25transform_config_selectorIsLb0EEEZNS1_14transform_implILb0ES3_S5_NS0_18transform_iteratorINS0_17counting_iteratorImlEEZNS1_24adjacent_difference_implIS3_Lb1ELb0EPsN6thrust23THRUST_200600_302600_NS16discard_iteratorINSD_11use_defaultEEENSD_5minusIsEEEE10hipError_tPvRmT2_T3_mT4_P12ihipStream_tbEUlmE_sEESB_NS0_8identityIvEEEESJ_SM_SN_mSO_SQ_bEUlT_E_NS1_11comp_targetILNS1_3genE10ELNS1_11target_archE1200ELNS1_3gpuE4ELNS1_3repE0EEENS1_30default_config_static_selectorELNS0_4arch9wavefront6targetE0EEEvT1_,"axG",@progbits,_ZN7rocprim17ROCPRIM_400000_NS6detail17trampoline_kernelINS0_14default_configENS1_25transform_config_selectorIsLb0EEEZNS1_14transform_implILb0ES3_S5_NS0_18transform_iteratorINS0_17counting_iteratorImlEEZNS1_24adjacent_difference_implIS3_Lb1ELb0EPsN6thrust23THRUST_200600_302600_NS16discard_iteratorINSD_11use_defaultEEENSD_5minusIsEEEE10hipError_tPvRmT2_T3_mT4_P12ihipStream_tbEUlmE_sEESB_NS0_8identityIvEEEESJ_SM_SN_mSO_SQ_bEUlT_E_NS1_11comp_targetILNS1_3genE10ELNS1_11target_archE1200ELNS1_3gpuE4ELNS1_3repE0EEENS1_30default_config_static_selectorELNS0_4arch9wavefront6targetE0EEEvT1_,comdat
.Lfunc_end898:
	.size	_ZN7rocprim17ROCPRIM_400000_NS6detail17trampoline_kernelINS0_14default_configENS1_25transform_config_selectorIsLb0EEEZNS1_14transform_implILb0ES3_S5_NS0_18transform_iteratorINS0_17counting_iteratorImlEEZNS1_24adjacent_difference_implIS3_Lb1ELb0EPsN6thrust23THRUST_200600_302600_NS16discard_iteratorINSD_11use_defaultEEENSD_5minusIsEEEE10hipError_tPvRmT2_T3_mT4_P12ihipStream_tbEUlmE_sEESB_NS0_8identityIvEEEESJ_SM_SN_mSO_SQ_bEUlT_E_NS1_11comp_targetILNS1_3genE10ELNS1_11target_archE1200ELNS1_3gpuE4ELNS1_3repE0EEENS1_30default_config_static_selectorELNS0_4arch9wavefront6targetE0EEEvT1_, .Lfunc_end898-_ZN7rocprim17ROCPRIM_400000_NS6detail17trampoline_kernelINS0_14default_configENS1_25transform_config_selectorIsLb0EEEZNS1_14transform_implILb0ES3_S5_NS0_18transform_iteratorINS0_17counting_iteratorImlEEZNS1_24adjacent_difference_implIS3_Lb1ELb0EPsN6thrust23THRUST_200600_302600_NS16discard_iteratorINSD_11use_defaultEEENSD_5minusIsEEEE10hipError_tPvRmT2_T3_mT4_P12ihipStream_tbEUlmE_sEESB_NS0_8identityIvEEEESJ_SM_SN_mSO_SQ_bEUlT_E_NS1_11comp_targetILNS1_3genE10ELNS1_11target_archE1200ELNS1_3gpuE4ELNS1_3repE0EEENS1_30default_config_static_selectorELNS0_4arch9wavefront6targetE0EEEvT1_
                                        ; -- End function
	.section	.AMDGPU.csdata,"",@progbits
; Kernel info:
; codeLenInByte = 0
; NumSgprs: 0
; NumVgprs: 0
; ScratchSize: 0
; MemoryBound: 0
; FloatMode: 240
; IeeeMode: 1
; LDSByteSize: 0 bytes/workgroup (compile time only)
; SGPRBlocks: 0
; VGPRBlocks: 0
; NumSGPRsForWavesPerEU: 1
; NumVGPRsForWavesPerEU: 1
; Occupancy: 16
; WaveLimiterHint : 0
; COMPUTE_PGM_RSRC2:SCRATCH_EN: 0
; COMPUTE_PGM_RSRC2:USER_SGPR: 15
; COMPUTE_PGM_RSRC2:TRAP_HANDLER: 0
; COMPUTE_PGM_RSRC2:TGID_X_EN: 1
; COMPUTE_PGM_RSRC2:TGID_Y_EN: 0
; COMPUTE_PGM_RSRC2:TGID_Z_EN: 0
; COMPUTE_PGM_RSRC2:TIDIG_COMP_CNT: 0
	.section	.text._ZN7rocprim17ROCPRIM_400000_NS6detail17trampoline_kernelINS0_14default_configENS1_25transform_config_selectorIsLb0EEEZNS1_14transform_implILb0ES3_S5_NS0_18transform_iteratorINS0_17counting_iteratorImlEEZNS1_24adjacent_difference_implIS3_Lb1ELb0EPsN6thrust23THRUST_200600_302600_NS16discard_iteratorINSD_11use_defaultEEENSD_5minusIsEEEE10hipError_tPvRmT2_T3_mT4_P12ihipStream_tbEUlmE_sEESB_NS0_8identityIvEEEESJ_SM_SN_mSO_SQ_bEUlT_E_NS1_11comp_targetILNS1_3genE9ELNS1_11target_archE1100ELNS1_3gpuE3ELNS1_3repE0EEENS1_30default_config_static_selectorELNS0_4arch9wavefront6targetE0EEEvT1_,"axG",@progbits,_ZN7rocprim17ROCPRIM_400000_NS6detail17trampoline_kernelINS0_14default_configENS1_25transform_config_selectorIsLb0EEEZNS1_14transform_implILb0ES3_S5_NS0_18transform_iteratorINS0_17counting_iteratorImlEEZNS1_24adjacent_difference_implIS3_Lb1ELb0EPsN6thrust23THRUST_200600_302600_NS16discard_iteratorINSD_11use_defaultEEENSD_5minusIsEEEE10hipError_tPvRmT2_T3_mT4_P12ihipStream_tbEUlmE_sEESB_NS0_8identityIvEEEESJ_SM_SN_mSO_SQ_bEUlT_E_NS1_11comp_targetILNS1_3genE9ELNS1_11target_archE1100ELNS1_3gpuE3ELNS1_3repE0EEENS1_30default_config_static_selectorELNS0_4arch9wavefront6targetE0EEEvT1_,comdat
	.protected	_ZN7rocprim17ROCPRIM_400000_NS6detail17trampoline_kernelINS0_14default_configENS1_25transform_config_selectorIsLb0EEEZNS1_14transform_implILb0ES3_S5_NS0_18transform_iteratorINS0_17counting_iteratorImlEEZNS1_24adjacent_difference_implIS3_Lb1ELb0EPsN6thrust23THRUST_200600_302600_NS16discard_iteratorINSD_11use_defaultEEENSD_5minusIsEEEE10hipError_tPvRmT2_T3_mT4_P12ihipStream_tbEUlmE_sEESB_NS0_8identityIvEEEESJ_SM_SN_mSO_SQ_bEUlT_E_NS1_11comp_targetILNS1_3genE9ELNS1_11target_archE1100ELNS1_3gpuE3ELNS1_3repE0EEENS1_30default_config_static_selectorELNS0_4arch9wavefront6targetE0EEEvT1_ ; -- Begin function _ZN7rocprim17ROCPRIM_400000_NS6detail17trampoline_kernelINS0_14default_configENS1_25transform_config_selectorIsLb0EEEZNS1_14transform_implILb0ES3_S5_NS0_18transform_iteratorINS0_17counting_iteratorImlEEZNS1_24adjacent_difference_implIS3_Lb1ELb0EPsN6thrust23THRUST_200600_302600_NS16discard_iteratorINSD_11use_defaultEEENSD_5minusIsEEEE10hipError_tPvRmT2_T3_mT4_P12ihipStream_tbEUlmE_sEESB_NS0_8identityIvEEEESJ_SM_SN_mSO_SQ_bEUlT_E_NS1_11comp_targetILNS1_3genE9ELNS1_11target_archE1100ELNS1_3gpuE3ELNS1_3repE0EEENS1_30default_config_static_selectorELNS0_4arch9wavefront6targetE0EEEvT1_
	.globl	_ZN7rocprim17ROCPRIM_400000_NS6detail17trampoline_kernelINS0_14default_configENS1_25transform_config_selectorIsLb0EEEZNS1_14transform_implILb0ES3_S5_NS0_18transform_iteratorINS0_17counting_iteratorImlEEZNS1_24adjacent_difference_implIS3_Lb1ELb0EPsN6thrust23THRUST_200600_302600_NS16discard_iteratorINSD_11use_defaultEEENSD_5minusIsEEEE10hipError_tPvRmT2_T3_mT4_P12ihipStream_tbEUlmE_sEESB_NS0_8identityIvEEEESJ_SM_SN_mSO_SQ_bEUlT_E_NS1_11comp_targetILNS1_3genE9ELNS1_11target_archE1100ELNS1_3gpuE3ELNS1_3repE0EEENS1_30default_config_static_selectorELNS0_4arch9wavefront6targetE0EEEvT1_
	.p2align	8
	.type	_ZN7rocprim17ROCPRIM_400000_NS6detail17trampoline_kernelINS0_14default_configENS1_25transform_config_selectorIsLb0EEEZNS1_14transform_implILb0ES3_S5_NS0_18transform_iteratorINS0_17counting_iteratorImlEEZNS1_24adjacent_difference_implIS3_Lb1ELb0EPsN6thrust23THRUST_200600_302600_NS16discard_iteratorINSD_11use_defaultEEENSD_5minusIsEEEE10hipError_tPvRmT2_T3_mT4_P12ihipStream_tbEUlmE_sEESB_NS0_8identityIvEEEESJ_SM_SN_mSO_SQ_bEUlT_E_NS1_11comp_targetILNS1_3genE9ELNS1_11target_archE1100ELNS1_3gpuE3ELNS1_3repE0EEENS1_30default_config_static_selectorELNS0_4arch9wavefront6targetE0EEEvT1_,@function
_ZN7rocprim17ROCPRIM_400000_NS6detail17trampoline_kernelINS0_14default_configENS1_25transform_config_selectorIsLb0EEEZNS1_14transform_implILb0ES3_S5_NS0_18transform_iteratorINS0_17counting_iteratorImlEEZNS1_24adjacent_difference_implIS3_Lb1ELb0EPsN6thrust23THRUST_200600_302600_NS16discard_iteratorINSD_11use_defaultEEENSD_5minusIsEEEE10hipError_tPvRmT2_T3_mT4_P12ihipStream_tbEUlmE_sEESB_NS0_8identityIvEEEESJ_SM_SN_mSO_SQ_bEUlT_E_NS1_11comp_targetILNS1_3genE9ELNS1_11target_archE1100ELNS1_3gpuE3ELNS1_3repE0EEENS1_30default_config_static_selectorELNS0_4arch9wavefront6targetE0EEEvT1_: ; @_ZN7rocprim17ROCPRIM_400000_NS6detail17trampoline_kernelINS0_14default_configENS1_25transform_config_selectorIsLb0EEEZNS1_14transform_implILb0ES3_S5_NS0_18transform_iteratorINS0_17counting_iteratorImlEEZNS1_24adjacent_difference_implIS3_Lb1ELb0EPsN6thrust23THRUST_200600_302600_NS16discard_iteratorINSD_11use_defaultEEENSD_5minusIsEEEE10hipError_tPvRmT2_T3_mT4_P12ihipStream_tbEUlmE_sEESB_NS0_8identityIvEEEESJ_SM_SN_mSO_SQ_bEUlT_E_NS1_11comp_targetILNS1_3genE9ELNS1_11target_archE1100ELNS1_3gpuE3ELNS1_3repE0EEENS1_30default_config_static_selectorELNS0_4arch9wavefront6targetE0EEEvT1_
; %bb.0:
	s_clause 0x4
	s_load_b128 s[8:11], s[0:1], 0x18
	s_load_b64 s[16:17], s[0:1], 0x28
	s_load_b32 s13, s[0:1], 0x38
	s_load_b128 s[4:7], s[0:1], 0x0
	s_load_b32 s12, s[0:1], 0x10
	v_lshlrev_b32_e32 v3, 1, v0
	s_mov_b32 s3, 0
	s_waitcnt lgkmcnt(0)
	s_lshl_b64 s[0:1], s[8:9], 1
	s_delay_alu instid0(SALU_CYCLE_1)
	s_add_u32 s11, s16, s0
	s_addc_u32 s14, s17, s1
	s_lshl_b32 s2, s15, 11
	s_add_i32 s13, s13, -1
	s_add_u32 s0, s4, s2
	s_addc_u32 s4, s5, 0
	s_add_u32 s1, s0, s8
	s_addc_u32 s5, s4, s9
	s_cmp_lg_u32 s15, s13
	s_mov_b32 s13, -1
	s_cbranch_scc0 .LBB899_2
; %bb.1:
	v_add_co_u32 v4, s0, s1, v0
	s_delay_alu instid0(VALU_DEP_1) | instskip(SKIP_1) | instid1(VALU_DEP_2)
	v_add_co_ci_u32_e64 v6, null, s5, 0, s0
	s_mov_b32 s13, 0
	v_mad_u64_u32 v[1:2], null, v4, s12, 0
	s_lshl_b64 s[8:9], s[12:13], 11
	s_mov_b32 s4, -1
	s_delay_alu instid0(VALU_DEP_1) | instskip(NEXT) | instid1(VALU_DEP_1)
	v_mad_u64_u32 v[4:5], null, v6, s12, v[2:3]
	v_mov_b32_e32 v2, v4
	s_delay_alu instid0(VALU_DEP_1) | instskip(NEXT) | instid1(VALU_DEP_1)
	v_lshlrev_b64 v[1:2], 1, v[1:2]
	v_add_co_u32 v1, vcc_lo, s6, v1
	s_delay_alu instid0(VALU_DEP_2) | instskip(NEXT) | instid1(VALU_DEP_2)
	v_add_co_ci_u32_e32 v2, vcc_lo, s7, v2, vcc_lo
	v_add_co_u32 v4, vcc_lo, v1, s8
	s_delay_alu instid0(VALU_DEP_2)
	v_add_co_ci_u32_e32 v5, vcc_lo, s9, v2, vcc_lo
	s_lshl_b64 s[8:9], s[2:3], 1
	s_clause 0x1
	global_load_u16 v6, v[1:2], off
	global_load_u16 v4, v[4:5], off
	s_add_u32 s8, s11, s8
	s_addc_u32 s9, s14, s9
	v_add_co_u32 v1, s0, s8, v3
	s_delay_alu instid0(VALU_DEP_1)
	v_add_co_ci_u32_e64 v2, null, s9, 0, s0
	s_waitcnt vmcnt(1)
	global_store_b16 v3, v6, s[8:9]
	s_cbranch_execz .LBB899_3
	s_branch .LBB899_12
.LBB899_2:
	s_mov_b32 s4, s3
                                        ; implicit-def: $vgpr4
                                        ; implicit-def: $vgpr1_vgpr2
	s_and_not1_b32 vcc_lo, exec_lo, s13
	s_cbranch_vccnz .LBB899_12
.LBB899_3:
	s_sub_i32 s8, s10, s2
                                        ; implicit-def: $vgpr5
	s_delay_alu instid0(SALU_CYCLE_1)
	v_cmp_gt_u32_e32 vcc_lo, s8, v0
	s_and_saveexec_b32 s9, vcc_lo
	s_cbranch_execz .LBB899_5
; %bb.4:
	s_waitcnt vmcnt(0)
	v_add_co_u32 v4, s0, s1, v0
	s_delay_alu instid0(VALU_DEP_1) | instskip(NEXT) | instid1(VALU_DEP_2)
	v_add_co_ci_u32_e64 v6, null, s5, 0, s0
	v_mad_u64_u32 v[1:2], null, v4, s12, 0
	s_delay_alu instid0(VALU_DEP_1) | instskip(NEXT) | instid1(VALU_DEP_1)
	v_mad_u64_u32 v[4:5], null, v6, s12, v[2:3]
	v_mov_b32_e32 v2, v4
	s_delay_alu instid0(VALU_DEP_1) | instskip(NEXT) | instid1(VALU_DEP_1)
	v_lshlrev_b64 v[1:2], 1, v[1:2]
	v_add_co_u32 v1, s0, s6, v1
	s_delay_alu instid0(VALU_DEP_1)
	v_add_co_ci_u32_e64 v2, s0, s7, v2, s0
	global_load_d16_b16 v5, v[1:2], off
.LBB899_5:
	s_or_b32 exec_lo, exec_lo, s9
	v_or_b32_e32 v0, 0x400, v0
	s_delay_alu instid0(VALU_DEP_1) | instskip(NEXT) | instid1(VALU_DEP_1)
	v_cmp_gt_u32_e64 s0, s8, v0
	s_and_saveexec_b32 s8, s0
	s_cbranch_execz .LBB899_7
; %bb.6:
	v_add_co_u32 v2, s1, s1, v0
	s_waitcnt vmcnt(0)
	v_add_co_ci_u32_e64 v4, null, s5, 0, s1
	s_delay_alu instid0(VALU_DEP_2) | instskip(NEXT) | instid1(VALU_DEP_1)
	v_mad_u64_u32 v[0:1], null, v2, s12, 0
	v_mad_u64_u32 v[6:7], null, v4, s12, v[1:2]
	s_delay_alu instid0(VALU_DEP_1) | instskip(NEXT) | instid1(VALU_DEP_1)
	v_mov_b32_e32 v1, v6
	v_lshlrev_b64 v[0:1], 1, v[0:1]
	s_delay_alu instid0(VALU_DEP_1) | instskip(NEXT) | instid1(VALU_DEP_1)
	v_add_co_u32 v0, s1, s6, v0
	v_add_co_ci_u32_e64 v1, s1, s7, v1, s1
	global_load_d16_hi_b16 v5, v[0:1], off
.LBB899_7:
	s_or_b32 exec_lo, exec_lo, s8
	s_lshl_b64 s[2:3], s[2:3], 1
	s_delay_alu instid0(SALU_CYCLE_1) | instskip(SKIP_2) | instid1(VALU_DEP_1)
	s_add_u32 s1, s11, s2
	s_addc_u32 s2, s14, s3
	v_add_co_u32 v1, s1, s1, v3
	v_add_co_ci_u32_e64 v2, null, s2, 0, s1
	s_and_saveexec_b32 s1, vcc_lo
	s_cbranch_execz .LBB899_9
; %bb.8:
	s_waitcnt vmcnt(0)
	global_store_b16 v[1:2], v5, off
.LBB899_9:
	s_or_b32 exec_lo, exec_lo, s1
                                        ; implicit-def: $vgpr4
	s_and_saveexec_b32 s1, s0
	s_cbranch_execz .LBB899_11
; %bb.10:
	s_waitcnt vmcnt(0)
	v_lshrrev_b32_e32 v4, 16, v5
	s_or_b32 s4, s4, exec_lo
.LBB899_11:
	s_or_b32 exec_lo, exec_lo, s1
.LBB899_12:
	s_and_saveexec_b32 s0, s4
	s_cbranch_execnz .LBB899_14
; %bb.13:
	s_nop 0
	s_sendmsg sendmsg(MSG_DEALLOC_VGPRS)
	s_endpgm
.LBB899_14:
	s_waitcnt vmcnt(0)
	global_store_b16 v[1:2], v4, off offset:2048
	s_nop 0
	s_sendmsg sendmsg(MSG_DEALLOC_VGPRS)
	s_endpgm
	.section	.rodata,"a",@progbits
	.p2align	6, 0x0
	.amdhsa_kernel _ZN7rocprim17ROCPRIM_400000_NS6detail17trampoline_kernelINS0_14default_configENS1_25transform_config_selectorIsLb0EEEZNS1_14transform_implILb0ES3_S5_NS0_18transform_iteratorINS0_17counting_iteratorImlEEZNS1_24adjacent_difference_implIS3_Lb1ELb0EPsN6thrust23THRUST_200600_302600_NS16discard_iteratorINSD_11use_defaultEEENSD_5minusIsEEEE10hipError_tPvRmT2_T3_mT4_P12ihipStream_tbEUlmE_sEESB_NS0_8identityIvEEEESJ_SM_SN_mSO_SQ_bEUlT_E_NS1_11comp_targetILNS1_3genE9ELNS1_11target_archE1100ELNS1_3gpuE3ELNS1_3repE0EEENS1_30default_config_static_selectorELNS0_4arch9wavefront6targetE0EEEvT1_
		.amdhsa_group_segment_fixed_size 0
		.amdhsa_private_segment_fixed_size 0
		.amdhsa_kernarg_size 312
		.amdhsa_user_sgpr_count 15
		.amdhsa_user_sgpr_dispatch_ptr 0
		.amdhsa_user_sgpr_queue_ptr 0
		.amdhsa_user_sgpr_kernarg_segment_ptr 1
		.amdhsa_user_sgpr_dispatch_id 0
		.amdhsa_user_sgpr_private_segment_size 0
		.amdhsa_wavefront_size32 1
		.amdhsa_uses_dynamic_stack 0
		.amdhsa_enable_private_segment 0
		.amdhsa_system_sgpr_workgroup_id_x 1
		.amdhsa_system_sgpr_workgroup_id_y 0
		.amdhsa_system_sgpr_workgroup_id_z 0
		.amdhsa_system_sgpr_workgroup_info 0
		.amdhsa_system_vgpr_workitem_id 0
		.amdhsa_next_free_vgpr 8
		.amdhsa_next_free_sgpr 18
		.amdhsa_reserve_vcc 1
		.amdhsa_float_round_mode_32 0
		.amdhsa_float_round_mode_16_64 0
		.amdhsa_float_denorm_mode_32 3
		.amdhsa_float_denorm_mode_16_64 3
		.amdhsa_dx10_clamp 1
		.amdhsa_ieee_mode 1
		.amdhsa_fp16_overflow 0
		.amdhsa_workgroup_processor_mode 1
		.amdhsa_memory_ordered 1
		.amdhsa_forward_progress 0
		.amdhsa_shared_vgpr_count 0
		.amdhsa_exception_fp_ieee_invalid_op 0
		.amdhsa_exception_fp_denorm_src 0
		.amdhsa_exception_fp_ieee_div_zero 0
		.amdhsa_exception_fp_ieee_overflow 0
		.amdhsa_exception_fp_ieee_underflow 0
		.amdhsa_exception_fp_ieee_inexact 0
		.amdhsa_exception_int_div_zero 0
	.end_amdhsa_kernel
	.section	.text._ZN7rocprim17ROCPRIM_400000_NS6detail17trampoline_kernelINS0_14default_configENS1_25transform_config_selectorIsLb0EEEZNS1_14transform_implILb0ES3_S5_NS0_18transform_iteratorINS0_17counting_iteratorImlEEZNS1_24adjacent_difference_implIS3_Lb1ELb0EPsN6thrust23THRUST_200600_302600_NS16discard_iteratorINSD_11use_defaultEEENSD_5minusIsEEEE10hipError_tPvRmT2_T3_mT4_P12ihipStream_tbEUlmE_sEESB_NS0_8identityIvEEEESJ_SM_SN_mSO_SQ_bEUlT_E_NS1_11comp_targetILNS1_3genE9ELNS1_11target_archE1100ELNS1_3gpuE3ELNS1_3repE0EEENS1_30default_config_static_selectorELNS0_4arch9wavefront6targetE0EEEvT1_,"axG",@progbits,_ZN7rocprim17ROCPRIM_400000_NS6detail17trampoline_kernelINS0_14default_configENS1_25transform_config_selectorIsLb0EEEZNS1_14transform_implILb0ES3_S5_NS0_18transform_iteratorINS0_17counting_iteratorImlEEZNS1_24adjacent_difference_implIS3_Lb1ELb0EPsN6thrust23THRUST_200600_302600_NS16discard_iteratorINSD_11use_defaultEEENSD_5minusIsEEEE10hipError_tPvRmT2_T3_mT4_P12ihipStream_tbEUlmE_sEESB_NS0_8identityIvEEEESJ_SM_SN_mSO_SQ_bEUlT_E_NS1_11comp_targetILNS1_3genE9ELNS1_11target_archE1100ELNS1_3gpuE3ELNS1_3repE0EEENS1_30default_config_static_selectorELNS0_4arch9wavefront6targetE0EEEvT1_,comdat
.Lfunc_end899:
	.size	_ZN7rocprim17ROCPRIM_400000_NS6detail17trampoline_kernelINS0_14default_configENS1_25transform_config_selectorIsLb0EEEZNS1_14transform_implILb0ES3_S5_NS0_18transform_iteratorINS0_17counting_iteratorImlEEZNS1_24adjacent_difference_implIS3_Lb1ELb0EPsN6thrust23THRUST_200600_302600_NS16discard_iteratorINSD_11use_defaultEEENSD_5minusIsEEEE10hipError_tPvRmT2_T3_mT4_P12ihipStream_tbEUlmE_sEESB_NS0_8identityIvEEEESJ_SM_SN_mSO_SQ_bEUlT_E_NS1_11comp_targetILNS1_3genE9ELNS1_11target_archE1100ELNS1_3gpuE3ELNS1_3repE0EEENS1_30default_config_static_selectorELNS0_4arch9wavefront6targetE0EEEvT1_, .Lfunc_end899-_ZN7rocprim17ROCPRIM_400000_NS6detail17trampoline_kernelINS0_14default_configENS1_25transform_config_selectorIsLb0EEEZNS1_14transform_implILb0ES3_S5_NS0_18transform_iteratorINS0_17counting_iteratorImlEEZNS1_24adjacent_difference_implIS3_Lb1ELb0EPsN6thrust23THRUST_200600_302600_NS16discard_iteratorINSD_11use_defaultEEENSD_5minusIsEEEE10hipError_tPvRmT2_T3_mT4_P12ihipStream_tbEUlmE_sEESB_NS0_8identityIvEEEESJ_SM_SN_mSO_SQ_bEUlT_E_NS1_11comp_targetILNS1_3genE9ELNS1_11target_archE1100ELNS1_3gpuE3ELNS1_3repE0EEENS1_30default_config_static_selectorELNS0_4arch9wavefront6targetE0EEEvT1_
                                        ; -- End function
	.section	.AMDGPU.csdata,"",@progbits
; Kernel info:
; codeLenInByte = 644
; NumSgprs: 20
; NumVgprs: 8
; ScratchSize: 0
; MemoryBound: 0
; FloatMode: 240
; IeeeMode: 1
; LDSByteSize: 0 bytes/workgroup (compile time only)
; SGPRBlocks: 2
; VGPRBlocks: 0
; NumSGPRsForWavesPerEU: 20
; NumVGPRsForWavesPerEU: 8
; Occupancy: 16
; WaveLimiterHint : 0
; COMPUTE_PGM_RSRC2:SCRATCH_EN: 0
; COMPUTE_PGM_RSRC2:USER_SGPR: 15
; COMPUTE_PGM_RSRC2:TRAP_HANDLER: 0
; COMPUTE_PGM_RSRC2:TGID_X_EN: 1
; COMPUTE_PGM_RSRC2:TGID_Y_EN: 0
; COMPUTE_PGM_RSRC2:TGID_Z_EN: 0
; COMPUTE_PGM_RSRC2:TIDIG_COMP_CNT: 0
	.section	.text._ZN7rocprim17ROCPRIM_400000_NS6detail17trampoline_kernelINS0_14default_configENS1_25transform_config_selectorIsLb0EEEZNS1_14transform_implILb0ES3_S5_NS0_18transform_iteratorINS0_17counting_iteratorImlEEZNS1_24adjacent_difference_implIS3_Lb1ELb0EPsN6thrust23THRUST_200600_302600_NS16discard_iteratorINSD_11use_defaultEEENSD_5minusIsEEEE10hipError_tPvRmT2_T3_mT4_P12ihipStream_tbEUlmE_sEESB_NS0_8identityIvEEEESJ_SM_SN_mSO_SQ_bEUlT_E_NS1_11comp_targetILNS1_3genE8ELNS1_11target_archE1030ELNS1_3gpuE2ELNS1_3repE0EEENS1_30default_config_static_selectorELNS0_4arch9wavefront6targetE0EEEvT1_,"axG",@progbits,_ZN7rocprim17ROCPRIM_400000_NS6detail17trampoline_kernelINS0_14default_configENS1_25transform_config_selectorIsLb0EEEZNS1_14transform_implILb0ES3_S5_NS0_18transform_iteratorINS0_17counting_iteratorImlEEZNS1_24adjacent_difference_implIS3_Lb1ELb0EPsN6thrust23THRUST_200600_302600_NS16discard_iteratorINSD_11use_defaultEEENSD_5minusIsEEEE10hipError_tPvRmT2_T3_mT4_P12ihipStream_tbEUlmE_sEESB_NS0_8identityIvEEEESJ_SM_SN_mSO_SQ_bEUlT_E_NS1_11comp_targetILNS1_3genE8ELNS1_11target_archE1030ELNS1_3gpuE2ELNS1_3repE0EEENS1_30default_config_static_selectorELNS0_4arch9wavefront6targetE0EEEvT1_,comdat
	.protected	_ZN7rocprim17ROCPRIM_400000_NS6detail17trampoline_kernelINS0_14default_configENS1_25transform_config_selectorIsLb0EEEZNS1_14transform_implILb0ES3_S5_NS0_18transform_iteratorINS0_17counting_iteratorImlEEZNS1_24adjacent_difference_implIS3_Lb1ELb0EPsN6thrust23THRUST_200600_302600_NS16discard_iteratorINSD_11use_defaultEEENSD_5minusIsEEEE10hipError_tPvRmT2_T3_mT4_P12ihipStream_tbEUlmE_sEESB_NS0_8identityIvEEEESJ_SM_SN_mSO_SQ_bEUlT_E_NS1_11comp_targetILNS1_3genE8ELNS1_11target_archE1030ELNS1_3gpuE2ELNS1_3repE0EEENS1_30default_config_static_selectorELNS0_4arch9wavefront6targetE0EEEvT1_ ; -- Begin function _ZN7rocprim17ROCPRIM_400000_NS6detail17trampoline_kernelINS0_14default_configENS1_25transform_config_selectorIsLb0EEEZNS1_14transform_implILb0ES3_S5_NS0_18transform_iteratorINS0_17counting_iteratorImlEEZNS1_24adjacent_difference_implIS3_Lb1ELb0EPsN6thrust23THRUST_200600_302600_NS16discard_iteratorINSD_11use_defaultEEENSD_5minusIsEEEE10hipError_tPvRmT2_T3_mT4_P12ihipStream_tbEUlmE_sEESB_NS0_8identityIvEEEESJ_SM_SN_mSO_SQ_bEUlT_E_NS1_11comp_targetILNS1_3genE8ELNS1_11target_archE1030ELNS1_3gpuE2ELNS1_3repE0EEENS1_30default_config_static_selectorELNS0_4arch9wavefront6targetE0EEEvT1_
	.globl	_ZN7rocprim17ROCPRIM_400000_NS6detail17trampoline_kernelINS0_14default_configENS1_25transform_config_selectorIsLb0EEEZNS1_14transform_implILb0ES3_S5_NS0_18transform_iteratorINS0_17counting_iteratorImlEEZNS1_24adjacent_difference_implIS3_Lb1ELb0EPsN6thrust23THRUST_200600_302600_NS16discard_iteratorINSD_11use_defaultEEENSD_5minusIsEEEE10hipError_tPvRmT2_T3_mT4_P12ihipStream_tbEUlmE_sEESB_NS0_8identityIvEEEESJ_SM_SN_mSO_SQ_bEUlT_E_NS1_11comp_targetILNS1_3genE8ELNS1_11target_archE1030ELNS1_3gpuE2ELNS1_3repE0EEENS1_30default_config_static_selectorELNS0_4arch9wavefront6targetE0EEEvT1_
	.p2align	8
	.type	_ZN7rocprim17ROCPRIM_400000_NS6detail17trampoline_kernelINS0_14default_configENS1_25transform_config_selectorIsLb0EEEZNS1_14transform_implILb0ES3_S5_NS0_18transform_iteratorINS0_17counting_iteratorImlEEZNS1_24adjacent_difference_implIS3_Lb1ELb0EPsN6thrust23THRUST_200600_302600_NS16discard_iteratorINSD_11use_defaultEEENSD_5minusIsEEEE10hipError_tPvRmT2_T3_mT4_P12ihipStream_tbEUlmE_sEESB_NS0_8identityIvEEEESJ_SM_SN_mSO_SQ_bEUlT_E_NS1_11comp_targetILNS1_3genE8ELNS1_11target_archE1030ELNS1_3gpuE2ELNS1_3repE0EEENS1_30default_config_static_selectorELNS0_4arch9wavefront6targetE0EEEvT1_,@function
_ZN7rocprim17ROCPRIM_400000_NS6detail17trampoline_kernelINS0_14default_configENS1_25transform_config_selectorIsLb0EEEZNS1_14transform_implILb0ES3_S5_NS0_18transform_iteratorINS0_17counting_iteratorImlEEZNS1_24adjacent_difference_implIS3_Lb1ELb0EPsN6thrust23THRUST_200600_302600_NS16discard_iteratorINSD_11use_defaultEEENSD_5minusIsEEEE10hipError_tPvRmT2_T3_mT4_P12ihipStream_tbEUlmE_sEESB_NS0_8identityIvEEEESJ_SM_SN_mSO_SQ_bEUlT_E_NS1_11comp_targetILNS1_3genE8ELNS1_11target_archE1030ELNS1_3gpuE2ELNS1_3repE0EEENS1_30default_config_static_selectorELNS0_4arch9wavefront6targetE0EEEvT1_: ; @_ZN7rocprim17ROCPRIM_400000_NS6detail17trampoline_kernelINS0_14default_configENS1_25transform_config_selectorIsLb0EEEZNS1_14transform_implILb0ES3_S5_NS0_18transform_iteratorINS0_17counting_iteratorImlEEZNS1_24adjacent_difference_implIS3_Lb1ELb0EPsN6thrust23THRUST_200600_302600_NS16discard_iteratorINSD_11use_defaultEEENSD_5minusIsEEEE10hipError_tPvRmT2_T3_mT4_P12ihipStream_tbEUlmE_sEESB_NS0_8identityIvEEEESJ_SM_SN_mSO_SQ_bEUlT_E_NS1_11comp_targetILNS1_3genE8ELNS1_11target_archE1030ELNS1_3gpuE2ELNS1_3repE0EEENS1_30default_config_static_selectorELNS0_4arch9wavefront6targetE0EEEvT1_
; %bb.0:
	.section	.rodata,"a",@progbits
	.p2align	6, 0x0
	.amdhsa_kernel _ZN7rocprim17ROCPRIM_400000_NS6detail17trampoline_kernelINS0_14default_configENS1_25transform_config_selectorIsLb0EEEZNS1_14transform_implILb0ES3_S5_NS0_18transform_iteratorINS0_17counting_iteratorImlEEZNS1_24adjacent_difference_implIS3_Lb1ELb0EPsN6thrust23THRUST_200600_302600_NS16discard_iteratorINSD_11use_defaultEEENSD_5minusIsEEEE10hipError_tPvRmT2_T3_mT4_P12ihipStream_tbEUlmE_sEESB_NS0_8identityIvEEEESJ_SM_SN_mSO_SQ_bEUlT_E_NS1_11comp_targetILNS1_3genE8ELNS1_11target_archE1030ELNS1_3gpuE2ELNS1_3repE0EEENS1_30default_config_static_selectorELNS0_4arch9wavefront6targetE0EEEvT1_
		.amdhsa_group_segment_fixed_size 0
		.amdhsa_private_segment_fixed_size 0
		.amdhsa_kernarg_size 56
		.amdhsa_user_sgpr_count 15
		.amdhsa_user_sgpr_dispatch_ptr 0
		.amdhsa_user_sgpr_queue_ptr 0
		.amdhsa_user_sgpr_kernarg_segment_ptr 1
		.amdhsa_user_sgpr_dispatch_id 0
		.amdhsa_user_sgpr_private_segment_size 0
		.amdhsa_wavefront_size32 1
		.amdhsa_uses_dynamic_stack 0
		.amdhsa_enable_private_segment 0
		.amdhsa_system_sgpr_workgroup_id_x 1
		.amdhsa_system_sgpr_workgroup_id_y 0
		.amdhsa_system_sgpr_workgroup_id_z 0
		.amdhsa_system_sgpr_workgroup_info 0
		.amdhsa_system_vgpr_workitem_id 0
		.amdhsa_next_free_vgpr 1
		.amdhsa_next_free_sgpr 1
		.amdhsa_reserve_vcc 0
		.amdhsa_float_round_mode_32 0
		.amdhsa_float_round_mode_16_64 0
		.amdhsa_float_denorm_mode_32 3
		.amdhsa_float_denorm_mode_16_64 3
		.amdhsa_dx10_clamp 1
		.amdhsa_ieee_mode 1
		.amdhsa_fp16_overflow 0
		.amdhsa_workgroup_processor_mode 1
		.amdhsa_memory_ordered 1
		.amdhsa_forward_progress 0
		.amdhsa_shared_vgpr_count 0
		.amdhsa_exception_fp_ieee_invalid_op 0
		.amdhsa_exception_fp_denorm_src 0
		.amdhsa_exception_fp_ieee_div_zero 0
		.amdhsa_exception_fp_ieee_overflow 0
		.amdhsa_exception_fp_ieee_underflow 0
		.amdhsa_exception_fp_ieee_inexact 0
		.amdhsa_exception_int_div_zero 0
	.end_amdhsa_kernel
	.section	.text._ZN7rocprim17ROCPRIM_400000_NS6detail17trampoline_kernelINS0_14default_configENS1_25transform_config_selectorIsLb0EEEZNS1_14transform_implILb0ES3_S5_NS0_18transform_iteratorINS0_17counting_iteratorImlEEZNS1_24adjacent_difference_implIS3_Lb1ELb0EPsN6thrust23THRUST_200600_302600_NS16discard_iteratorINSD_11use_defaultEEENSD_5minusIsEEEE10hipError_tPvRmT2_T3_mT4_P12ihipStream_tbEUlmE_sEESB_NS0_8identityIvEEEESJ_SM_SN_mSO_SQ_bEUlT_E_NS1_11comp_targetILNS1_3genE8ELNS1_11target_archE1030ELNS1_3gpuE2ELNS1_3repE0EEENS1_30default_config_static_selectorELNS0_4arch9wavefront6targetE0EEEvT1_,"axG",@progbits,_ZN7rocprim17ROCPRIM_400000_NS6detail17trampoline_kernelINS0_14default_configENS1_25transform_config_selectorIsLb0EEEZNS1_14transform_implILb0ES3_S5_NS0_18transform_iteratorINS0_17counting_iteratorImlEEZNS1_24adjacent_difference_implIS3_Lb1ELb0EPsN6thrust23THRUST_200600_302600_NS16discard_iteratorINSD_11use_defaultEEENSD_5minusIsEEEE10hipError_tPvRmT2_T3_mT4_P12ihipStream_tbEUlmE_sEESB_NS0_8identityIvEEEESJ_SM_SN_mSO_SQ_bEUlT_E_NS1_11comp_targetILNS1_3genE8ELNS1_11target_archE1030ELNS1_3gpuE2ELNS1_3repE0EEENS1_30default_config_static_selectorELNS0_4arch9wavefront6targetE0EEEvT1_,comdat
.Lfunc_end900:
	.size	_ZN7rocprim17ROCPRIM_400000_NS6detail17trampoline_kernelINS0_14default_configENS1_25transform_config_selectorIsLb0EEEZNS1_14transform_implILb0ES3_S5_NS0_18transform_iteratorINS0_17counting_iteratorImlEEZNS1_24adjacent_difference_implIS3_Lb1ELb0EPsN6thrust23THRUST_200600_302600_NS16discard_iteratorINSD_11use_defaultEEENSD_5minusIsEEEE10hipError_tPvRmT2_T3_mT4_P12ihipStream_tbEUlmE_sEESB_NS0_8identityIvEEEESJ_SM_SN_mSO_SQ_bEUlT_E_NS1_11comp_targetILNS1_3genE8ELNS1_11target_archE1030ELNS1_3gpuE2ELNS1_3repE0EEENS1_30default_config_static_selectorELNS0_4arch9wavefront6targetE0EEEvT1_, .Lfunc_end900-_ZN7rocprim17ROCPRIM_400000_NS6detail17trampoline_kernelINS0_14default_configENS1_25transform_config_selectorIsLb0EEEZNS1_14transform_implILb0ES3_S5_NS0_18transform_iteratorINS0_17counting_iteratorImlEEZNS1_24adjacent_difference_implIS3_Lb1ELb0EPsN6thrust23THRUST_200600_302600_NS16discard_iteratorINSD_11use_defaultEEENSD_5minusIsEEEE10hipError_tPvRmT2_T3_mT4_P12ihipStream_tbEUlmE_sEESB_NS0_8identityIvEEEESJ_SM_SN_mSO_SQ_bEUlT_E_NS1_11comp_targetILNS1_3genE8ELNS1_11target_archE1030ELNS1_3gpuE2ELNS1_3repE0EEENS1_30default_config_static_selectorELNS0_4arch9wavefront6targetE0EEEvT1_
                                        ; -- End function
	.section	.AMDGPU.csdata,"",@progbits
; Kernel info:
; codeLenInByte = 0
; NumSgprs: 0
; NumVgprs: 0
; ScratchSize: 0
; MemoryBound: 0
; FloatMode: 240
; IeeeMode: 1
; LDSByteSize: 0 bytes/workgroup (compile time only)
; SGPRBlocks: 0
; VGPRBlocks: 0
; NumSGPRsForWavesPerEU: 1
; NumVGPRsForWavesPerEU: 1
; Occupancy: 16
; WaveLimiterHint : 0
; COMPUTE_PGM_RSRC2:SCRATCH_EN: 0
; COMPUTE_PGM_RSRC2:USER_SGPR: 15
; COMPUTE_PGM_RSRC2:TRAP_HANDLER: 0
; COMPUTE_PGM_RSRC2:TGID_X_EN: 1
; COMPUTE_PGM_RSRC2:TGID_Y_EN: 0
; COMPUTE_PGM_RSRC2:TGID_Z_EN: 0
; COMPUTE_PGM_RSRC2:TIDIG_COMP_CNT: 0
	.section	.text._ZN7rocprim17ROCPRIM_400000_NS6detail17trampoline_kernelINS0_14default_configENS1_35adjacent_difference_config_selectorILb1EsEEZNS1_24adjacent_difference_implIS3_Lb1ELb0EPsN6thrust23THRUST_200600_302600_NS16discard_iteratorINS9_11use_defaultEEENS9_5minusIsEEEE10hipError_tPvRmT2_T3_mT4_P12ihipStream_tbEUlT_E_NS1_11comp_targetILNS1_3genE0ELNS1_11target_archE4294967295ELNS1_3gpuE0ELNS1_3repE0EEENS1_30default_config_static_selectorELNS0_4arch9wavefront6targetE0EEEvT1_,"axG",@progbits,_ZN7rocprim17ROCPRIM_400000_NS6detail17trampoline_kernelINS0_14default_configENS1_35adjacent_difference_config_selectorILb1EsEEZNS1_24adjacent_difference_implIS3_Lb1ELb0EPsN6thrust23THRUST_200600_302600_NS16discard_iteratorINS9_11use_defaultEEENS9_5minusIsEEEE10hipError_tPvRmT2_T3_mT4_P12ihipStream_tbEUlT_E_NS1_11comp_targetILNS1_3genE0ELNS1_11target_archE4294967295ELNS1_3gpuE0ELNS1_3repE0EEENS1_30default_config_static_selectorELNS0_4arch9wavefront6targetE0EEEvT1_,comdat
	.protected	_ZN7rocprim17ROCPRIM_400000_NS6detail17trampoline_kernelINS0_14default_configENS1_35adjacent_difference_config_selectorILb1EsEEZNS1_24adjacent_difference_implIS3_Lb1ELb0EPsN6thrust23THRUST_200600_302600_NS16discard_iteratorINS9_11use_defaultEEENS9_5minusIsEEEE10hipError_tPvRmT2_T3_mT4_P12ihipStream_tbEUlT_E_NS1_11comp_targetILNS1_3genE0ELNS1_11target_archE4294967295ELNS1_3gpuE0ELNS1_3repE0EEENS1_30default_config_static_selectorELNS0_4arch9wavefront6targetE0EEEvT1_ ; -- Begin function _ZN7rocprim17ROCPRIM_400000_NS6detail17trampoline_kernelINS0_14default_configENS1_35adjacent_difference_config_selectorILb1EsEEZNS1_24adjacent_difference_implIS3_Lb1ELb0EPsN6thrust23THRUST_200600_302600_NS16discard_iteratorINS9_11use_defaultEEENS9_5minusIsEEEE10hipError_tPvRmT2_T3_mT4_P12ihipStream_tbEUlT_E_NS1_11comp_targetILNS1_3genE0ELNS1_11target_archE4294967295ELNS1_3gpuE0ELNS1_3repE0EEENS1_30default_config_static_selectorELNS0_4arch9wavefront6targetE0EEEvT1_
	.globl	_ZN7rocprim17ROCPRIM_400000_NS6detail17trampoline_kernelINS0_14default_configENS1_35adjacent_difference_config_selectorILb1EsEEZNS1_24adjacent_difference_implIS3_Lb1ELb0EPsN6thrust23THRUST_200600_302600_NS16discard_iteratorINS9_11use_defaultEEENS9_5minusIsEEEE10hipError_tPvRmT2_T3_mT4_P12ihipStream_tbEUlT_E_NS1_11comp_targetILNS1_3genE0ELNS1_11target_archE4294967295ELNS1_3gpuE0ELNS1_3repE0EEENS1_30default_config_static_selectorELNS0_4arch9wavefront6targetE0EEEvT1_
	.p2align	8
	.type	_ZN7rocprim17ROCPRIM_400000_NS6detail17trampoline_kernelINS0_14default_configENS1_35adjacent_difference_config_selectorILb1EsEEZNS1_24adjacent_difference_implIS3_Lb1ELb0EPsN6thrust23THRUST_200600_302600_NS16discard_iteratorINS9_11use_defaultEEENS9_5minusIsEEEE10hipError_tPvRmT2_T3_mT4_P12ihipStream_tbEUlT_E_NS1_11comp_targetILNS1_3genE0ELNS1_11target_archE4294967295ELNS1_3gpuE0ELNS1_3repE0EEENS1_30default_config_static_selectorELNS0_4arch9wavefront6targetE0EEEvT1_,@function
_ZN7rocprim17ROCPRIM_400000_NS6detail17trampoline_kernelINS0_14default_configENS1_35adjacent_difference_config_selectorILb1EsEEZNS1_24adjacent_difference_implIS3_Lb1ELb0EPsN6thrust23THRUST_200600_302600_NS16discard_iteratorINS9_11use_defaultEEENS9_5minusIsEEEE10hipError_tPvRmT2_T3_mT4_P12ihipStream_tbEUlT_E_NS1_11comp_targetILNS1_3genE0ELNS1_11target_archE4294967295ELNS1_3gpuE0ELNS1_3repE0EEENS1_30default_config_static_selectorELNS0_4arch9wavefront6targetE0EEEvT1_: ; @_ZN7rocprim17ROCPRIM_400000_NS6detail17trampoline_kernelINS0_14default_configENS1_35adjacent_difference_config_selectorILb1EsEEZNS1_24adjacent_difference_implIS3_Lb1ELb0EPsN6thrust23THRUST_200600_302600_NS16discard_iteratorINS9_11use_defaultEEENS9_5minusIsEEEE10hipError_tPvRmT2_T3_mT4_P12ihipStream_tbEUlT_E_NS1_11comp_targetILNS1_3genE0ELNS1_11target_archE4294967295ELNS1_3gpuE0ELNS1_3repE0EEENS1_30default_config_static_selectorELNS0_4arch9wavefront6targetE0EEEvT1_
; %bb.0:
	.section	.rodata,"a",@progbits
	.p2align	6, 0x0
	.amdhsa_kernel _ZN7rocprim17ROCPRIM_400000_NS6detail17trampoline_kernelINS0_14default_configENS1_35adjacent_difference_config_selectorILb1EsEEZNS1_24adjacent_difference_implIS3_Lb1ELb0EPsN6thrust23THRUST_200600_302600_NS16discard_iteratorINS9_11use_defaultEEENS9_5minusIsEEEE10hipError_tPvRmT2_T3_mT4_P12ihipStream_tbEUlT_E_NS1_11comp_targetILNS1_3genE0ELNS1_11target_archE4294967295ELNS1_3gpuE0ELNS1_3repE0EEENS1_30default_config_static_selectorELNS0_4arch9wavefront6targetE0EEEvT1_
		.amdhsa_group_segment_fixed_size 0
		.amdhsa_private_segment_fixed_size 0
		.amdhsa_kernarg_size 64
		.amdhsa_user_sgpr_count 15
		.amdhsa_user_sgpr_dispatch_ptr 0
		.amdhsa_user_sgpr_queue_ptr 0
		.amdhsa_user_sgpr_kernarg_segment_ptr 1
		.amdhsa_user_sgpr_dispatch_id 0
		.amdhsa_user_sgpr_private_segment_size 0
		.amdhsa_wavefront_size32 1
		.amdhsa_uses_dynamic_stack 0
		.amdhsa_enable_private_segment 0
		.amdhsa_system_sgpr_workgroup_id_x 1
		.amdhsa_system_sgpr_workgroup_id_y 0
		.amdhsa_system_sgpr_workgroup_id_z 0
		.amdhsa_system_sgpr_workgroup_info 0
		.amdhsa_system_vgpr_workitem_id 0
		.amdhsa_next_free_vgpr 1
		.amdhsa_next_free_sgpr 1
		.amdhsa_reserve_vcc 0
		.amdhsa_float_round_mode_32 0
		.amdhsa_float_round_mode_16_64 0
		.amdhsa_float_denorm_mode_32 3
		.amdhsa_float_denorm_mode_16_64 3
		.amdhsa_dx10_clamp 1
		.amdhsa_ieee_mode 1
		.amdhsa_fp16_overflow 0
		.amdhsa_workgroup_processor_mode 1
		.amdhsa_memory_ordered 1
		.amdhsa_forward_progress 0
		.amdhsa_shared_vgpr_count 0
		.amdhsa_exception_fp_ieee_invalid_op 0
		.amdhsa_exception_fp_denorm_src 0
		.amdhsa_exception_fp_ieee_div_zero 0
		.amdhsa_exception_fp_ieee_overflow 0
		.amdhsa_exception_fp_ieee_underflow 0
		.amdhsa_exception_fp_ieee_inexact 0
		.amdhsa_exception_int_div_zero 0
	.end_amdhsa_kernel
	.section	.text._ZN7rocprim17ROCPRIM_400000_NS6detail17trampoline_kernelINS0_14default_configENS1_35adjacent_difference_config_selectorILb1EsEEZNS1_24adjacent_difference_implIS3_Lb1ELb0EPsN6thrust23THRUST_200600_302600_NS16discard_iteratorINS9_11use_defaultEEENS9_5minusIsEEEE10hipError_tPvRmT2_T3_mT4_P12ihipStream_tbEUlT_E_NS1_11comp_targetILNS1_3genE0ELNS1_11target_archE4294967295ELNS1_3gpuE0ELNS1_3repE0EEENS1_30default_config_static_selectorELNS0_4arch9wavefront6targetE0EEEvT1_,"axG",@progbits,_ZN7rocprim17ROCPRIM_400000_NS6detail17trampoline_kernelINS0_14default_configENS1_35adjacent_difference_config_selectorILb1EsEEZNS1_24adjacent_difference_implIS3_Lb1ELb0EPsN6thrust23THRUST_200600_302600_NS16discard_iteratorINS9_11use_defaultEEENS9_5minusIsEEEE10hipError_tPvRmT2_T3_mT4_P12ihipStream_tbEUlT_E_NS1_11comp_targetILNS1_3genE0ELNS1_11target_archE4294967295ELNS1_3gpuE0ELNS1_3repE0EEENS1_30default_config_static_selectorELNS0_4arch9wavefront6targetE0EEEvT1_,comdat
.Lfunc_end901:
	.size	_ZN7rocprim17ROCPRIM_400000_NS6detail17trampoline_kernelINS0_14default_configENS1_35adjacent_difference_config_selectorILb1EsEEZNS1_24adjacent_difference_implIS3_Lb1ELb0EPsN6thrust23THRUST_200600_302600_NS16discard_iteratorINS9_11use_defaultEEENS9_5minusIsEEEE10hipError_tPvRmT2_T3_mT4_P12ihipStream_tbEUlT_E_NS1_11comp_targetILNS1_3genE0ELNS1_11target_archE4294967295ELNS1_3gpuE0ELNS1_3repE0EEENS1_30default_config_static_selectorELNS0_4arch9wavefront6targetE0EEEvT1_, .Lfunc_end901-_ZN7rocprim17ROCPRIM_400000_NS6detail17trampoline_kernelINS0_14default_configENS1_35adjacent_difference_config_selectorILb1EsEEZNS1_24adjacent_difference_implIS3_Lb1ELb0EPsN6thrust23THRUST_200600_302600_NS16discard_iteratorINS9_11use_defaultEEENS9_5minusIsEEEE10hipError_tPvRmT2_T3_mT4_P12ihipStream_tbEUlT_E_NS1_11comp_targetILNS1_3genE0ELNS1_11target_archE4294967295ELNS1_3gpuE0ELNS1_3repE0EEENS1_30default_config_static_selectorELNS0_4arch9wavefront6targetE0EEEvT1_
                                        ; -- End function
	.section	.AMDGPU.csdata,"",@progbits
; Kernel info:
; codeLenInByte = 0
; NumSgprs: 0
; NumVgprs: 0
; ScratchSize: 0
; MemoryBound: 0
; FloatMode: 240
; IeeeMode: 1
; LDSByteSize: 0 bytes/workgroup (compile time only)
; SGPRBlocks: 0
; VGPRBlocks: 0
; NumSGPRsForWavesPerEU: 1
; NumVGPRsForWavesPerEU: 1
; Occupancy: 16
; WaveLimiterHint : 0
; COMPUTE_PGM_RSRC2:SCRATCH_EN: 0
; COMPUTE_PGM_RSRC2:USER_SGPR: 15
; COMPUTE_PGM_RSRC2:TRAP_HANDLER: 0
; COMPUTE_PGM_RSRC2:TGID_X_EN: 1
; COMPUTE_PGM_RSRC2:TGID_Y_EN: 0
; COMPUTE_PGM_RSRC2:TGID_Z_EN: 0
; COMPUTE_PGM_RSRC2:TIDIG_COMP_CNT: 0
	.section	.text._ZN7rocprim17ROCPRIM_400000_NS6detail17trampoline_kernelINS0_14default_configENS1_35adjacent_difference_config_selectorILb1EsEEZNS1_24adjacent_difference_implIS3_Lb1ELb0EPsN6thrust23THRUST_200600_302600_NS16discard_iteratorINS9_11use_defaultEEENS9_5minusIsEEEE10hipError_tPvRmT2_T3_mT4_P12ihipStream_tbEUlT_E_NS1_11comp_targetILNS1_3genE10ELNS1_11target_archE1201ELNS1_3gpuE5ELNS1_3repE0EEENS1_30default_config_static_selectorELNS0_4arch9wavefront6targetE0EEEvT1_,"axG",@progbits,_ZN7rocprim17ROCPRIM_400000_NS6detail17trampoline_kernelINS0_14default_configENS1_35adjacent_difference_config_selectorILb1EsEEZNS1_24adjacent_difference_implIS3_Lb1ELb0EPsN6thrust23THRUST_200600_302600_NS16discard_iteratorINS9_11use_defaultEEENS9_5minusIsEEEE10hipError_tPvRmT2_T3_mT4_P12ihipStream_tbEUlT_E_NS1_11comp_targetILNS1_3genE10ELNS1_11target_archE1201ELNS1_3gpuE5ELNS1_3repE0EEENS1_30default_config_static_selectorELNS0_4arch9wavefront6targetE0EEEvT1_,comdat
	.protected	_ZN7rocprim17ROCPRIM_400000_NS6detail17trampoline_kernelINS0_14default_configENS1_35adjacent_difference_config_selectorILb1EsEEZNS1_24adjacent_difference_implIS3_Lb1ELb0EPsN6thrust23THRUST_200600_302600_NS16discard_iteratorINS9_11use_defaultEEENS9_5minusIsEEEE10hipError_tPvRmT2_T3_mT4_P12ihipStream_tbEUlT_E_NS1_11comp_targetILNS1_3genE10ELNS1_11target_archE1201ELNS1_3gpuE5ELNS1_3repE0EEENS1_30default_config_static_selectorELNS0_4arch9wavefront6targetE0EEEvT1_ ; -- Begin function _ZN7rocprim17ROCPRIM_400000_NS6detail17trampoline_kernelINS0_14default_configENS1_35adjacent_difference_config_selectorILb1EsEEZNS1_24adjacent_difference_implIS3_Lb1ELb0EPsN6thrust23THRUST_200600_302600_NS16discard_iteratorINS9_11use_defaultEEENS9_5minusIsEEEE10hipError_tPvRmT2_T3_mT4_P12ihipStream_tbEUlT_E_NS1_11comp_targetILNS1_3genE10ELNS1_11target_archE1201ELNS1_3gpuE5ELNS1_3repE0EEENS1_30default_config_static_selectorELNS0_4arch9wavefront6targetE0EEEvT1_
	.globl	_ZN7rocprim17ROCPRIM_400000_NS6detail17trampoline_kernelINS0_14default_configENS1_35adjacent_difference_config_selectorILb1EsEEZNS1_24adjacent_difference_implIS3_Lb1ELb0EPsN6thrust23THRUST_200600_302600_NS16discard_iteratorINS9_11use_defaultEEENS9_5minusIsEEEE10hipError_tPvRmT2_T3_mT4_P12ihipStream_tbEUlT_E_NS1_11comp_targetILNS1_3genE10ELNS1_11target_archE1201ELNS1_3gpuE5ELNS1_3repE0EEENS1_30default_config_static_selectorELNS0_4arch9wavefront6targetE0EEEvT1_
	.p2align	8
	.type	_ZN7rocprim17ROCPRIM_400000_NS6detail17trampoline_kernelINS0_14default_configENS1_35adjacent_difference_config_selectorILb1EsEEZNS1_24adjacent_difference_implIS3_Lb1ELb0EPsN6thrust23THRUST_200600_302600_NS16discard_iteratorINS9_11use_defaultEEENS9_5minusIsEEEE10hipError_tPvRmT2_T3_mT4_P12ihipStream_tbEUlT_E_NS1_11comp_targetILNS1_3genE10ELNS1_11target_archE1201ELNS1_3gpuE5ELNS1_3repE0EEENS1_30default_config_static_selectorELNS0_4arch9wavefront6targetE0EEEvT1_,@function
_ZN7rocprim17ROCPRIM_400000_NS6detail17trampoline_kernelINS0_14default_configENS1_35adjacent_difference_config_selectorILb1EsEEZNS1_24adjacent_difference_implIS3_Lb1ELb0EPsN6thrust23THRUST_200600_302600_NS16discard_iteratorINS9_11use_defaultEEENS9_5minusIsEEEE10hipError_tPvRmT2_T3_mT4_P12ihipStream_tbEUlT_E_NS1_11comp_targetILNS1_3genE10ELNS1_11target_archE1201ELNS1_3gpuE5ELNS1_3repE0EEENS1_30default_config_static_selectorELNS0_4arch9wavefront6targetE0EEEvT1_: ; @_ZN7rocprim17ROCPRIM_400000_NS6detail17trampoline_kernelINS0_14default_configENS1_35adjacent_difference_config_selectorILb1EsEEZNS1_24adjacent_difference_implIS3_Lb1ELb0EPsN6thrust23THRUST_200600_302600_NS16discard_iteratorINS9_11use_defaultEEENS9_5minusIsEEEE10hipError_tPvRmT2_T3_mT4_P12ihipStream_tbEUlT_E_NS1_11comp_targetILNS1_3genE10ELNS1_11target_archE1201ELNS1_3gpuE5ELNS1_3repE0EEENS1_30default_config_static_selectorELNS0_4arch9wavefront6targetE0EEEvT1_
; %bb.0:
	.section	.rodata,"a",@progbits
	.p2align	6, 0x0
	.amdhsa_kernel _ZN7rocprim17ROCPRIM_400000_NS6detail17trampoline_kernelINS0_14default_configENS1_35adjacent_difference_config_selectorILb1EsEEZNS1_24adjacent_difference_implIS3_Lb1ELb0EPsN6thrust23THRUST_200600_302600_NS16discard_iteratorINS9_11use_defaultEEENS9_5minusIsEEEE10hipError_tPvRmT2_T3_mT4_P12ihipStream_tbEUlT_E_NS1_11comp_targetILNS1_3genE10ELNS1_11target_archE1201ELNS1_3gpuE5ELNS1_3repE0EEENS1_30default_config_static_selectorELNS0_4arch9wavefront6targetE0EEEvT1_
		.amdhsa_group_segment_fixed_size 0
		.amdhsa_private_segment_fixed_size 0
		.amdhsa_kernarg_size 64
		.amdhsa_user_sgpr_count 15
		.amdhsa_user_sgpr_dispatch_ptr 0
		.amdhsa_user_sgpr_queue_ptr 0
		.amdhsa_user_sgpr_kernarg_segment_ptr 1
		.amdhsa_user_sgpr_dispatch_id 0
		.amdhsa_user_sgpr_private_segment_size 0
		.amdhsa_wavefront_size32 1
		.amdhsa_uses_dynamic_stack 0
		.amdhsa_enable_private_segment 0
		.amdhsa_system_sgpr_workgroup_id_x 1
		.amdhsa_system_sgpr_workgroup_id_y 0
		.amdhsa_system_sgpr_workgroup_id_z 0
		.amdhsa_system_sgpr_workgroup_info 0
		.amdhsa_system_vgpr_workitem_id 0
		.amdhsa_next_free_vgpr 1
		.amdhsa_next_free_sgpr 1
		.amdhsa_reserve_vcc 0
		.amdhsa_float_round_mode_32 0
		.amdhsa_float_round_mode_16_64 0
		.amdhsa_float_denorm_mode_32 3
		.amdhsa_float_denorm_mode_16_64 3
		.amdhsa_dx10_clamp 1
		.amdhsa_ieee_mode 1
		.amdhsa_fp16_overflow 0
		.amdhsa_workgroup_processor_mode 1
		.amdhsa_memory_ordered 1
		.amdhsa_forward_progress 0
		.amdhsa_shared_vgpr_count 0
		.amdhsa_exception_fp_ieee_invalid_op 0
		.amdhsa_exception_fp_denorm_src 0
		.amdhsa_exception_fp_ieee_div_zero 0
		.amdhsa_exception_fp_ieee_overflow 0
		.amdhsa_exception_fp_ieee_underflow 0
		.amdhsa_exception_fp_ieee_inexact 0
		.amdhsa_exception_int_div_zero 0
	.end_amdhsa_kernel
	.section	.text._ZN7rocprim17ROCPRIM_400000_NS6detail17trampoline_kernelINS0_14default_configENS1_35adjacent_difference_config_selectorILb1EsEEZNS1_24adjacent_difference_implIS3_Lb1ELb0EPsN6thrust23THRUST_200600_302600_NS16discard_iteratorINS9_11use_defaultEEENS9_5minusIsEEEE10hipError_tPvRmT2_T3_mT4_P12ihipStream_tbEUlT_E_NS1_11comp_targetILNS1_3genE10ELNS1_11target_archE1201ELNS1_3gpuE5ELNS1_3repE0EEENS1_30default_config_static_selectorELNS0_4arch9wavefront6targetE0EEEvT1_,"axG",@progbits,_ZN7rocprim17ROCPRIM_400000_NS6detail17trampoline_kernelINS0_14default_configENS1_35adjacent_difference_config_selectorILb1EsEEZNS1_24adjacent_difference_implIS3_Lb1ELb0EPsN6thrust23THRUST_200600_302600_NS16discard_iteratorINS9_11use_defaultEEENS9_5minusIsEEEE10hipError_tPvRmT2_T3_mT4_P12ihipStream_tbEUlT_E_NS1_11comp_targetILNS1_3genE10ELNS1_11target_archE1201ELNS1_3gpuE5ELNS1_3repE0EEENS1_30default_config_static_selectorELNS0_4arch9wavefront6targetE0EEEvT1_,comdat
.Lfunc_end902:
	.size	_ZN7rocprim17ROCPRIM_400000_NS6detail17trampoline_kernelINS0_14default_configENS1_35adjacent_difference_config_selectorILb1EsEEZNS1_24adjacent_difference_implIS3_Lb1ELb0EPsN6thrust23THRUST_200600_302600_NS16discard_iteratorINS9_11use_defaultEEENS9_5minusIsEEEE10hipError_tPvRmT2_T3_mT4_P12ihipStream_tbEUlT_E_NS1_11comp_targetILNS1_3genE10ELNS1_11target_archE1201ELNS1_3gpuE5ELNS1_3repE0EEENS1_30default_config_static_selectorELNS0_4arch9wavefront6targetE0EEEvT1_, .Lfunc_end902-_ZN7rocprim17ROCPRIM_400000_NS6detail17trampoline_kernelINS0_14default_configENS1_35adjacent_difference_config_selectorILb1EsEEZNS1_24adjacent_difference_implIS3_Lb1ELb0EPsN6thrust23THRUST_200600_302600_NS16discard_iteratorINS9_11use_defaultEEENS9_5minusIsEEEE10hipError_tPvRmT2_T3_mT4_P12ihipStream_tbEUlT_E_NS1_11comp_targetILNS1_3genE10ELNS1_11target_archE1201ELNS1_3gpuE5ELNS1_3repE0EEENS1_30default_config_static_selectorELNS0_4arch9wavefront6targetE0EEEvT1_
                                        ; -- End function
	.section	.AMDGPU.csdata,"",@progbits
; Kernel info:
; codeLenInByte = 0
; NumSgprs: 0
; NumVgprs: 0
; ScratchSize: 0
; MemoryBound: 0
; FloatMode: 240
; IeeeMode: 1
; LDSByteSize: 0 bytes/workgroup (compile time only)
; SGPRBlocks: 0
; VGPRBlocks: 0
; NumSGPRsForWavesPerEU: 1
; NumVGPRsForWavesPerEU: 1
; Occupancy: 16
; WaveLimiterHint : 0
; COMPUTE_PGM_RSRC2:SCRATCH_EN: 0
; COMPUTE_PGM_RSRC2:USER_SGPR: 15
; COMPUTE_PGM_RSRC2:TRAP_HANDLER: 0
; COMPUTE_PGM_RSRC2:TGID_X_EN: 1
; COMPUTE_PGM_RSRC2:TGID_Y_EN: 0
; COMPUTE_PGM_RSRC2:TGID_Z_EN: 0
; COMPUTE_PGM_RSRC2:TIDIG_COMP_CNT: 0
	.section	.text._ZN7rocprim17ROCPRIM_400000_NS6detail17trampoline_kernelINS0_14default_configENS1_35adjacent_difference_config_selectorILb1EsEEZNS1_24adjacent_difference_implIS3_Lb1ELb0EPsN6thrust23THRUST_200600_302600_NS16discard_iteratorINS9_11use_defaultEEENS9_5minusIsEEEE10hipError_tPvRmT2_T3_mT4_P12ihipStream_tbEUlT_E_NS1_11comp_targetILNS1_3genE5ELNS1_11target_archE942ELNS1_3gpuE9ELNS1_3repE0EEENS1_30default_config_static_selectorELNS0_4arch9wavefront6targetE0EEEvT1_,"axG",@progbits,_ZN7rocprim17ROCPRIM_400000_NS6detail17trampoline_kernelINS0_14default_configENS1_35adjacent_difference_config_selectorILb1EsEEZNS1_24adjacent_difference_implIS3_Lb1ELb0EPsN6thrust23THRUST_200600_302600_NS16discard_iteratorINS9_11use_defaultEEENS9_5minusIsEEEE10hipError_tPvRmT2_T3_mT4_P12ihipStream_tbEUlT_E_NS1_11comp_targetILNS1_3genE5ELNS1_11target_archE942ELNS1_3gpuE9ELNS1_3repE0EEENS1_30default_config_static_selectorELNS0_4arch9wavefront6targetE0EEEvT1_,comdat
	.protected	_ZN7rocprim17ROCPRIM_400000_NS6detail17trampoline_kernelINS0_14default_configENS1_35adjacent_difference_config_selectorILb1EsEEZNS1_24adjacent_difference_implIS3_Lb1ELb0EPsN6thrust23THRUST_200600_302600_NS16discard_iteratorINS9_11use_defaultEEENS9_5minusIsEEEE10hipError_tPvRmT2_T3_mT4_P12ihipStream_tbEUlT_E_NS1_11comp_targetILNS1_3genE5ELNS1_11target_archE942ELNS1_3gpuE9ELNS1_3repE0EEENS1_30default_config_static_selectorELNS0_4arch9wavefront6targetE0EEEvT1_ ; -- Begin function _ZN7rocprim17ROCPRIM_400000_NS6detail17trampoline_kernelINS0_14default_configENS1_35adjacent_difference_config_selectorILb1EsEEZNS1_24adjacent_difference_implIS3_Lb1ELb0EPsN6thrust23THRUST_200600_302600_NS16discard_iteratorINS9_11use_defaultEEENS9_5minusIsEEEE10hipError_tPvRmT2_T3_mT4_P12ihipStream_tbEUlT_E_NS1_11comp_targetILNS1_3genE5ELNS1_11target_archE942ELNS1_3gpuE9ELNS1_3repE0EEENS1_30default_config_static_selectorELNS0_4arch9wavefront6targetE0EEEvT1_
	.globl	_ZN7rocprim17ROCPRIM_400000_NS6detail17trampoline_kernelINS0_14default_configENS1_35adjacent_difference_config_selectorILb1EsEEZNS1_24adjacent_difference_implIS3_Lb1ELb0EPsN6thrust23THRUST_200600_302600_NS16discard_iteratorINS9_11use_defaultEEENS9_5minusIsEEEE10hipError_tPvRmT2_T3_mT4_P12ihipStream_tbEUlT_E_NS1_11comp_targetILNS1_3genE5ELNS1_11target_archE942ELNS1_3gpuE9ELNS1_3repE0EEENS1_30default_config_static_selectorELNS0_4arch9wavefront6targetE0EEEvT1_
	.p2align	8
	.type	_ZN7rocprim17ROCPRIM_400000_NS6detail17trampoline_kernelINS0_14default_configENS1_35adjacent_difference_config_selectorILb1EsEEZNS1_24adjacent_difference_implIS3_Lb1ELb0EPsN6thrust23THRUST_200600_302600_NS16discard_iteratorINS9_11use_defaultEEENS9_5minusIsEEEE10hipError_tPvRmT2_T3_mT4_P12ihipStream_tbEUlT_E_NS1_11comp_targetILNS1_3genE5ELNS1_11target_archE942ELNS1_3gpuE9ELNS1_3repE0EEENS1_30default_config_static_selectorELNS0_4arch9wavefront6targetE0EEEvT1_,@function
_ZN7rocprim17ROCPRIM_400000_NS6detail17trampoline_kernelINS0_14default_configENS1_35adjacent_difference_config_selectorILb1EsEEZNS1_24adjacent_difference_implIS3_Lb1ELb0EPsN6thrust23THRUST_200600_302600_NS16discard_iteratorINS9_11use_defaultEEENS9_5minusIsEEEE10hipError_tPvRmT2_T3_mT4_P12ihipStream_tbEUlT_E_NS1_11comp_targetILNS1_3genE5ELNS1_11target_archE942ELNS1_3gpuE9ELNS1_3repE0EEENS1_30default_config_static_selectorELNS0_4arch9wavefront6targetE0EEEvT1_: ; @_ZN7rocprim17ROCPRIM_400000_NS6detail17trampoline_kernelINS0_14default_configENS1_35adjacent_difference_config_selectorILb1EsEEZNS1_24adjacent_difference_implIS3_Lb1ELb0EPsN6thrust23THRUST_200600_302600_NS16discard_iteratorINS9_11use_defaultEEENS9_5minusIsEEEE10hipError_tPvRmT2_T3_mT4_P12ihipStream_tbEUlT_E_NS1_11comp_targetILNS1_3genE5ELNS1_11target_archE942ELNS1_3gpuE9ELNS1_3repE0EEENS1_30default_config_static_selectorELNS0_4arch9wavefront6targetE0EEEvT1_
; %bb.0:
	.section	.rodata,"a",@progbits
	.p2align	6, 0x0
	.amdhsa_kernel _ZN7rocprim17ROCPRIM_400000_NS6detail17trampoline_kernelINS0_14default_configENS1_35adjacent_difference_config_selectorILb1EsEEZNS1_24adjacent_difference_implIS3_Lb1ELb0EPsN6thrust23THRUST_200600_302600_NS16discard_iteratorINS9_11use_defaultEEENS9_5minusIsEEEE10hipError_tPvRmT2_T3_mT4_P12ihipStream_tbEUlT_E_NS1_11comp_targetILNS1_3genE5ELNS1_11target_archE942ELNS1_3gpuE9ELNS1_3repE0EEENS1_30default_config_static_selectorELNS0_4arch9wavefront6targetE0EEEvT1_
		.amdhsa_group_segment_fixed_size 0
		.amdhsa_private_segment_fixed_size 0
		.amdhsa_kernarg_size 64
		.amdhsa_user_sgpr_count 15
		.amdhsa_user_sgpr_dispatch_ptr 0
		.amdhsa_user_sgpr_queue_ptr 0
		.amdhsa_user_sgpr_kernarg_segment_ptr 1
		.amdhsa_user_sgpr_dispatch_id 0
		.amdhsa_user_sgpr_private_segment_size 0
		.amdhsa_wavefront_size32 1
		.amdhsa_uses_dynamic_stack 0
		.amdhsa_enable_private_segment 0
		.amdhsa_system_sgpr_workgroup_id_x 1
		.amdhsa_system_sgpr_workgroup_id_y 0
		.amdhsa_system_sgpr_workgroup_id_z 0
		.amdhsa_system_sgpr_workgroup_info 0
		.amdhsa_system_vgpr_workitem_id 0
		.amdhsa_next_free_vgpr 1
		.amdhsa_next_free_sgpr 1
		.amdhsa_reserve_vcc 0
		.amdhsa_float_round_mode_32 0
		.amdhsa_float_round_mode_16_64 0
		.amdhsa_float_denorm_mode_32 3
		.amdhsa_float_denorm_mode_16_64 3
		.amdhsa_dx10_clamp 1
		.amdhsa_ieee_mode 1
		.amdhsa_fp16_overflow 0
		.amdhsa_workgroup_processor_mode 1
		.amdhsa_memory_ordered 1
		.amdhsa_forward_progress 0
		.amdhsa_shared_vgpr_count 0
		.amdhsa_exception_fp_ieee_invalid_op 0
		.amdhsa_exception_fp_denorm_src 0
		.amdhsa_exception_fp_ieee_div_zero 0
		.amdhsa_exception_fp_ieee_overflow 0
		.amdhsa_exception_fp_ieee_underflow 0
		.amdhsa_exception_fp_ieee_inexact 0
		.amdhsa_exception_int_div_zero 0
	.end_amdhsa_kernel
	.section	.text._ZN7rocprim17ROCPRIM_400000_NS6detail17trampoline_kernelINS0_14default_configENS1_35adjacent_difference_config_selectorILb1EsEEZNS1_24adjacent_difference_implIS3_Lb1ELb0EPsN6thrust23THRUST_200600_302600_NS16discard_iteratorINS9_11use_defaultEEENS9_5minusIsEEEE10hipError_tPvRmT2_T3_mT4_P12ihipStream_tbEUlT_E_NS1_11comp_targetILNS1_3genE5ELNS1_11target_archE942ELNS1_3gpuE9ELNS1_3repE0EEENS1_30default_config_static_selectorELNS0_4arch9wavefront6targetE0EEEvT1_,"axG",@progbits,_ZN7rocprim17ROCPRIM_400000_NS6detail17trampoline_kernelINS0_14default_configENS1_35adjacent_difference_config_selectorILb1EsEEZNS1_24adjacent_difference_implIS3_Lb1ELb0EPsN6thrust23THRUST_200600_302600_NS16discard_iteratorINS9_11use_defaultEEENS9_5minusIsEEEE10hipError_tPvRmT2_T3_mT4_P12ihipStream_tbEUlT_E_NS1_11comp_targetILNS1_3genE5ELNS1_11target_archE942ELNS1_3gpuE9ELNS1_3repE0EEENS1_30default_config_static_selectorELNS0_4arch9wavefront6targetE0EEEvT1_,comdat
.Lfunc_end903:
	.size	_ZN7rocprim17ROCPRIM_400000_NS6detail17trampoline_kernelINS0_14default_configENS1_35adjacent_difference_config_selectorILb1EsEEZNS1_24adjacent_difference_implIS3_Lb1ELb0EPsN6thrust23THRUST_200600_302600_NS16discard_iteratorINS9_11use_defaultEEENS9_5minusIsEEEE10hipError_tPvRmT2_T3_mT4_P12ihipStream_tbEUlT_E_NS1_11comp_targetILNS1_3genE5ELNS1_11target_archE942ELNS1_3gpuE9ELNS1_3repE0EEENS1_30default_config_static_selectorELNS0_4arch9wavefront6targetE0EEEvT1_, .Lfunc_end903-_ZN7rocprim17ROCPRIM_400000_NS6detail17trampoline_kernelINS0_14default_configENS1_35adjacent_difference_config_selectorILb1EsEEZNS1_24adjacent_difference_implIS3_Lb1ELb0EPsN6thrust23THRUST_200600_302600_NS16discard_iteratorINS9_11use_defaultEEENS9_5minusIsEEEE10hipError_tPvRmT2_T3_mT4_P12ihipStream_tbEUlT_E_NS1_11comp_targetILNS1_3genE5ELNS1_11target_archE942ELNS1_3gpuE9ELNS1_3repE0EEENS1_30default_config_static_selectorELNS0_4arch9wavefront6targetE0EEEvT1_
                                        ; -- End function
	.section	.AMDGPU.csdata,"",@progbits
; Kernel info:
; codeLenInByte = 0
; NumSgprs: 0
; NumVgprs: 0
; ScratchSize: 0
; MemoryBound: 0
; FloatMode: 240
; IeeeMode: 1
; LDSByteSize: 0 bytes/workgroup (compile time only)
; SGPRBlocks: 0
; VGPRBlocks: 0
; NumSGPRsForWavesPerEU: 1
; NumVGPRsForWavesPerEU: 1
; Occupancy: 16
; WaveLimiterHint : 0
; COMPUTE_PGM_RSRC2:SCRATCH_EN: 0
; COMPUTE_PGM_RSRC2:USER_SGPR: 15
; COMPUTE_PGM_RSRC2:TRAP_HANDLER: 0
; COMPUTE_PGM_RSRC2:TGID_X_EN: 1
; COMPUTE_PGM_RSRC2:TGID_Y_EN: 0
; COMPUTE_PGM_RSRC2:TGID_Z_EN: 0
; COMPUTE_PGM_RSRC2:TIDIG_COMP_CNT: 0
	.section	.text._ZN7rocprim17ROCPRIM_400000_NS6detail17trampoline_kernelINS0_14default_configENS1_35adjacent_difference_config_selectorILb1EsEEZNS1_24adjacent_difference_implIS3_Lb1ELb0EPsN6thrust23THRUST_200600_302600_NS16discard_iteratorINS9_11use_defaultEEENS9_5minusIsEEEE10hipError_tPvRmT2_T3_mT4_P12ihipStream_tbEUlT_E_NS1_11comp_targetILNS1_3genE4ELNS1_11target_archE910ELNS1_3gpuE8ELNS1_3repE0EEENS1_30default_config_static_selectorELNS0_4arch9wavefront6targetE0EEEvT1_,"axG",@progbits,_ZN7rocprim17ROCPRIM_400000_NS6detail17trampoline_kernelINS0_14default_configENS1_35adjacent_difference_config_selectorILb1EsEEZNS1_24adjacent_difference_implIS3_Lb1ELb0EPsN6thrust23THRUST_200600_302600_NS16discard_iteratorINS9_11use_defaultEEENS9_5minusIsEEEE10hipError_tPvRmT2_T3_mT4_P12ihipStream_tbEUlT_E_NS1_11comp_targetILNS1_3genE4ELNS1_11target_archE910ELNS1_3gpuE8ELNS1_3repE0EEENS1_30default_config_static_selectorELNS0_4arch9wavefront6targetE0EEEvT1_,comdat
	.protected	_ZN7rocprim17ROCPRIM_400000_NS6detail17trampoline_kernelINS0_14default_configENS1_35adjacent_difference_config_selectorILb1EsEEZNS1_24adjacent_difference_implIS3_Lb1ELb0EPsN6thrust23THRUST_200600_302600_NS16discard_iteratorINS9_11use_defaultEEENS9_5minusIsEEEE10hipError_tPvRmT2_T3_mT4_P12ihipStream_tbEUlT_E_NS1_11comp_targetILNS1_3genE4ELNS1_11target_archE910ELNS1_3gpuE8ELNS1_3repE0EEENS1_30default_config_static_selectorELNS0_4arch9wavefront6targetE0EEEvT1_ ; -- Begin function _ZN7rocprim17ROCPRIM_400000_NS6detail17trampoline_kernelINS0_14default_configENS1_35adjacent_difference_config_selectorILb1EsEEZNS1_24adjacent_difference_implIS3_Lb1ELb0EPsN6thrust23THRUST_200600_302600_NS16discard_iteratorINS9_11use_defaultEEENS9_5minusIsEEEE10hipError_tPvRmT2_T3_mT4_P12ihipStream_tbEUlT_E_NS1_11comp_targetILNS1_3genE4ELNS1_11target_archE910ELNS1_3gpuE8ELNS1_3repE0EEENS1_30default_config_static_selectorELNS0_4arch9wavefront6targetE0EEEvT1_
	.globl	_ZN7rocprim17ROCPRIM_400000_NS6detail17trampoline_kernelINS0_14default_configENS1_35adjacent_difference_config_selectorILb1EsEEZNS1_24adjacent_difference_implIS3_Lb1ELb0EPsN6thrust23THRUST_200600_302600_NS16discard_iteratorINS9_11use_defaultEEENS9_5minusIsEEEE10hipError_tPvRmT2_T3_mT4_P12ihipStream_tbEUlT_E_NS1_11comp_targetILNS1_3genE4ELNS1_11target_archE910ELNS1_3gpuE8ELNS1_3repE0EEENS1_30default_config_static_selectorELNS0_4arch9wavefront6targetE0EEEvT1_
	.p2align	8
	.type	_ZN7rocprim17ROCPRIM_400000_NS6detail17trampoline_kernelINS0_14default_configENS1_35adjacent_difference_config_selectorILb1EsEEZNS1_24adjacent_difference_implIS3_Lb1ELb0EPsN6thrust23THRUST_200600_302600_NS16discard_iteratorINS9_11use_defaultEEENS9_5minusIsEEEE10hipError_tPvRmT2_T3_mT4_P12ihipStream_tbEUlT_E_NS1_11comp_targetILNS1_3genE4ELNS1_11target_archE910ELNS1_3gpuE8ELNS1_3repE0EEENS1_30default_config_static_selectorELNS0_4arch9wavefront6targetE0EEEvT1_,@function
_ZN7rocprim17ROCPRIM_400000_NS6detail17trampoline_kernelINS0_14default_configENS1_35adjacent_difference_config_selectorILb1EsEEZNS1_24adjacent_difference_implIS3_Lb1ELb0EPsN6thrust23THRUST_200600_302600_NS16discard_iteratorINS9_11use_defaultEEENS9_5minusIsEEEE10hipError_tPvRmT2_T3_mT4_P12ihipStream_tbEUlT_E_NS1_11comp_targetILNS1_3genE4ELNS1_11target_archE910ELNS1_3gpuE8ELNS1_3repE0EEENS1_30default_config_static_selectorELNS0_4arch9wavefront6targetE0EEEvT1_: ; @_ZN7rocprim17ROCPRIM_400000_NS6detail17trampoline_kernelINS0_14default_configENS1_35adjacent_difference_config_selectorILb1EsEEZNS1_24adjacent_difference_implIS3_Lb1ELb0EPsN6thrust23THRUST_200600_302600_NS16discard_iteratorINS9_11use_defaultEEENS9_5minusIsEEEE10hipError_tPvRmT2_T3_mT4_P12ihipStream_tbEUlT_E_NS1_11comp_targetILNS1_3genE4ELNS1_11target_archE910ELNS1_3gpuE8ELNS1_3repE0EEENS1_30default_config_static_selectorELNS0_4arch9wavefront6targetE0EEEvT1_
; %bb.0:
	.section	.rodata,"a",@progbits
	.p2align	6, 0x0
	.amdhsa_kernel _ZN7rocprim17ROCPRIM_400000_NS6detail17trampoline_kernelINS0_14default_configENS1_35adjacent_difference_config_selectorILb1EsEEZNS1_24adjacent_difference_implIS3_Lb1ELb0EPsN6thrust23THRUST_200600_302600_NS16discard_iteratorINS9_11use_defaultEEENS9_5minusIsEEEE10hipError_tPvRmT2_T3_mT4_P12ihipStream_tbEUlT_E_NS1_11comp_targetILNS1_3genE4ELNS1_11target_archE910ELNS1_3gpuE8ELNS1_3repE0EEENS1_30default_config_static_selectorELNS0_4arch9wavefront6targetE0EEEvT1_
		.amdhsa_group_segment_fixed_size 0
		.amdhsa_private_segment_fixed_size 0
		.amdhsa_kernarg_size 64
		.amdhsa_user_sgpr_count 15
		.amdhsa_user_sgpr_dispatch_ptr 0
		.amdhsa_user_sgpr_queue_ptr 0
		.amdhsa_user_sgpr_kernarg_segment_ptr 1
		.amdhsa_user_sgpr_dispatch_id 0
		.amdhsa_user_sgpr_private_segment_size 0
		.amdhsa_wavefront_size32 1
		.amdhsa_uses_dynamic_stack 0
		.amdhsa_enable_private_segment 0
		.amdhsa_system_sgpr_workgroup_id_x 1
		.amdhsa_system_sgpr_workgroup_id_y 0
		.amdhsa_system_sgpr_workgroup_id_z 0
		.amdhsa_system_sgpr_workgroup_info 0
		.amdhsa_system_vgpr_workitem_id 0
		.amdhsa_next_free_vgpr 1
		.amdhsa_next_free_sgpr 1
		.amdhsa_reserve_vcc 0
		.amdhsa_float_round_mode_32 0
		.amdhsa_float_round_mode_16_64 0
		.amdhsa_float_denorm_mode_32 3
		.amdhsa_float_denorm_mode_16_64 3
		.amdhsa_dx10_clamp 1
		.amdhsa_ieee_mode 1
		.amdhsa_fp16_overflow 0
		.amdhsa_workgroup_processor_mode 1
		.amdhsa_memory_ordered 1
		.amdhsa_forward_progress 0
		.amdhsa_shared_vgpr_count 0
		.amdhsa_exception_fp_ieee_invalid_op 0
		.amdhsa_exception_fp_denorm_src 0
		.amdhsa_exception_fp_ieee_div_zero 0
		.amdhsa_exception_fp_ieee_overflow 0
		.amdhsa_exception_fp_ieee_underflow 0
		.amdhsa_exception_fp_ieee_inexact 0
		.amdhsa_exception_int_div_zero 0
	.end_amdhsa_kernel
	.section	.text._ZN7rocprim17ROCPRIM_400000_NS6detail17trampoline_kernelINS0_14default_configENS1_35adjacent_difference_config_selectorILb1EsEEZNS1_24adjacent_difference_implIS3_Lb1ELb0EPsN6thrust23THRUST_200600_302600_NS16discard_iteratorINS9_11use_defaultEEENS9_5minusIsEEEE10hipError_tPvRmT2_T3_mT4_P12ihipStream_tbEUlT_E_NS1_11comp_targetILNS1_3genE4ELNS1_11target_archE910ELNS1_3gpuE8ELNS1_3repE0EEENS1_30default_config_static_selectorELNS0_4arch9wavefront6targetE0EEEvT1_,"axG",@progbits,_ZN7rocprim17ROCPRIM_400000_NS6detail17trampoline_kernelINS0_14default_configENS1_35adjacent_difference_config_selectorILb1EsEEZNS1_24adjacent_difference_implIS3_Lb1ELb0EPsN6thrust23THRUST_200600_302600_NS16discard_iteratorINS9_11use_defaultEEENS9_5minusIsEEEE10hipError_tPvRmT2_T3_mT4_P12ihipStream_tbEUlT_E_NS1_11comp_targetILNS1_3genE4ELNS1_11target_archE910ELNS1_3gpuE8ELNS1_3repE0EEENS1_30default_config_static_selectorELNS0_4arch9wavefront6targetE0EEEvT1_,comdat
.Lfunc_end904:
	.size	_ZN7rocprim17ROCPRIM_400000_NS6detail17trampoline_kernelINS0_14default_configENS1_35adjacent_difference_config_selectorILb1EsEEZNS1_24adjacent_difference_implIS3_Lb1ELb0EPsN6thrust23THRUST_200600_302600_NS16discard_iteratorINS9_11use_defaultEEENS9_5minusIsEEEE10hipError_tPvRmT2_T3_mT4_P12ihipStream_tbEUlT_E_NS1_11comp_targetILNS1_3genE4ELNS1_11target_archE910ELNS1_3gpuE8ELNS1_3repE0EEENS1_30default_config_static_selectorELNS0_4arch9wavefront6targetE0EEEvT1_, .Lfunc_end904-_ZN7rocprim17ROCPRIM_400000_NS6detail17trampoline_kernelINS0_14default_configENS1_35adjacent_difference_config_selectorILb1EsEEZNS1_24adjacent_difference_implIS3_Lb1ELb0EPsN6thrust23THRUST_200600_302600_NS16discard_iteratorINS9_11use_defaultEEENS9_5minusIsEEEE10hipError_tPvRmT2_T3_mT4_P12ihipStream_tbEUlT_E_NS1_11comp_targetILNS1_3genE4ELNS1_11target_archE910ELNS1_3gpuE8ELNS1_3repE0EEENS1_30default_config_static_selectorELNS0_4arch9wavefront6targetE0EEEvT1_
                                        ; -- End function
	.section	.AMDGPU.csdata,"",@progbits
; Kernel info:
; codeLenInByte = 0
; NumSgprs: 0
; NumVgprs: 0
; ScratchSize: 0
; MemoryBound: 0
; FloatMode: 240
; IeeeMode: 1
; LDSByteSize: 0 bytes/workgroup (compile time only)
; SGPRBlocks: 0
; VGPRBlocks: 0
; NumSGPRsForWavesPerEU: 1
; NumVGPRsForWavesPerEU: 1
; Occupancy: 16
; WaveLimiterHint : 0
; COMPUTE_PGM_RSRC2:SCRATCH_EN: 0
; COMPUTE_PGM_RSRC2:USER_SGPR: 15
; COMPUTE_PGM_RSRC2:TRAP_HANDLER: 0
; COMPUTE_PGM_RSRC2:TGID_X_EN: 1
; COMPUTE_PGM_RSRC2:TGID_Y_EN: 0
; COMPUTE_PGM_RSRC2:TGID_Z_EN: 0
; COMPUTE_PGM_RSRC2:TIDIG_COMP_CNT: 0
	.section	.text._ZN7rocprim17ROCPRIM_400000_NS6detail17trampoline_kernelINS0_14default_configENS1_35adjacent_difference_config_selectorILb1EsEEZNS1_24adjacent_difference_implIS3_Lb1ELb0EPsN6thrust23THRUST_200600_302600_NS16discard_iteratorINS9_11use_defaultEEENS9_5minusIsEEEE10hipError_tPvRmT2_T3_mT4_P12ihipStream_tbEUlT_E_NS1_11comp_targetILNS1_3genE3ELNS1_11target_archE908ELNS1_3gpuE7ELNS1_3repE0EEENS1_30default_config_static_selectorELNS0_4arch9wavefront6targetE0EEEvT1_,"axG",@progbits,_ZN7rocprim17ROCPRIM_400000_NS6detail17trampoline_kernelINS0_14default_configENS1_35adjacent_difference_config_selectorILb1EsEEZNS1_24adjacent_difference_implIS3_Lb1ELb0EPsN6thrust23THRUST_200600_302600_NS16discard_iteratorINS9_11use_defaultEEENS9_5minusIsEEEE10hipError_tPvRmT2_T3_mT4_P12ihipStream_tbEUlT_E_NS1_11comp_targetILNS1_3genE3ELNS1_11target_archE908ELNS1_3gpuE7ELNS1_3repE0EEENS1_30default_config_static_selectorELNS0_4arch9wavefront6targetE0EEEvT1_,comdat
	.protected	_ZN7rocprim17ROCPRIM_400000_NS6detail17trampoline_kernelINS0_14default_configENS1_35adjacent_difference_config_selectorILb1EsEEZNS1_24adjacent_difference_implIS3_Lb1ELb0EPsN6thrust23THRUST_200600_302600_NS16discard_iteratorINS9_11use_defaultEEENS9_5minusIsEEEE10hipError_tPvRmT2_T3_mT4_P12ihipStream_tbEUlT_E_NS1_11comp_targetILNS1_3genE3ELNS1_11target_archE908ELNS1_3gpuE7ELNS1_3repE0EEENS1_30default_config_static_selectorELNS0_4arch9wavefront6targetE0EEEvT1_ ; -- Begin function _ZN7rocprim17ROCPRIM_400000_NS6detail17trampoline_kernelINS0_14default_configENS1_35adjacent_difference_config_selectorILb1EsEEZNS1_24adjacent_difference_implIS3_Lb1ELb0EPsN6thrust23THRUST_200600_302600_NS16discard_iteratorINS9_11use_defaultEEENS9_5minusIsEEEE10hipError_tPvRmT2_T3_mT4_P12ihipStream_tbEUlT_E_NS1_11comp_targetILNS1_3genE3ELNS1_11target_archE908ELNS1_3gpuE7ELNS1_3repE0EEENS1_30default_config_static_selectorELNS0_4arch9wavefront6targetE0EEEvT1_
	.globl	_ZN7rocprim17ROCPRIM_400000_NS6detail17trampoline_kernelINS0_14default_configENS1_35adjacent_difference_config_selectorILb1EsEEZNS1_24adjacent_difference_implIS3_Lb1ELb0EPsN6thrust23THRUST_200600_302600_NS16discard_iteratorINS9_11use_defaultEEENS9_5minusIsEEEE10hipError_tPvRmT2_T3_mT4_P12ihipStream_tbEUlT_E_NS1_11comp_targetILNS1_3genE3ELNS1_11target_archE908ELNS1_3gpuE7ELNS1_3repE0EEENS1_30default_config_static_selectorELNS0_4arch9wavefront6targetE0EEEvT1_
	.p2align	8
	.type	_ZN7rocprim17ROCPRIM_400000_NS6detail17trampoline_kernelINS0_14default_configENS1_35adjacent_difference_config_selectorILb1EsEEZNS1_24adjacent_difference_implIS3_Lb1ELb0EPsN6thrust23THRUST_200600_302600_NS16discard_iteratorINS9_11use_defaultEEENS9_5minusIsEEEE10hipError_tPvRmT2_T3_mT4_P12ihipStream_tbEUlT_E_NS1_11comp_targetILNS1_3genE3ELNS1_11target_archE908ELNS1_3gpuE7ELNS1_3repE0EEENS1_30default_config_static_selectorELNS0_4arch9wavefront6targetE0EEEvT1_,@function
_ZN7rocprim17ROCPRIM_400000_NS6detail17trampoline_kernelINS0_14default_configENS1_35adjacent_difference_config_selectorILb1EsEEZNS1_24adjacent_difference_implIS3_Lb1ELb0EPsN6thrust23THRUST_200600_302600_NS16discard_iteratorINS9_11use_defaultEEENS9_5minusIsEEEE10hipError_tPvRmT2_T3_mT4_P12ihipStream_tbEUlT_E_NS1_11comp_targetILNS1_3genE3ELNS1_11target_archE908ELNS1_3gpuE7ELNS1_3repE0EEENS1_30default_config_static_selectorELNS0_4arch9wavefront6targetE0EEEvT1_: ; @_ZN7rocprim17ROCPRIM_400000_NS6detail17trampoline_kernelINS0_14default_configENS1_35adjacent_difference_config_selectorILb1EsEEZNS1_24adjacent_difference_implIS3_Lb1ELb0EPsN6thrust23THRUST_200600_302600_NS16discard_iteratorINS9_11use_defaultEEENS9_5minusIsEEEE10hipError_tPvRmT2_T3_mT4_P12ihipStream_tbEUlT_E_NS1_11comp_targetILNS1_3genE3ELNS1_11target_archE908ELNS1_3gpuE7ELNS1_3repE0EEENS1_30default_config_static_selectorELNS0_4arch9wavefront6targetE0EEEvT1_
; %bb.0:
	.section	.rodata,"a",@progbits
	.p2align	6, 0x0
	.amdhsa_kernel _ZN7rocprim17ROCPRIM_400000_NS6detail17trampoline_kernelINS0_14default_configENS1_35adjacent_difference_config_selectorILb1EsEEZNS1_24adjacent_difference_implIS3_Lb1ELb0EPsN6thrust23THRUST_200600_302600_NS16discard_iteratorINS9_11use_defaultEEENS9_5minusIsEEEE10hipError_tPvRmT2_T3_mT4_P12ihipStream_tbEUlT_E_NS1_11comp_targetILNS1_3genE3ELNS1_11target_archE908ELNS1_3gpuE7ELNS1_3repE0EEENS1_30default_config_static_selectorELNS0_4arch9wavefront6targetE0EEEvT1_
		.amdhsa_group_segment_fixed_size 0
		.amdhsa_private_segment_fixed_size 0
		.amdhsa_kernarg_size 64
		.amdhsa_user_sgpr_count 15
		.amdhsa_user_sgpr_dispatch_ptr 0
		.amdhsa_user_sgpr_queue_ptr 0
		.amdhsa_user_sgpr_kernarg_segment_ptr 1
		.amdhsa_user_sgpr_dispatch_id 0
		.amdhsa_user_sgpr_private_segment_size 0
		.amdhsa_wavefront_size32 1
		.amdhsa_uses_dynamic_stack 0
		.amdhsa_enable_private_segment 0
		.amdhsa_system_sgpr_workgroup_id_x 1
		.amdhsa_system_sgpr_workgroup_id_y 0
		.amdhsa_system_sgpr_workgroup_id_z 0
		.amdhsa_system_sgpr_workgroup_info 0
		.amdhsa_system_vgpr_workitem_id 0
		.amdhsa_next_free_vgpr 1
		.amdhsa_next_free_sgpr 1
		.amdhsa_reserve_vcc 0
		.amdhsa_float_round_mode_32 0
		.amdhsa_float_round_mode_16_64 0
		.amdhsa_float_denorm_mode_32 3
		.amdhsa_float_denorm_mode_16_64 3
		.amdhsa_dx10_clamp 1
		.amdhsa_ieee_mode 1
		.amdhsa_fp16_overflow 0
		.amdhsa_workgroup_processor_mode 1
		.amdhsa_memory_ordered 1
		.amdhsa_forward_progress 0
		.amdhsa_shared_vgpr_count 0
		.amdhsa_exception_fp_ieee_invalid_op 0
		.amdhsa_exception_fp_denorm_src 0
		.amdhsa_exception_fp_ieee_div_zero 0
		.amdhsa_exception_fp_ieee_overflow 0
		.amdhsa_exception_fp_ieee_underflow 0
		.amdhsa_exception_fp_ieee_inexact 0
		.amdhsa_exception_int_div_zero 0
	.end_amdhsa_kernel
	.section	.text._ZN7rocprim17ROCPRIM_400000_NS6detail17trampoline_kernelINS0_14default_configENS1_35adjacent_difference_config_selectorILb1EsEEZNS1_24adjacent_difference_implIS3_Lb1ELb0EPsN6thrust23THRUST_200600_302600_NS16discard_iteratorINS9_11use_defaultEEENS9_5minusIsEEEE10hipError_tPvRmT2_T3_mT4_P12ihipStream_tbEUlT_E_NS1_11comp_targetILNS1_3genE3ELNS1_11target_archE908ELNS1_3gpuE7ELNS1_3repE0EEENS1_30default_config_static_selectorELNS0_4arch9wavefront6targetE0EEEvT1_,"axG",@progbits,_ZN7rocprim17ROCPRIM_400000_NS6detail17trampoline_kernelINS0_14default_configENS1_35adjacent_difference_config_selectorILb1EsEEZNS1_24adjacent_difference_implIS3_Lb1ELb0EPsN6thrust23THRUST_200600_302600_NS16discard_iteratorINS9_11use_defaultEEENS9_5minusIsEEEE10hipError_tPvRmT2_T3_mT4_P12ihipStream_tbEUlT_E_NS1_11comp_targetILNS1_3genE3ELNS1_11target_archE908ELNS1_3gpuE7ELNS1_3repE0EEENS1_30default_config_static_selectorELNS0_4arch9wavefront6targetE0EEEvT1_,comdat
.Lfunc_end905:
	.size	_ZN7rocprim17ROCPRIM_400000_NS6detail17trampoline_kernelINS0_14default_configENS1_35adjacent_difference_config_selectorILb1EsEEZNS1_24adjacent_difference_implIS3_Lb1ELb0EPsN6thrust23THRUST_200600_302600_NS16discard_iteratorINS9_11use_defaultEEENS9_5minusIsEEEE10hipError_tPvRmT2_T3_mT4_P12ihipStream_tbEUlT_E_NS1_11comp_targetILNS1_3genE3ELNS1_11target_archE908ELNS1_3gpuE7ELNS1_3repE0EEENS1_30default_config_static_selectorELNS0_4arch9wavefront6targetE0EEEvT1_, .Lfunc_end905-_ZN7rocprim17ROCPRIM_400000_NS6detail17trampoline_kernelINS0_14default_configENS1_35adjacent_difference_config_selectorILb1EsEEZNS1_24adjacent_difference_implIS3_Lb1ELb0EPsN6thrust23THRUST_200600_302600_NS16discard_iteratorINS9_11use_defaultEEENS9_5minusIsEEEE10hipError_tPvRmT2_T3_mT4_P12ihipStream_tbEUlT_E_NS1_11comp_targetILNS1_3genE3ELNS1_11target_archE908ELNS1_3gpuE7ELNS1_3repE0EEENS1_30default_config_static_selectorELNS0_4arch9wavefront6targetE0EEEvT1_
                                        ; -- End function
	.section	.AMDGPU.csdata,"",@progbits
; Kernel info:
; codeLenInByte = 0
; NumSgprs: 0
; NumVgprs: 0
; ScratchSize: 0
; MemoryBound: 0
; FloatMode: 240
; IeeeMode: 1
; LDSByteSize: 0 bytes/workgroup (compile time only)
; SGPRBlocks: 0
; VGPRBlocks: 0
; NumSGPRsForWavesPerEU: 1
; NumVGPRsForWavesPerEU: 1
; Occupancy: 16
; WaveLimiterHint : 0
; COMPUTE_PGM_RSRC2:SCRATCH_EN: 0
; COMPUTE_PGM_RSRC2:USER_SGPR: 15
; COMPUTE_PGM_RSRC2:TRAP_HANDLER: 0
; COMPUTE_PGM_RSRC2:TGID_X_EN: 1
; COMPUTE_PGM_RSRC2:TGID_Y_EN: 0
; COMPUTE_PGM_RSRC2:TGID_Z_EN: 0
; COMPUTE_PGM_RSRC2:TIDIG_COMP_CNT: 0
	.section	.text._ZN7rocprim17ROCPRIM_400000_NS6detail17trampoline_kernelINS0_14default_configENS1_35adjacent_difference_config_selectorILb1EsEEZNS1_24adjacent_difference_implIS3_Lb1ELb0EPsN6thrust23THRUST_200600_302600_NS16discard_iteratorINS9_11use_defaultEEENS9_5minusIsEEEE10hipError_tPvRmT2_T3_mT4_P12ihipStream_tbEUlT_E_NS1_11comp_targetILNS1_3genE2ELNS1_11target_archE906ELNS1_3gpuE6ELNS1_3repE0EEENS1_30default_config_static_selectorELNS0_4arch9wavefront6targetE0EEEvT1_,"axG",@progbits,_ZN7rocprim17ROCPRIM_400000_NS6detail17trampoline_kernelINS0_14default_configENS1_35adjacent_difference_config_selectorILb1EsEEZNS1_24adjacent_difference_implIS3_Lb1ELb0EPsN6thrust23THRUST_200600_302600_NS16discard_iteratorINS9_11use_defaultEEENS9_5minusIsEEEE10hipError_tPvRmT2_T3_mT4_P12ihipStream_tbEUlT_E_NS1_11comp_targetILNS1_3genE2ELNS1_11target_archE906ELNS1_3gpuE6ELNS1_3repE0EEENS1_30default_config_static_selectorELNS0_4arch9wavefront6targetE0EEEvT1_,comdat
	.protected	_ZN7rocprim17ROCPRIM_400000_NS6detail17trampoline_kernelINS0_14default_configENS1_35adjacent_difference_config_selectorILb1EsEEZNS1_24adjacent_difference_implIS3_Lb1ELb0EPsN6thrust23THRUST_200600_302600_NS16discard_iteratorINS9_11use_defaultEEENS9_5minusIsEEEE10hipError_tPvRmT2_T3_mT4_P12ihipStream_tbEUlT_E_NS1_11comp_targetILNS1_3genE2ELNS1_11target_archE906ELNS1_3gpuE6ELNS1_3repE0EEENS1_30default_config_static_selectorELNS0_4arch9wavefront6targetE0EEEvT1_ ; -- Begin function _ZN7rocprim17ROCPRIM_400000_NS6detail17trampoline_kernelINS0_14default_configENS1_35adjacent_difference_config_selectorILb1EsEEZNS1_24adjacent_difference_implIS3_Lb1ELb0EPsN6thrust23THRUST_200600_302600_NS16discard_iteratorINS9_11use_defaultEEENS9_5minusIsEEEE10hipError_tPvRmT2_T3_mT4_P12ihipStream_tbEUlT_E_NS1_11comp_targetILNS1_3genE2ELNS1_11target_archE906ELNS1_3gpuE6ELNS1_3repE0EEENS1_30default_config_static_selectorELNS0_4arch9wavefront6targetE0EEEvT1_
	.globl	_ZN7rocprim17ROCPRIM_400000_NS6detail17trampoline_kernelINS0_14default_configENS1_35adjacent_difference_config_selectorILb1EsEEZNS1_24adjacent_difference_implIS3_Lb1ELb0EPsN6thrust23THRUST_200600_302600_NS16discard_iteratorINS9_11use_defaultEEENS9_5minusIsEEEE10hipError_tPvRmT2_T3_mT4_P12ihipStream_tbEUlT_E_NS1_11comp_targetILNS1_3genE2ELNS1_11target_archE906ELNS1_3gpuE6ELNS1_3repE0EEENS1_30default_config_static_selectorELNS0_4arch9wavefront6targetE0EEEvT1_
	.p2align	8
	.type	_ZN7rocprim17ROCPRIM_400000_NS6detail17trampoline_kernelINS0_14default_configENS1_35adjacent_difference_config_selectorILb1EsEEZNS1_24adjacent_difference_implIS3_Lb1ELb0EPsN6thrust23THRUST_200600_302600_NS16discard_iteratorINS9_11use_defaultEEENS9_5minusIsEEEE10hipError_tPvRmT2_T3_mT4_P12ihipStream_tbEUlT_E_NS1_11comp_targetILNS1_3genE2ELNS1_11target_archE906ELNS1_3gpuE6ELNS1_3repE0EEENS1_30default_config_static_selectorELNS0_4arch9wavefront6targetE0EEEvT1_,@function
_ZN7rocprim17ROCPRIM_400000_NS6detail17trampoline_kernelINS0_14default_configENS1_35adjacent_difference_config_selectorILb1EsEEZNS1_24adjacent_difference_implIS3_Lb1ELb0EPsN6thrust23THRUST_200600_302600_NS16discard_iteratorINS9_11use_defaultEEENS9_5minusIsEEEE10hipError_tPvRmT2_T3_mT4_P12ihipStream_tbEUlT_E_NS1_11comp_targetILNS1_3genE2ELNS1_11target_archE906ELNS1_3gpuE6ELNS1_3repE0EEENS1_30default_config_static_selectorELNS0_4arch9wavefront6targetE0EEEvT1_: ; @_ZN7rocprim17ROCPRIM_400000_NS6detail17trampoline_kernelINS0_14default_configENS1_35adjacent_difference_config_selectorILb1EsEEZNS1_24adjacent_difference_implIS3_Lb1ELb0EPsN6thrust23THRUST_200600_302600_NS16discard_iteratorINS9_11use_defaultEEENS9_5minusIsEEEE10hipError_tPvRmT2_T3_mT4_P12ihipStream_tbEUlT_E_NS1_11comp_targetILNS1_3genE2ELNS1_11target_archE906ELNS1_3gpuE6ELNS1_3repE0EEENS1_30default_config_static_selectorELNS0_4arch9wavefront6targetE0EEEvT1_
; %bb.0:
	.section	.rodata,"a",@progbits
	.p2align	6, 0x0
	.amdhsa_kernel _ZN7rocprim17ROCPRIM_400000_NS6detail17trampoline_kernelINS0_14default_configENS1_35adjacent_difference_config_selectorILb1EsEEZNS1_24adjacent_difference_implIS3_Lb1ELb0EPsN6thrust23THRUST_200600_302600_NS16discard_iteratorINS9_11use_defaultEEENS9_5minusIsEEEE10hipError_tPvRmT2_T3_mT4_P12ihipStream_tbEUlT_E_NS1_11comp_targetILNS1_3genE2ELNS1_11target_archE906ELNS1_3gpuE6ELNS1_3repE0EEENS1_30default_config_static_selectorELNS0_4arch9wavefront6targetE0EEEvT1_
		.amdhsa_group_segment_fixed_size 0
		.amdhsa_private_segment_fixed_size 0
		.amdhsa_kernarg_size 64
		.amdhsa_user_sgpr_count 15
		.amdhsa_user_sgpr_dispatch_ptr 0
		.amdhsa_user_sgpr_queue_ptr 0
		.amdhsa_user_sgpr_kernarg_segment_ptr 1
		.amdhsa_user_sgpr_dispatch_id 0
		.amdhsa_user_sgpr_private_segment_size 0
		.amdhsa_wavefront_size32 1
		.amdhsa_uses_dynamic_stack 0
		.amdhsa_enable_private_segment 0
		.amdhsa_system_sgpr_workgroup_id_x 1
		.amdhsa_system_sgpr_workgroup_id_y 0
		.amdhsa_system_sgpr_workgroup_id_z 0
		.amdhsa_system_sgpr_workgroup_info 0
		.amdhsa_system_vgpr_workitem_id 0
		.amdhsa_next_free_vgpr 1
		.amdhsa_next_free_sgpr 1
		.amdhsa_reserve_vcc 0
		.amdhsa_float_round_mode_32 0
		.amdhsa_float_round_mode_16_64 0
		.amdhsa_float_denorm_mode_32 3
		.amdhsa_float_denorm_mode_16_64 3
		.amdhsa_dx10_clamp 1
		.amdhsa_ieee_mode 1
		.amdhsa_fp16_overflow 0
		.amdhsa_workgroup_processor_mode 1
		.amdhsa_memory_ordered 1
		.amdhsa_forward_progress 0
		.amdhsa_shared_vgpr_count 0
		.amdhsa_exception_fp_ieee_invalid_op 0
		.amdhsa_exception_fp_denorm_src 0
		.amdhsa_exception_fp_ieee_div_zero 0
		.amdhsa_exception_fp_ieee_overflow 0
		.amdhsa_exception_fp_ieee_underflow 0
		.amdhsa_exception_fp_ieee_inexact 0
		.amdhsa_exception_int_div_zero 0
	.end_amdhsa_kernel
	.section	.text._ZN7rocprim17ROCPRIM_400000_NS6detail17trampoline_kernelINS0_14default_configENS1_35adjacent_difference_config_selectorILb1EsEEZNS1_24adjacent_difference_implIS3_Lb1ELb0EPsN6thrust23THRUST_200600_302600_NS16discard_iteratorINS9_11use_defaultEEENS9_5minusIsEEEE10hipError_tPvRmT2_T3_mT4_P12ihipStream_tbEUlT_E_NS1_11comp_targetILNS1_3genE2ELNS1_11target_archE906ELNS1_3gpuE6ELNS1_3repE0EEENS1_30default_config_static_selectorELNS0_4arch9wavefront6targetE0EEEvT1_,"axG",@progbits,_ZN7rocprim17ROCPRIM_400000_NS6detail17trampoline_kernelINS0_14default_configENS1_35adjacent_difference_config_selectorILb1EsEEZNS1_24adjacent_difference_implIS3_Lb1ELb0EPsN6thrust23THRUST_200600_302600_NS16discard_iteratorINS9_11use_defaultEEENS9_5minusIsEEEE10hipError_tPvRmT2_T3_mT4_P12ihipStream_tbEUlT_E_NS1_11comp_targetILNS1_3genE2ELNS1_11target_archE906ELNS1_3gpuE6ELNS1_3repE0EEENS1_30default_config_static_selectorELNS0_4arch9wavefront6targetE0EEEvT1_,comdat
.Lfunc_end906:
	.size	_ZN7rocprim17ROCPRIM_400000_NS6detail17trampoline_kernelINS0_14default_configENS1_35adjacent_difference_config_selectorILb1EsEEZNS1_24adjacent_difference_implIS3_Lb1ELb0EPsN6thrust23THRUST_200600_302600_NS16discard_iteratorINS9_11use_defaultEEENS9_5minusIsEEEE10hipError_tPvRmT2_T3_mT4_P12ihipStream_tbEUlT_E_NS1_11comp_targetILNS1_3genE2ELNS1_11target_archE906ELNS1_3gpuE6ELNS1_3repE0EEENS1_30default_config_static_selectorELNS0_4arch9wavefront6targetE0EEEvT1_, .Lfunc_end906-_ZN7rocprim17ROCPRIM_400000_NS6detail17trampoline_kernelINS0_14default_configENS1_35adjacent_difference_config_selectorILb1EsEEZNS1_24adjacent_difference_implIS3_Lb1ELb0EPsN6thrust23THRUST_200600_302600_NS16discard_iteratorINS9_11use_defaultEEENS9_5minusIsEEEE10hipError_tPvRmT2_T3_mT4_P12ihipStream_tbEUlT_E_NS1_11comp_targetILNS1_3genE2ELNS1_11target_archE906ELNS1_3gpuE6ELNS1_3repE0EEENS1_30default_config_static_selectorELNS0_4arch9wavefront6targetE0EEEvT1_
                                        ; -- End function
	.section	.AMDGPU.csdata,"",@progbits
; Kernel info:
; codeLenInByte = 0
; NumSgprs: 0
; NumVgprs: 0
; ScratchSize: 0
; MemoryBound: 0
; FloatMode: 240
; IeeeMode: 1
; LDSByteSize: 0 bytes/workgroup (compile time only)
; SGPRBlocks: 0
; VGPRBlocks: 0
; NumSGPRsForWavesPerEU: 1
; NumVGPRsForWavesPerEU: 1
; Occupancy: 16
; WaveLimiterHint : 0
; COMPUTE_PGM_RSRC2:SCRATCH_EN: 0
; COMPUTE_PGM_RSRC2:USER_SGPR: 15
; COMPUTE_PGM_RSRC2:TRAP_HANDLER: 0
; COMPUTE_PGM_RSRC2:TGID_X_EN: 1
; COMPUTE_PGM_RSRC2:TGID_Y_EN: 0
; COMPUTE_PGM_RSRC2:TGID_Z_EN: 0
; COMPUTE_PGM_RSRC2:TIDIG_COMP_CNT: 0
	.section	.text._ZN7rocprim17ROCPRIM_400000_NS6detail17trampoline_kernelINS0_14default_configENS1_35adjacent_difference_config_selectorILb1EsEEZNS1_24adjacent_difference_implIS3_Lb1ELb0EPsN6thrust23THRUST_200600_302600_NS16discard_iteratorINS9_11use_defaultEEENS9_5minusIsEEEE10hipError_tPvRmT2_T3_mT4_P12ihipStream_tbEUlT_E_NS1_11comp_targetILNS1_3genE9ELNS1_11target_archE1100ELNS1_3gpuE3ELNS1_3repE0EEENS1_30default_config_static_selectorELNS0_4arch9wavefront6targetE0EEEvT1_,"axG",@progbits,_ZN7rocprim17ROCPRIM_400000_NS6detail17trampoline_kernelINS0_14default_configENS1_35adjacent_difference_config_selectorILb1EsEEZNS1_24adjacent_difference_implIS3_Lb1ELb0EPsN6thrust23THRUST_200600_302600_NS16discard_iteratorINS9_11use_defaultEEENS9_5minusIsEEEE10hipError_tPvRmT2_T3_mT4_P12ihipStream_tbEUlT_E_NS1_11comp_targetILNS1_3genE9ELNS1_11target_archE1100ELNS1_3gpuE3ELNS1_3repE0EEENS1_30default_config_static_selectorELNS0_4arch9wavefront6targetE0EEEvT1_,comdat
	.protected	_ZN7rocprim17ROCPRIM_400000_NS6detail17trampoline_kernelINS0_14default_configENS1_35adjacent_difference_config_selectorILb1EsEEZNS1_24adjacent_difference_implIS3_Lb1ELb0EPsN6thrust23THRUST_200600_302600_NS16discard_iteratorINS9_11use_defaultEEENS9_5minusIsEEEE10hipError_tPvRmT2_T3_mT4_P12ihipStream_tbEUlT_E_NS1_11comp_targetILNS1_3genE9ELNS1_11target_archE1100ELNS1_3gpuE3ELNS1_3repE0EEENS1_30default_config_static_selectorELNS0_4arch9wavefront6targetE0EEEvT1_ ; -- Begin function _ZN7rocprim17ROCPRIM_400000_NS6detail17trampoline_kernelINS0_14default_configENS1_35adjacent_difference_config_selectorILb1EsEEZNS1_24adjacent_difference_implIS3_Lb1ELb0EPsN6thrust23THRUST_200600_302600_NS16discard_iteratorINS9_11use_defaultEEENS9_5minusIsEEEE10hipError_tPvRmT2_T3_mT4_P12ihipStream_tbEUlT_E_NS1_11comp_targetILNS1_3genE9ELNS1_11target_archE1100ELNS1_3gpuE3ELNS1_3repE0EEENS1_30default_config_static_selectorELNS0_4arch9wavefront6targetE0EEEvT1_
	.globl	_ZN7rocprim17ROCPRIM_400000_NS6detail17trampoline_kernelINS0_14default_configENS1_35adjacent_difference_config_selectorILb1EsEEZNS1_24adjacent_difference_implIS3_Lb1ELb0EPsN6thrust23THRUST_200600_302600_NS16discard_iteratorINS9_11use_defaultEEENS9_5minusIsEEEE10hipError_tPvRmT2_T3_mT4_P12ihipStream_tbEUlT_E_NS1_11comp_targetILNS1_3genE9ELNS1_11target_archE1100ELNS1_3gpuE3ELNS1_3repE0EEENS1_30default_config_static_selectorELNS0_4arch9wavefront6targetE0EEEvT1_
	.p2align	8
	.type	_ZN7rocprim17ROCPRIM_400000_NS6detail17trampoline_kernelINS0_14default_configENS1_35adjacent_difference_config_selectorILb1EsEEZNS1_24adjacent_difference_implIS3_Lb1ELb0EPsN6thrust23THRUST_200600_302600_NS16discard_iteratorINS9_11use_defaultEEENS9_5minusIsEEEE10hipError_tPvRmT2_T3_mT4_P12ihipStream_tbEUlT_E_NS1_11comp_targetILNS1_3genE9ELNS1_11target_archE1100ELNS1_3gpuE3ELNS1_3repE0EEENS1_30default_config_static_selectorELNS0_4arch9wavefront6targetE0EEEvT1_,@function
_ZN7rocprim17ROCPRIM_400000_NS6detail17trampoline_kernelINS0_14default_configENS1_35adjacent_difference_config_selectorILb1EsEEZNS1_24adjacent_difference_implIS3_Lb1ELb0EPsN6thrust23THRUST_200600_302600_NS16discard_iteratorINS9_11use_defaultEEENS9_5minusIsEEEE10hipError_tPvRmT2_T3_mT4_P12ihipStream_tbEUlT_E_NS1_11comp_targetILNS1_3genE9ELNS1_11target_archE1100ELNS1_3gpuE3ELNS1_3repE0EEENS1_30default_config_static_selectorELNS0_4arch9wavefront6targetE0EEEvT1_: ; @_ZN7rocprim17ROCPRIM_400000_NS6detail17trampoline_kernelINS0_14default_configENS1_35adjacent_difference_config_selectorILb1EsEEZNS1_24adjacent_difference_implIS3_Lb1ELb0EPsN6thrust23THRUST_200600_302600_NS16discard_iteratorINS9_11use_defaultEEENS9_5minusIsEEEE10hipError_tPvRmT2_T3_mT4_P12ihipStream_tbEUlT_E_NS1_11comp_targetILNS1_3genE9ELNS1_11target_archE1100ELNS1_3gpuE3ELNS1_3repE0EEENS1_30default_config_static_selectorELNS0_4arch9wavefront6targetE0EEEvT1_
; %bb.0:
	s_clause 0x1
	s_load_b128 s[4:7], s[0:1], 0x0
	s_load_b64 s[20:21], s[0:1], 0x20
	s_mov_b32 s8, s15
	s_mov_b32 s13, -1
	s_waitcnt lgkmcnt(0)
	s_lshl_b64 s[2:3], s[6:7], 1
	s_delay_alu instid0(SALU_CYCLE_1)
	s_add_u32 s16, s4, s2
	s_addc_u32 s17, s5, s3
	s_add_u32 s2, 0, 0x590b2000
	s_addc_u32 s3, 0, 0
	s_mul_hi_u32 s5, s2, 0xfffff480
	s_add_i32 s3, s3, 0x1642c8
	s_sub_i32 s5, s5, s2
	s_mul_i32 s7, s3, 0xfffff480
	s_mul_i32 s4, s2, 0xfffff480
	s_add_i32 s5, s5, s7
	s_mul_hi_u32 s6, s2, s4
	s_mul_i32 s10, s2, s5
	s_mul_hi_u32 s7, s2, s5
	s_mul_hi_u32 s9, s3, s4
	s_mul_i32 s4, s3, s4
	s_add_u32 s6, s6, s10
	s_addc_u32 s7, 0, s7
	s_mul_hi_u32 s11, s3, s5
	s_add_u32 s4, s6, s4
	s_mul_i32 s5, s3, s5
	s_addc_u32 s4, s7, s9
	s_addc_u32 s6, s11, 0
	s_add_u32 s4, s4, s5
	s_delay_alu instid0(SALU_CYCLE_1) | instskip(SKIP_3) | instid1(VALU_DEP_1)
	v_add_co_u32 v1, s2, s2, s4
	s_addc_u32 s4, 0, s6
	s_cmp_lg_u32 s2, 0
	s_addc_u32 s2, s3, s4
	v_readfirstlane_b32 s3, v1
	s_mul_i32 s5, s20, s2
	s_mul_hi_u32 s4, s20, s2
	s_mul_hi_u32 s6, s21, s2
	s_mul_i32 s2, s21, s2
	s_mul_hi_u32 s7, s20, s3
	s_mul_hi_u32 s9, s21, s3
	s_mul_i32 s3, s21, s3
	s_add_u32 s5, s7, s5
	s_addc_u32 s4, 0, s4
	s_add_u32 s3, s5, s3
	s_addc_u32 s3, s4, s9
	s_addc_u32 s4, s6, 0
	s_add_u32 s5, s3, s2
	s_addc_u32 s4, 0, s4
	s_mul_i32 s3, s5, 0xb80
	s_add_u32 s2, s5, 1
	v_sub_co_u32 v1, s3, s20, s3
	s_mul_hi_u32 s6, s5, 0xb80
	s_addc_u32 s7, s4, 0
	s_mul_i32 s9, s4, 0xb80
	s_delay_alu instid0(VALU_DEP_1)
	v_subrev_co_u32 v2, s10, 0xb80, v1
	s_add_u32 s11, s5, 2
	s_addc_u32 s12, s4, 0
	s_add_i32 s6, s6, s9
	s_cmp_lg_u32 s3, 0
	v_readfirstlane_b32 s3, v2
	s_subb_u32 s6, s21, s6
	s_cmp_lg_u32 s10, 0
	s_subb_u32 s9, s6, 0
	s_delay_alu instid0(VALU_DEP_1) | instskip(SKIP_4) | instid1(SALU_CYCLE_1)
	s_cmpk_gt_u32 s3, 0xb7f
	s_cselect_b32 s3, -1, 0
	s_cmp_eq_u32 s9, 0
	v_readfirstlane_b32 s9, v1
	s_cselect_b32 s3, s3, -1
	s_cmp_lg_u32 s3, 0
	s_cselect_b32 s10, s11, s2
	s_cselect_b32 s7, s12, s7
	s_cmpk_gt_u32 s9, 0xb7f
	s_mul_i32 s12, s15, 0xb80
	s_cselect_b32 s2, -1, 0
	s_cmp_eq_u32 s6, 0
	s_cselect_b32 s2, s2, -1
	s_delay_alu instid0(SALU_CYCLE_1)
	s_cmp_lg_u32 s2, 0
	s_load_b128 s[0:3], s[0:1], 0x30
	s_cselect_b32 s6, s7, s4
	s_cselect_b32 s7, s10, s5
	s_mul_i32 s4, s6, 0xb80
	s_mul_hi_u32 s5, s7, 0xb80
	s_mul_i32 s9, s7, 0xb80
	s_add_i32 s5, s5, s4
	s_sub_u32 s4, s20, s9
	s_subb_u32 s5, s21, s5
	s_mov_b32 s9, 0
	s_cmp_lg_u64 s[4:5], 0
	s_cselect_b32 s4, -1, 0
	s_delay_alu instid0(SALU_CYCLE_1) | instskip(NEXT) | instid1(VALU_DEP_1)
	v_cndmask_b32_e64 v1, 0, 1, s4
	v_readfirstlane_b32 s4, v1
	s_delay_alu instid0(VALU_DEP_1)
	s_add_u32 s4, s7, s4
	s_addc_u32 s5, s6, 0
	s_waitcnt lgkmcnt(0)
	s_add_u32 s6, s2, s15
	s_addc_u32 s7, s3, 0
	s_add_u32 s10, s4, -1
	s_addc_u32 s11, s5, -1
	s_delay_alu instid0(SALU_CYCLE_1) | instskip(NEXT) | instid1(VALU_DEP_1)
	v_cmp_ge_u64_e64 s21, s[6:7], s[10:11]
	s_and_b32 vcc_lo, exec_lo, s21
	s_cbranch_vccz .LBB907_48
; %bb.1:
	s_mov_b32 s13, s9
	s_mul_i32 s18, s10, 0xfffff480
	s_lshl_b64 s[14:15], s[12:13], 1
	s_add_i32 s18, s18, s20
	s_add_u32 s14, s16, s14
	s_addc_u32 s15, s17, s15
	s_mov_b32 s13, exec_lo
                                        ; implicit-def: $vgpr1
	v_cmpx_gt_u32_e64 s18, v0
	s_cbranch_execz .LBB907_3
; %bb.2:
	v_lshlrev_b32_e32 v1, 1, v0
	global_load_u16 v1, v1, s[14:15]
.LBB907_3:
	s_or_b32 exec_lo, exec_lo, s13
	v_or_b32_e32 v2, 0x80, v0
	s_delay_alu instid0(VALU_DEP_1)
	v_cmp_gt_u32_e32 vcc_lo, s18, v2
                                        ; implicit-def: $vgpr2
	s_and_saveexec_b32 s13, vcc_lo
	s_cbranch_execz .LBB907_5
; %bb.4:
	v_lshlrev_b32_e32 v2, 1, v0
	global_load_u16 v2, v2, s[14:15] offset:256
.LBB907_5:
	s_or_b32 exec_lo, exec_lo, s13
	v_or_b32_e32 v3, 0x100, v0
	s_delay_alu instid0(VALU_DEP_1)
	v_cmp_gt_u32_e32 vcc_lo, s18, v3
                                        ; implicit-def: $vgpr3
	s_and_saveexec_b32 s13, vcc_lo
	s_cbranch_execz .LBB907_7
; %bb.6:
	v_lshlrev_b32_e32 v3, 1, v0
	global_load_u16 v3, v3, s[14:15] offset:512
.LBB907_7:
	s_or_b32 exec_lo, exec_lo, s13
	v_or_b32_e32 v4, 0x180, v0
	s_delay_alu instid0(VALU_DEP_1)
	v_cmp_gt_u32_e32 vcc_lo, s18, v4
                                        ; implicit-def: $vgpr4
	s_and_saveexec_b32 s13, vcc_lo
	s_cbranch_execz .LBB907_9
; %bb.8:
	v_lshlrev_b32_e32 v4, 1, v0
	global_load_u16 v4, v4, s[14:15] offset:768
.LBB907_9:
	s_or_b32 exec_lo, exec_lo, s13
	v_or_b32_e32 v5, 0x200, v0
	s_delay_alu instid0(VALU_DEP_1)
	v_cmp_gt_u32_e32 vcc_lo, s18, v5
                                        ; implicit-def: $vgpr5
	s_and_saveexec_b32 s13, vcc_lo
	s_cbranch_execz .LBB907_11
; %bb.10:
	v_lshlrev_b32_e32 v5, 1, v0
	global_load_u16 v5, v5, s[14:15] offset:1024
.LBB907_11:
	s_or_b32 exec_lo, exec_lo, s13
	v_or_b32_e32 v6, 0x280, v0
	s_delay_alu instid0(VALU_DEP_1)
	v_cmp_gt_u32_e32 vcc_lo, s18, v6
                                        ; implicit-def: $vgpr6
	s_and_saveexec_b32 s13, vcc_lo
	s_cbranch_execz .LBB907_13
; %bb.12:
	v_lshlrev_b32_e32 v6, 1, v0
	global_load_u16 v6, v6, s[14:15] offset:1280
.LBB907_13:
	s_or_b32 exec_lo, exec_lo, s13
	v_or_b32_e32 v7, 0x300, v0
	s_delay_alu instid0(VALU_DEP_1)
	v_cmp_gt_u32_e32 vcc_lo, s18, v7
                                        ; implicit-def: $vgpr7
	s_and_saveexec_b32 s13, vcc_lo
	s_cbranch_execz .LBB907_15
; %bb.14:
	v_lshlrev_b32_e32 v7, 1, v0
	global_load_u16 v7, v7, s[14:15] offset:1536
.LBB907_15:
	s_or_b32 exec_lo, exec_lo, s13
	v_or_b32_e32 v8, 0x380, v0
	s_delay_alu instid0(VALU_DEP_1)
	v_cmp_gt_u32_e32 vcc_lo, s18, v8
                                        ; implicit-def: $vgpr8
	s_and_saveexec_b32 s13, vcc_lo
	s_cbranch_execz .LBB907_17
; %bb.16:
	v_lshlrev_b32_e32 v8, 1, v0
	global_load_u16 v8, v8, s[14:15] offset:1792
.LBB907_17:
	s_or_b32 exec_lo, exec_lo, s13
	v_or_b32_e32 v9, 0x400, v0
	s_delay_alu instid0(VALU_DEP_1)
	v_cmp_gt_u32_e32 vcc_lo, s18, v9
                                        ; implicit-def: $vgpr9
	s_and_saveexec_b32 s13, vcc_lo
	s_cbranch_execz .LBB907_19
; %bb.18:
	v_lshlrev_b32_e32 v9, 1, v0
	global_load_u16 v9, v9, s[14:15] offset:2048
.LBB907_19:
	s_or_b32 exec_lo, exec_lo, s13
	v_or_b32_e32 v10, 0x480, v0
	s_delay_alu instid0(VALU_DEP_1)
	v_cmp_gt_u32_e32 vcc_lo, s18, v10
                                        ; implicit-def: $vgpr10
	s_and_saveexec_b32 s13, vcc_lo
	s_cbranch_execz .LBB907_21
; %bb.20:
	v_lshlrev_b32_e32 v10, 1, v0
	global_load_u16 v10, v10, s[14:15] offset:2304
.LBB907_21:
	s_or_b32 exec_lo, exec_lo, s13
	v_or_b32_e32 v11, 0x500, v0
	s_delay_alu instid0(VALU_DEP_1)
	v_cmp_gt_u32_e32 vcc_lo, s18, v11
                                        ; implicit-def: $vgpr11
	s_and_saveexec_b32 s13, vcc_lo
	s_cbranch_execz .LBB907_23
; %bb.22:
	v_lshlrev_b32_e32 v11, 1, v0
	global_load_u16 v11, v11, s[14:15] offset:2560
.LBB907_23:
	s_or_b32 exec_lo, exec_lo, s13
	v_or_b32_e32 v12, 0x580, v0
	s_delay_alu instid0(VALU_DEP_1)
	v_cmp_gt_u32_e32 vcc_lo, s18, v12
                                        ; implicit-def: $vgpr12
	s_and_saveexec_b32 s13, vcc_lo
	s_cbranch_execz .LBB907_25
; %bb.24:
	v_lshlrev_b32_e32 v12, 1, v0
	global_load_u16 v12, v12, s[14:15] offset:2816
.LBB907_25:
	s_or_b32 exec_lo, exec_lo, s13
	v_or_b32_e32 v13, 0x600, v0
	s_delay_alu instid0(VALU_DEP_1)
	v_cmp_gt_u32_e32 vcc_lo, s18, v13
                                        ; implicit-def: $vgpr13
	s_and_saveexec_b32 s13, vcc_lo
	s_cbranch_execz .LBB907_27
; %bb.26:
	v_lshlrev_b32_e32 v13, 1, v0
	global_load_u16 v13, v13, s[14:15] offset:3072
.LBB907_27:
	s_or_b32 exec_lo, exec_lo, s13
	v_or_b32_e32 v14, 0x680, v0
	s_delay_alu instid0(VALU_DEP_1)
	v_cmp_gt_u32_e32 vcc_lo, s18, v14
                                        ; implicit-def: $vgpr14
	s_and_saveexec_b32 s13, vcc_lo
	s_cbranch_execz .LBB907_29
; %bb.28:
	v_lshlrev_b32_e32 v14, 1, v0
	global_load_u16 v14, v14, s[14:15] offset:3328
.LBB907_29:
	s_or_b32 exec_lo, exec_lo, s13
	v_or_b32_e32 v15, 0x700, v0
	s_delay_alu instid0(VALU_DEP_1)
	v_cmp_gt_u32_e32 vcc_lo, s18, v15
                                        ; implicit-def: $vgpr15
	s_and_saveexec_b32 s13, vcc_lo
	s_cbranch_execz .LBB907_31
; %bb.30:
	v_lshlrev_b32_e32 v15, 1, v0
	global_load_u16 v15, v15, s[14:15] offset:3584
.LBB907_31:
	s_or_b32 exec_lo, exec_lo, s13
	v_or_b32_e32 v16, 0x780, v0
	s_delay_alu instid0(VALU_DEP_1)
	v_cmp_gt_u32_e32 vcc_lo, s18, v16
                                        ; implicit-def: $vgpr16
	s_and_saveexec_b32 s13, vcc_lo
	s_cbranch_execz .LBB907_33
; %bb.32:
	v_lshlrev_b32_e32 v16, 1, v0
	global_load_u16 v16, v16, s[14:15] offset:3840
.LBB907_33:
	s_or_b32 exec_lo, exec_lo, s13
	v_or_b32_e32 v18, 0x800, v0
	s_mov_b32 s13, exec_lo
                                        ; implicit-def: $vgpr17
	s_delay_alu instid0(VALU_DEP_1)
	v_cmpx_gt_u32_e64 s18, v18
	s_cbranch_execz .LBB907_35
; %bb.34:
	v_lshlrev_b32_e32 v17, 1, v18
	global_load_u16 v17, v17, s[14:15]
.LBB907_35:
	s_or_b32 exec_lo, exec_lo, s13
	v_or_b32_e32 v19, 0x880, v0
	s_mov_b32 s13, exec_lo
                                        ; implicit-def: $vgpr18
	s_delay_alu instid0(VALU_DEP_1)
	v_cmpx_gt_u32_e64 s18, v19
	s_cbranch_execz .LBB907_37
; %bb.36:
	v_lshlrev_b32_e32 v18, 1, v19
	global_load_u16 v18, v18, s[14:15]
.LBB907_37:
	s_or_b32 exec_lo, exec_lo, s13
	v_or_b32_e32 v20, 0x900, v0
	s_mov_b32 s13, exec_lo
                                        ; implicit-def: $vgpr19
	s_delay_alu instid0(VALU_DEP_1)
	v_cmpx_gt_u32_e64 s18, v20
	s_cbranch_execz .LBB907_39
; %bb.38:
	v_lshlrev_b32_e32 v19, 1, v20
	global_load_u16 v19, v19, s[14:15]
.LBB907_39:
	s_or_b32 exec_lo, exec_lo, s13
	v_or_b32_e32 v21, 0x980, v0
	s_mov_b32 s13, exec_lo
                                        ; implicit-def: $vgpr20
	s_delay_alu instid0(VALU_DEP_1)
	v_cmpx_gt_u32_e64 s18, v21
	s_cbranch_execz .LBB907_41
; %bb.40:
	v_lshlrev_b32_e32 v20, 1, v21
	global_load_u16 v20, v20, s[14:15]
.LBB907_41:
	s_or_b32 exec_lo, exec_lo, s13
	v_or_b32_e32 v22, 0xa00, v0
	s_mov_b32 s13, exec_lo
                                        ; implicit-def: $vgpr21
	s_delay_alu instid0(VALU_DEP_1)
	v_cmpx_gt_u32_e64 s18, v22
	s_cbranch_execz .LBB907_43
; %bb.42:
	v_lshlrev_b32_e32 v21, 1, v22
	global_load_u16 v21, v21, s[14:15]
.LBB907_43:
	s_or_b32 exec_lo, exec_lo, s13
	v_or_b32_e32 v23, 0xa80, v0
	s_mov_b32 s13, exec_lo
                                        ; implicit-def: $vgpr22
	s_delay_alu instid0(VALU_DEP_1)
	v_cmpx_gt_u32_e64 s18, v23
	s_cbranch_execz .LBB907_45
; %bb.44:
	v_lshlrev_b32_e32 v22, 1, v23
	global_load_u16 v22, v22, s[14:15]
.LBB907_45:
	s_or_b32 exec_lo, exec_lo, s13
	v_or_b32_e32 v24, 0xb00, v0
	s_mov_b32 s13, exec_lo
                                        ; implicit-def: $vgpr23
	s_delay_alu instid0(VALU_DEP_1)
	v_cmpx_gt_u32_e64 s18, v24
	s_cbranch_execz .LBB907_47
; %bb.46:
	v_lshlrev_b32_e32 v23, 1, v24
	global_load_u16 v23, v23, s[14:15]
.LBB907_47:
	s_or_b32 exec_lo, exec_lo, s13
	v_lshlrev_b32_e32 v24, 1, v0
	s_mov_b32 s13, 0
	s_waitcnt vmcnt(0)
	ds_store_b16 v24, v1
	ds_store_b16 v24, v2 offset:256
	ds_store_b16 v24, v3 offset:512
	;; [unrolled: 1-line block ×22, first 2 shown]
	s_waitcnt lgkmcnt(0)
	s_barrier
.LBB907_48:
	v_lshlrev_b32_e32 v22, 1, v0
	s_and_b32 vcc_lo, exec_lo, s13
	s_cbranch_vccz .LBB907_50
; %bb.49:
	s_mov_b32 s13, 0
	s_delay_alu instid0(SALU_CYCLE_1) | instskip(NEXT) | instid1(SALU_CYCLE_1)
	s_lshl_b64 s[12:13], s[12:13], 1
	s_add_u32 s12, s16, s12
	s_addc_u32 s13, s17, s13
	v_add_co_u32 v1, s14, s12, v22
	s_delay_alu instid0(VALU_DEP_1)
	v_add_co_ci_u32_e64 v2, null, s13, 0, s14
	s_clause 0x8
	global_load_u16 v3, v22, s[12:13]
	global_load_u16 v4, v22, s[12:13] offset:256
	global_load_u16 v5, v22, s[12:13] offset:512
	;; [unrolled: 1-line block ×8, first 2 shown]
	v_add_co_u32 v1, vcc_lo, 0x1000, v1
	v_add_co_ci_u32_e32 v2, vcc_lo, 0, v2, vcc_lo
	s_clause 0xd
	global_load_u16 v12, v22, s[12:13] offset:2304
	global_load_u16 v13, v22, s[12:13] offset:2560
	;; [unrolled: 1-line block ×7, first 2 shown]
	global_load_u16 v19, v[1:2], off
	global_load_u16 v20, v[1:2], off offset:256
	global_load_u16 v21, v[1:2], off offset:512
	;; [unrolled: 1-line block ×6, first 2 shown]
	s_waitcnt vmcnt(22)
	ds_store_b16 v22, v3
	s_waitcnt vmcnt(21)
	ds_store_b16 v22, v4 offset:256
	s_waitcnt vmcnt(20)
	ds_store_b16 v22, v5 offset:512
	;; [unrolled: 2-line block ×22, first 2 shown]
	s_waitcnt lgkmcnt(0)
	s_barrier
.LBB907_50:
	v_mul_u32_u24_e32 v1, 23, v0
	buffer_gl0_inv
	s_cmp_eq_u64 s[6:7], 0
	v_lshlrev_b32_e32 v12, 1, v1
	ds_load_b96 v[9:11], v12 offset:32
	ds_load_b128 v[5:8], v12
	ds_load_b128 v[1:4], v12 offset:16
	ds_load_u16 v12, v12 offset:44
	s_waitcnt lgkmcnt(0)
	s_barrier
	buffer_gl0_inv
	v_lshrrev_b32_e32 v13, 16, v9
	v_lshrrev_b32_e32 v14, 16, v10
	;; [unrolled: 1-line block ×3, first 2 shown]
	v_alignbit_b32 v16, v7, v6, 16
	v_alignbit_b32 v6, v6, v5, 16
	v_lshrrev_b32_e32 v7, 16, v7
	v_lshrrev_b32_e32 v17, 16, v8
	;; [unrolled: 1-line block ×6, first 2 shown]
	s_cbranch_scc1 .LBB907_55
; %bb.51:
	s_lshl_b64 s[2:3], s[2:3], 1
	v_mov_b32_e32 v23, 0
	s_add_u32 s2, s0, s2
	s_addc_u32 s3, s1, s3
	s_lshl_b64 s[0:1], s[8:9], 1
	s_delay_alu instid0(SALU_CYCLE_1)
	s_add_u32 s0, s2, s0
	s_addc_u32 s1, s3, s1
	s_cmp_eq_u64 s[6:7], s[10:11]
	global_load_u16 v44, v23, s[0:1] offset:-2
	s_cbranch_scc1 .LBB907_56
; %bb.52:
	s_waitcnt vmcnt(0)
	v_mov_b32_e32 v23, v44
	s_mov_b32 s0, 0
	s_mov_b32 s1, exec_lo
	ds_store_b16 v22, v12
	s_waitcnt lgkmcnt(0)
	s_barrier
	buffer_gl0_inv
	v_cmpx_ne_u32_e32 0, v0
	s_cbranch_execz .LBB907_54
; %bb.53:
	v_add_nc_u32_e32 v23, -2, v22
	ds_load_u16 v23, v23
.LBB907_54:
	s_or_b32 exec_lo, exec_lo, s1
	s_waitcnt lgkmcnt(0)
	v_sub_nc_u16 v23, v5, v23
	v_perm_b32 v24, v6, v5, 0x5040100
	v_alignbit_b32 v25, v16, v6, 16
	v_lshrrev_b32_e32 v26, 16, v16
	s_branch .LBB907_57
.LBB907_55:
                                        ; implicit-def: $vgpr25
                                        ; implicit-def: $vgpr24
                                        ; implicit-def: $vgpr23
                                        ; implicit-def: $vgpr26
                                        ; implicit-def: $vgpr43
                                        ; implicit-def: $vgpr42
                                        ; implicit-def: $vgpr41
                                        ; implicit-def: $vgpr40
                                        ; implicit-def: $vgpr39
                                        ; implicit-def: $vgpr38
                                        ; implicit-def: $vgpr37
                                        ; implicit-def: $vgpr36
                                        ; implicit-def: $vgpr35
                                        ; implicit-def: $vgpr34
                                        ; implicit-def: $vgpr33
                                        ; implicit-def: $vgpr32
                                        ; implicit-def: $vgpr31
                                        ; implicit-def: $vgpr30
                                        ; implicit-def: $vgpr29
                                        ; implicit-def: $vgpr28
                                        ; implicit-def: $vgpr27
	s_branch .LBB907_62
.LBB907_56:
	s_mov_b32 s0, -1
                                        ; implicit-def: $vgpr25
                                        ; implicit-def: $vgpr24
                                        ; implicit-def: $vgpr23
                                        ; implicit-def: $vgpr26
.LBB907_57:
	v_dual_mov_b32 v43, v7 :: v_dual_mov_b32 v42, v8
	v_dual_mov_b32 v41, v17 :: v_dual_mov_b32 v38, v2
	v_dual_mov_b32 v40, v1 :: v_dual_mov_b32 v39, v18
	v_dual_mov_b32 v37, v19 :: v_dual_mov_b32 v34, v4
	v_dual_mov_b32 v36, v3 :: v_dual_mov_b32 v35, v20
	v_dual_mov_b32 v33, v21 :: v_dual_mov_b32 v30, v10
	v_dual_mov_b32 v32, v9 :: v_dual_mov_b32 v29, v14
	v_dual_mov_b32 v31, v13 :: v_dual_mov_b32 v28, v11
	v_mov_b32_e32 v27, v15
	s_and_b32 vcc_lo, exec_lo, s0
	s_cbranch_vccz .LBB907_61
; %bb.58:
	v_mul_u32_u24_e32 v23, 23, v0
	s_mov_b32 s0, exec_lo
	ds_store_b16 v22, v12
	s_waitcnt vmcnt(0) lgkmcnt(0)
	s_barrier
	buffer_gl0_inv
	v_cmpx_ne_u32_e32 0, v0
	s_cbranch_execz .LBB907_60
; %bb.59:
	v_add_nc_u32_e32 v24, -2, v22
	ds_load_u16 v44, v24
.LBB907_60:
	s_or_b32 exec_lo, exec_lo, s0
	v_add_nc_u32_e32 v24, 22, v23
	s_mul_i32 s0, s6, 0xfffff480
	v_add_nc_u32_e32 v25, 21, v23
	s_add_i32 s0, s0, s20
	v_add_nc_u32_e32 v26, 19, v23
	v_cmp_gt_u32_e32 vcc_lo, s0, v24
	v_add_nc_u32_e32 v24, 20, v23
	v_lshrrev_b32_e32 v45, 16, v6
	v_add_nc_u32_e32 v46, 1, v23
	v_add_nc_u32_e32 v48, 2, v23
	v_cndmask_b32_e32 v27, 0, v15, vcc_lo
	v_cmp_gt_u32_e32 vcc_lo, s0, v25
	v_add_nc_u32_e32 v25, 18, v23
	v_cndmask_b32_e32 v28, 0, v11, vcc_lo
	v_cmp_gt_u32_e32 vcc_lo, s0, v24
	v_dual_cndmask_b32 v29, 0, v14 :: v_dual_add_nc_u32 v24, 17, v23
	v_cmp_gt_u32_e32 vcc_lo, s0, v26
	v_add_nc_u32_e32 v26, 15, v23
	v_cndmask_b32_e32 v30, 0, v10, vcc_lo
	v_cmp_gt_u32_e32 vcc_lo, s0, v25
	v_add_nc_u32_e32 v25, 16, v23
	v_cndmask_b32_e32 v31, 0, v13, vcc_lo
	;; [unrolled: 3-line block ×5, first 2 shown]
	v_cmp_gt_u32_e32 vcc_lo, s0, v24
	v_dual_cndmask_b32 v35, 0, v20 :: v_dual_add_nc_u32 v24, 12, v23
	v_cmp_gt_u32_e32 vcc_lo, s0, v25
	v_add_nc_u32_e32 v25, 10, v23
	v_cndmask_b32_e32 v36, 0, v3, vcc_lo
	s_delay_alu instid0(VALU_DEP_4)
	v_cmp_gt_u32_e32 vcc_lo, s0, v24
	v_add_nc_u32_e32 v24, 9, v23
	v_cndmask_b32_e32 v37, 0, v19, vcc_lo
	v_cmp_gt_u32_e32 vcc_lo, s0, v26
	v_add_nc_u32_e32 v26, 7, v23
	v_cndmask_b32_e32 v38, 0, v2, vcc_lo
	v_cmp_gt_u32_e32 vcc_lo, s0, v25
	v_add_nc_u32_e32 v25, 8, v23
	v_cndmask_b32_e32 v39, 0, v18, vcc_lo
	v_cmp_gt_u32_e32 vcc_lo, s0, v24
	v_add_nc_u32_e32 v24, 6, v23
	v_cndmask_b32_e32 v40, 0, v1, vcc_lo
	v_cmp_gt_u32_e32 vcc_lo, s0, v25
	v_lshrrev_b32_e32 v25, 16, v16
	v_add_nc_u32_e32 v47, 4, v23
	v_cndmask_b32_e32 v41, 0, v17, vcc_lo
	v_cmp_gt_u32_e32 vcc_lo, s0, v26
	v_add_nc_u32_e32 v26, 3, v23
	v_cndmask_b32_e32 v42, 0, v8, vcc_lo
	v_cmp_gt_u32_e32 vcc_lo, s0, v24
	;; [unrolled: 3-line block ×3, first 2 shown]
	v_cndmask_b32_e32 v45, 0, v45, vcc_lo
	v_cmp_gt_u32_e32 vcc_lo, s0, v46
	v_cndmask_b32_e32 v46, 0, v5, vcc_lo
	v_cmp_gt_u32_e32 vcc_lo, s0, v48
	;; [unrolled: 2-line block ×3, first 2 shown]
	s_waitcnt lgkmcnt(0)
	v_cndmask_b32_e32 v23, 0, v44, vcc_lo
	v_cmp_gt_u32_e32 vcc_lo, s0, v47
	s_delay_alu instid0(VALU_DEP_2) | instskip(SKIP_4) | instid1(VALU_DEP_4)
	v_sub_nc_u16 v23, v5, v23
	v_cndmask_b32_e32 v44, 0, v16, vcc_lo
	v_cmp_gt_u32_e32 vcc_lo, s0, v24
	v_perm_b32 v24, v48, v46, 0x5040100
	v_cndmask_b32_e32 v26, 0, v25, vcc_lo
	v_perm_b32 v25, v44, v45, 0x5040100
.LBB907_61:
	s_cbranch_execnz .LBB907_72
.LBB907_62:
	v_cmp_ne_u32_e32 vcc_lo, 0, v0
	s_cmp_eq_u64 s[4:5], 1
	s_cbranch_scc1 .LBB907_66
; %bb.63:
	s_waitcnt vmcnt(0)
	v_dual_mov_b32 v44, 0 :: v_dual_mov_b32 v23, v5
	s_mov_b32 s0, 0
	ds_store_b16 v22, v12
	s_waitcnt lgkmcnt(0)
	s_barrier
	buffer_gl0_inv
	s_and_saveexec_b32 s1, vcc_lo
	s_cbranch_execz .LBB907_65
; %bb.64:
	v_dual_mov_b32 v44, v0 :: v_dual_add_nc_u32 v23, -2, v22
	ds_load_u16 v23, v23
	s_waitcnt lgkmcnt(0)
	v_sub_nc_u16 v23, v5, v23
.LBB907_65:
	s_or_b32 exec_lo, exec_lo, s1
	v_perm_b32 v24, v6, v5, 0x5040100
	v_alignbit_b32 v25, v16, v6, 16
	v_lshrrev_b32_e32 v26, 16, v16
	s_branch .LBB907_67
.LBB907_66:
	s_mov_b32 s0, -1
                                        ; implicit-def: $vgpr25
                                        ; implicit-def: $vgpr24
                                        ; implicit-def: $vgpr23
                                        ; implicit-def: $vgpr26
                                        ; implicit-def: $vgpr44
.LBB907_67:
	v_dual_mov_b32 v43, v7 :: v_dual_mov_b32 v42, v8
	v_dual_mov_b32 v41, v17 :: v_dual_mov_b32 v38, v2
	v_dual_mov_b32 v40, v1 :: v_dual_mov_b32 v39, v18
	v_dual_mov_b32 v37, v19 :: v_dual_mov_b32 v34, v4
	v_dual_mov_b32 v36, v3 :: v_dual_mov_b32 v35, v20
	v_dual_mov_b32 v33, v21 :: v_dual_mov_b32 v30, v10
	v_dual_mov_b32 v32, v9 :: v_dual_mov_b32 v29, v14
	v_dual_mov_b32 v31, v13 :: v_dual_mov_b32 v28, v11
	v_mov_b32_e32 v27, v15
	s_and_not1_b32 vcc_lo, exec_lo, s0
	s_cbranch_vccnz .LBB907_71
; %bb.68:
	v_mad_u32_u24 v24, v0, 23, 21
	v_mad_u32_u24 v25, v0, 23, 20
	;; [unrolled: 1-line block ×5, first 2 shown]
	v_cmp_gt_u32_e64 s0, s20, v24
	v_mad_u32_u24 v24, v0, 23, 18
	v_cmp_gt_u32_e64 s1, s20, v25
	v_mad_u32_u24 v25, v0, 23, 17
	;; [unrolled: 2-line block ×4, first 2 shown]
	v_cmp_gt_u32_e64 s4, s20, v25
	v_cmp_gt_u32_e64 s6, s20, v28
	v_mad_u32_u24 v25, v0, 23, 12
	v_mad_u32_u24 v28, v0, 23, 10
	v_cmp_gt_u32_e64 s8, s20, v24
	v_mad_u32_u24 v24, v0, 23, 8
	v_cmp_gt_u32_e64 s10, s20, v27
	;; [unrolled: 2-line block ×3, first 2 shown]
	v_cmp_gt_u32_e64 s11, s20, v28
	v_cmp_gt_u32_e64 s13, s20, v24
	v_mad_u32_u24 v24, v0, 23, 4
	v_mad_u32_u24 v25, v0, 23, 7
	;; [unrolled: 1-line block ×3, first 2 shown]
	v_cmp_gt_u32_e64 s15, s20, v27
	v_mad_u32_u24 v27, v0, 23, 3
	v_cmp_gt_u32_e64 s17, s20, v24
	v_cmp_gt_u32_e32 vcc_lo, s20, v23
	v_mad_u32_u24 v23, v0, 23, 19
	v_cmp_gt_u32_e64 s14, s20, v25
	v_cmp_gt_u32_e64 s16, s20, v28
	v_mad_u32_u24 v28, v0, 23, 1
	v_lshrrev_b32_e32 v29, 16, v6
	v_cndmask_b32_e64 v25, 0, v16, s17
	v_cmp_gt_u32_e64 s17, s20, v27
	v_cmp_gt_u32_e64 s2, s20, v23
	v_mad_u32_u24 v23, v0, 23, 14
	v_mad_u32_u24 v30, v0, 23, 2
	v_mul_u32_u24_e32 v26, 23, v0
	s_waitcnt vmcnt(0)
	v_cndmask_b32_e64 v44, 0, v29, s17
	v_cmp_gt_u32_e64 s17, s20, v28
	v_cmp_gt_u32_e64 s7, s20, v23
	v_mad_u32_u24 v23, v0, 23, 9
	v_cmp_gt_u32_e64 s19, s20, v30
	v_cmp_gt_u32_e64 s18, s20, v26
	v_cndmask_b32_e64 v24, 0, v5, s17
	v_cmp_ne_u32_e64 s17, 0, v0
	v_cmp_gt_u32_e64 s12, s20, v23
	v_lshrrev_b32_e32 v23, 16, v16
	v_cndmask_b32_e64 v45, 0, v6, s19
	ds_store_b16 v22, v12
	s_and_b32 s18, s17, s18
	s_waitcnt lgkmcnt(0)
	s_barrier
	buffer_gl0_inv
	s_and_saveexec_b32 s17, s18
	s_cbranch_execz .LBB907_70
; %bb.69:
	v_add_nc_u32_e32 v22, -2, v22
	ds_load_u16 v22, v22
	s_waitcnt lgkmcnt(0)
	v_sub_nc_u16 v5, v5, v22
.LBB907_70:
	s_or_b32 exec_lo, exec_lo, s17
	v_cndmask_b32_e32 v27, 0, v15, vcc_lo
	v_cndmask_b32_e64 v28, 0, v11, s0
	v_cndmask_b32_e64 v29, 0, v14, s1
	;; [unrolled: 1-line block ×17, first 2 shown]
	v_perm_b32 v24, v45, v24, 0x5040100
	v_perm_b32 v25, v25, v44, 0x5040100
	v_dual_mov_b32 v44, v0 :: v_dual_mov_b32 v23, v5
.LBB907_71:
	s_waitcnt vmcnt(0)
	s_delay_alu instid0(VALU_DEP_1)
	v_mov_b32_e32 v0, v44
.LBB907_72:
	s_delay_alu instid0(VALU_DEP_1)
	v_pk_sub_i16 v5, v16, v25
	v_pk_sub_i16 v6, v6, v24
	v_sub_nc_u16 v7, v7, v26
	v_sub_nc_u16 v8, v8, v43
	;; [unrolled: 1-line block ×17, first 2 shown]
	v_mul_u32_u24_e32 v15, 46, v0
	v_perm_b32 v3, v16, v8, 0x5040100
	v_alignbit_b32 v2, v7, v5, 16
	v_alignbit_b32 v1, v5, v6, 16
	v_perm_b32 v0, v6, v23, 0x5040100
	v_perm_b32 v7, v21, v4, 0x5040100
	;; [unrolled: 1-line block ×8, first 2 shown]
	v_sub_nc_u16 v12, v12, v27
	s_and_b32 vcc_lo, exec_lo, s21
	s_mov_b32 s0, -1
	s_waitcnt vmcnt(0)
	s_barrier
	buffer_gl0_inv
	ds_store_b128 v15, v[0:3]
	ds_store_b128 v15, v[4:7] offset:16
	ds_store_b96 v15, v[8:10] offset:32
	ds_store_b16 v15, v12 offset:44
	s_waitcnt lgkmcnt(0)
	s_cbranch_vccnz .LBB907_75
; %bb.73:
	s_and_not1_b32 vcc_lo, exec_lo, s0
	s_cbranch_vccz .LBB907_76
.LBB907_74:
	buffer_gl0_inv
	s_endpgm
.LBB907_75:
	s_barrier
	s_cbranch_execnz .LBB907_74
.LBB907_76:
	s_barrier
	buffer_gl0_inv
	s_endpgm
	.section	.rodata,"a",@progbits
	.p2align	6, 0x0
	.amdhsa_kernel _ZN7rocprim17ROCPRIM_400000_NS6detail17trampoline_kernelINS0_14default_configENS1_35adjacent_difference_config_selectorILb1EsEEZNS1_24adjacent_difference_implIS3_Lb1ELb0EPsN6thrust23THRUST_200600_302600_NS16discard_iteratorINS9_11use_defaultEEENS9_5minusIsEEEE10hipError_tPvRmT2_T3_mT4_P12ihipStream_tbEUlT_E_NS1_11comp_targetILNS1_3genE9ELNS1_11target_archE1100ELNS1_3gpuE3ELNS1_3repE0EEENS1_30default_config_static_selectorELNS0_4arch9wavefront6targetE0EEEvT1_
		.amdhsa_group_segment_fixed_size 5888
		.amdhsa_private_segment_fixed_size 0
		.amdhsa_kernarg_size 64
		.amdhsa_user_sgpr_count 15
		.amdhsa_user_sgpr_dispatch_ptr 0
		.amdhsa_user_sgpr_queue_ptr 0
		.amdhsa_user_sgpr_kernarg_segment_ptr 1
		.amdhsa_user_sgpr_dispatch_id 0
		.amdhsa_user_sgpr_private_segment_size 0
		.amdhsa_wavefront_size32 1
		.amdhsa_uses_dynamic_stack 0
		.amdhsa_enable_private_segment 0
		.amdhsa_system_sgpr_workgroup_id_x 1
		.amdhsa_system_sgpr_workgroup_id_y 0
		.amdhsa_system_sgpr_workgroup_id_z 0
		.amdhsa_system_sgpr_workgroup_info 0
		.amdhsa_system_vgpr_workitem_id 0
		.amdhsa_next_free_vgpr 49
		.amdhsa_next_free_sgpr 22
		.amdhsa_reserve_vcc 1
		.amdhsa_float_round_mode_32 0
		.amdhsa_float_round_mode_16_64 0
		.amdhsa_float_denorm_mode_32 3
		.amdhsa_float_denorm_mode_16_64 3
		.amdhsa_dx10_clamp 1
		.amdhsa_ieee_mode 1
		.amdhsa_fp16_overflow 0
		.amdhsa_workgroup_processor_mode 1
		.amdhsa_memory_ordered 1
		.amdhsa_forward_progress 0
		.amdhsa_shared_vgpr_count 0
		.amdhsa_exception_fp_ieee_invalid_op 0
		.amdhsa_exception_fp_denorm_src 0
		.amdhsa_exception_fp_ieee_div_zero 0
		.amdhsa_exception_fp_ieee_overflow 0
		.amdhsa_exception_fp_ieee_underflow 0
		.amdhsa_exception_fp_ieee_inexact 0
		.amdhsa_exception_int_div_zero 0
	.end_amdhsa_kernel
	.section	.text._ZN7rocprim17ROCPRIM_400000_NS6detail17trampoline_kernelINS0_14default_configENS1_35adjacent_difference_config_selectorILb1EsEEZNS1_24adjacent_difference_implIS3_Lb1ELb0EPsN6thrust23THRUST_200600_302600_NS16discard_iteratorINS9_11use_defaultEEENS9_5minusIsEEEE10hipError_tPvRmT2_T3_mT4_P12ihipStream_tbEUlT_E_NS1_11comp_targetILNS1_3genE9ELNS1_11target_archE1100ELNS1_3gpuE3ELNS1_3repE0EEENS1_30default_config_static_selectorELNS0_4arch9wavefront6targetE0EEEvT1_,"axG",@progbits,_ZN7rocprim17ROCPRIM_400000_NS6detail17trampoline_kernelINS0_14default_configENS1_35adjacent_difference_config_selectorILb1EsEEZNS1_24adjacent_difference_implIS3_Lb1ELb0EPsN6thrust23THRUST_200600_302600_NS16discard_iteratorINS9_11use_defaultEEENS9_5minusIsEEEE10hipError_tPvRmT2_T3_mT4_P12ihipStream_tbEUlT_E_NS1_11comp_targetILNS1_3genE9ELNS1_11target_archE1100ELNS1_3gpuE3ELNS1_3repE0EEENS1_30default_config_static_selectorELNS0_4arch9wavefront6targetE0EEEvT1_,comdat
.Lfunc_end907:
	.size	_ZN7rocprim17ROCPRIM_400000_NS6detail17trampoline_kernelINS0_14default_configENS1_35adjacent_difference_config_selectorILb1EsEEZNS1_24adjacent_difference_implIS3_Lb1ELb0EPsN6thrust23THRUST_200600_302600_NS16discard_iteratorINS9_11use_defaultEEENS9_5minusIsEEEE10hipError_tPvRmT2_T3_mT4_P12ihipStream_tbEUlT_E_NS1_11comp_targetILNS1_3genE9ELNS1_11target_archE1100ELNS1_3gpuE3ELNS1_3repE0EEENS1_30default_config_static_selectorELNS0_4arch9wavefront6targetE0EEEvT1_, .Lfunc_end907-_ZN7rocprim17ROCPRIM_400000_NS6detail17trampoline_kernelINS0_14default_configENS1_35adjacent_difference_config_selectorILb1EsEEZNS1_24adjacent_difference_implIS3_Lb1ELb0EPsN6thrust23THRUST_200600_302600_NS16discard_iteratorINS9_11use_defaultEEENS9_5minusIsEEEE10hipError_tPvRmT2_T3_mT4_P12ihipStream_tbEUlT_E_NS1_11comp_targetILNS1_3genE9ELNS1_11target_archE1100ELNS1_3gpuE3ELNS1_3repE0EEENS1_30default_config_static_selectorELNS0_4arch9wavefront6targetE0EEEvT1_
                                        ; -- End function
	.section	.AMDGPU.csdata,"",@progbits
; Kernel info:
; codeLenInByte = 4256
; NumSgprs: 24
; NumVgprs: 49
; ScratchSize: 0
; MemoryBound: 0
; FloatMode: 240
; IeeeMode: 1
; LDSByteSize: 5888 bytes/workgroup (compile time only)
; SGPRBlocks: 2
; VGPRBlocks: 6
; NumSGPRsForWavesPerEU: 24
; NumVGPRsForWavesPerEU: 49
; Occupancy: 16
; WaveLimiterHint : 1
; COMPUTE_PGM_RSRC2:SCRATCH_EN: 0
; COMPUTE_PGM_RSRC2:USER_SGPR: 15
; COMPUTE_PGM_RSRC2:TRAP_HANDLER: 0
; COMPUTE_PGM_RSRC2:TGID_X_EN: 1
; COMPUTE_PGM_RSRC2:TGID_Y_EN: 0
; COMPUTE_PGM_RSRC2:TGID_Z_EN: 0
; COMPUTE_PGM_RSRC2:TIDIG_COMP_CNT: 0
	.section	.text._ZN7rocprim17ROCPRIM_400000_NS6detail17trampoline_kernelINS0_14default_configENS1_35adjacent_difference_config_selectorILb1EsEEZNS1_24adjacent_difference_implIS3_Lb1ELb0EPsN6thrust23THRUST_200600_302600_NS16discard_iteratorINS9_11use_defaultEEENS9_5minusIsEEEE10hipError_tPvRmT2_T3_mT4_P12ihipStream_tbEUlT_E_NS1_11comp_targetILNS1_3genE8ELNS1_11target_archE1030ELNS1_3gpuE2ELNS1_3repE0EEENS1_30default_config_static_selectorELNS0_4arch9wavefront6targetE0EEEvT1_,"axG",@progbits,_ZN7rocprim17ROCPRIM_400000_NS6detail17trampoline_kernelINS0_14default_configENS1_35adjacent_difference_config_selectorILb1EsEEZNS1_24adjacent_difference_implIS3_Lb1ELb0EPsN6thrust23THRUST_200600_302600_NS16discard_iteratorINS9_11use_defaultEEENS9_5minusIsEEEE10hipError_tPvRmT2_T3_mT4_P12ihipStream_tbEUlT_E_NS1_11comp_targetILNS1_3genE8ELNS1_11target_archE1030ELNS1_3gpuE2ELNS1_3repE0EEENS1_30default_config_static_selectorELNS0_4arch9wavefront6targetE0EEEvT1_,comdat
	.protected	_ZN7rocprim17ROCPRIM_400000_NS6detail17trampoline_kernelINS0_14default_configENS1_35adjacent_difference_config_selectorILb1EsEEZNS1_24adjacent_difference_implIS3_Lb1ELb0EPsN6thrust23THRUST_200600_302600_NS16discard_iteratorINS9_11use_defaultEEENS9_5minusIsEEEE10hipError_tPvRmT2_T3_mT4_P12ihipStream_tbEUlT_E_NS1_11comp_targetILNS1_3genE8ELNS1_11target_archE1030ELNS1_3gpuE2ELNS1_3repE0EEENS1_30default_config_static_selectorELNS0_4arch9wavefront6targetE0EEEvT1_ ; -- Begin function _ZN7rocprim17ROCPRIM_400000_NS6detail17trampoline_kernelINS0_14default_configENS1_35adjacent_difference_config_selectorILb1EsEEZNS1_24adjacent_difference_implIS3_Lb1ELb0EPsN6thrust23THRUST_200600_302600_NS16discard_iteratorINS9_11use_defaultEEENS9_5minusIsEEEE10hipError_tPvRmT2_T3_mT4_P12ihipStream_tbEUlT_E_NS1_11comp_targetILNS1_3genE8ELNS1_11target_archE1030ELNS1_3gpuE2ELNS1_3repE0EEENS1_30default_config_static_selectorELNS0_4arch9wavefront6targetE0EEEvT1_
	.globl	_ZN7rocprim17ROCPRIM_400000_NS6detail17trampoline_kernelINS0_14default_configENS1_35adjacent_difference_config_selectorILb1EsEEZNS1_24adjacent_difference_implIS3_Lb1ELb0EPsN6thrust23THRUST_200600_302600_NS16discard_iteratorINS9_11use_defaultEEENS9_5minusIsEEEE10hipError_tPvRmT2_T3_mT4_P12ihipStream_tbEUlT_E_NS1_11comp_targetILNS1_3genE8ELNS1_11target_archE1030ELNS1_3gpuE2ELNS1_3repE0EEENS1_30default_config_static_selectorELNS0_4arch9wavefront6targetE0EEEvT1_
	.p2align	8
	.type	_ZN7rocprim17ROCPRIM_400000_NS6detail17trampoline_kernelINS0_14default_configENS1_35adjacent_difference_config_selectorILb1EsEEZNS1_24adjacent_difference_implIS3_Lb1ELb0EPsN6thrust23THRUST_200600_302600_NS16discard_iteratorINS9_11use_defaultEEENS9_5minusIsEEEE10hipError_tPvRmT2_T3_mT4_P12ihipStream_tbEUlT_E_NS1_11comp_targetILNS1_3genE8ELNS1_11target_archE1030ELNS1_3gpuE2ELNS1_3repE0EEENS1_30default_config_static_selectorELNS0_4arch9wavefront6targetE0EEEvT1_,@function
_ZN7rocprim17ROCPRIM_400000_NS6detail17trampoline_kernelINS0_14default_configENS1_35adjacent_difference_config_selectorILb1EsEEZNS1_24adjacent_difference_implIS3_Lb1ELb0EPsN6thrust23THRUST_200600_302600_NS16discard_iteratorINS9_11use_defaultEEENS9_5minusIsEEEE10hipError_tPvRmT2_T3_mT4_P12ihipStream_tbEUlT_E_NS1_11comp_targetILNS1_3genE8ELNS1_11target_archE1030ELNS1_3gpuE2ELNS1_3repE0EEENS1_30default_config_static_selectorELNS0_4arch9wavefront6targetE0EEEvT1_: ; @_ZN7rocprim17ROCPRIM_400000_NS6detail17trampoline_kernelINS0_14default_configENS1_35adjacent_difference_config_selectorILb1EsEEZNS1_24adjacent_difference_implIS3_Lb1ELb0EPsN6thrust23THRUST_200600_302600_NS16discard_iteratorINS9_11use_defaultEEENS9_5minusIsEEEE10hipError_tPvRmT2_T3_mT4_P12ihipStream_tbEUlT_E_NS1_11comp_targetILNS1_3genE8ELNS1_11target_archE1030ELNS1_3gpuE2ELNS1_3repE0EEENS1_30default_config_static_selectorELNS0_4arch9wavefront6targetE0EEEvT1_
; %bb.0:
	.section	.rodata,"a",@progbits
	.p2align	6, 0x0
	.amdhsa_kernel _ZN7rocprim17ROCPRIM_400000_NS6detail17trampoline_kernelINS0_14default_configENS1_35adjacent_difference_config_selectorILb1EsEEZNS1_24adjacent_difference_implIS3_Lb1ELb0EPsN6thrust23THRUST_200600_302600_NS16discard_iteratorINS9_11use_defaultEEENS9_5minusIsEEEE10hipError_tPvRmT2_T3_mT4_P12ihipStream_tbEUlT_E_NS1_11comp_targetILNS1_3genE8ELNS1_11target_archE1030ELNS1_3gpuE2ELNS1_3repE0EEENS1_30default_config_static_selectorELNS0_4arch9wavefront6targetE0EEEvT1_
		.amdhsa_group_segment_fixed_size 0
		.amdhsa_private_segment_fixed_size 0
		.amdhsa_kernarg_size 64
		.amdhsa_user_sgpr_count 15
		.amdhsa_user_sgpr_dispatch_ptr 0
		.amdhsa_user_sgpr_queue_ptr 0
		.amdhsa_user_sgpr_kernarg_segment_ptr 1
		.amdhsa_user_sgpr_dispatch_id 0
		.amdhsa_user_sgpr_private_segment_size 0
		.amdhsa_wavefront_size32 1
		.amdhsa_uses_dynamic_stack 0
		.amdhsa_enable_private_segment 0
		.amdhsa_system_sgpr_workgroup_id_x 1
		.amdhsa_system_sgpr_workgroup_id_y 0
		.amdhsa_system_sgpr_workgroup_id_z 0
		.amdhsa_system_sgpr_workgroup_info 0
		.amdhsa_system_vgpr_workitem_id 0
		.amdhsa_next_free_vgpr 1
		.amdhsa_next_free_sgpr 1
		.amdhsa_reserve_vcc 0
		.amdhsa_float_round_mode_32 0
		.amdhsa_float_round_mode_16_64 0
		.amdhsa_float_denorm_mode_32 3
		.amdhsa_float_denorm_mode_16_64 3
		.amdhsa_dx10_clamp 1
		.amdhsa_ieee_mode 1
		.amdhsa_fp16_overflow 0
		.amdhsa_workgroup_processor_mode 1
		.amdhsa_memory_ordered 1
		.amdhsa_forward_progress 0
		.amdhsa_shared_vgpr_count 0
		.amdhsa_exception_fp_ieee_invalid_op 0
		.amdhsa_exception_fp_denorm_src 0
		.amdhsa_exception_fp_ieee_div_zero 0
		.amdhsa_exception_fp_ieee_overflow 0
		.amdhsa_exception_fp_ieee_underflow 0
		.amdhsa_exception_fp_ieee_inexact 0
		.amdhsa_exception_int_div_zero 0
	.end_amdhsa_kernel
	.section	.text._ZN7rocprim17ROCPRIM_400000_NS6detail17trampoline_kernelINS0_14default_configENS1_35adjacent_difference_config_selectorILb1EsEEZNS1_24adjacent_difference_implIS3_Lb1ELb0EPsN6thrust23THRUST_200600_302600_NS16discard_iteratorINS9_11use_defaultEEENS9_5minusIsEEEE10hipError_tPvRmT2_T3_mT4_P12ihipStream_tbEUlT_E_NS1_11comp_targetILNS1_3genE8ELNS1_11target_archE1030ELNS1_3gpuE2ELNS1_3repE0EEENS1_30default_config_static_selectorELNS0_4arch9wavefront6targetE0EEEvT1_,"axG",@progbits,_ZN7rocprim17ROCPRIM_400000_NS6detail17trampoline_kernelINS0_14default_configENS1_35adjacent_difference_config_selectorILb1EsEEZNS1_24adjacent_difference_implIS3_Lb1ELb0EPsN6thrust23THRUST_200600_302600_NS16discard_iteratorINS9_11use_defaultEEENS9_5minusIsEEEE10hipError_tPvRmT2_T3_mT4_P12ihipStream_tbEUlT_E_NS1_11comp_targetILNS1_3genE8ELNS1_11target_archE1030ELNS1_3gpuE2ELNS1_3repE0EEENS1_30default_config_static_selectorELNS0_4arch9wavefront6targetE0EEEvT1_,comdat
.Lfunc_end908:
	.size	_ZN7rocprim17ROCPRIM_400000_NS6detail17trampoline_kernelINS0_14default_configENS1_35adjacent_difference_config_selectorILb1EsEEZNS1_24adjacent_difference_implIS3_Lb1ELb0EPsN6thrust23THRUST_200600_302600_NS16discard_iteratorINS9_11use_defaultEEENS9_5minusIsEEEE10hipError_tPvRmT2_T3_mT4_P12ihipStream_tbEUlT_E_NS1_11comp_targetILNS1_3genE8ELNS1_11target_archE1030ELNS1_3gpuE2ELNS1_3repE0EEENS1_30default_config_static_selectorELNS0_4arch9wavefront6targetE0EEEvT1_, .Lfunc_end908-_ZN7rocprim17ROCPRIM_400000_NS6detail17trampoline_kernelINS0_14default_configENS1_35adjacent_difference_config_selectorILb1EsEEZNS1_24adjacent_difference_implIS3_Lb1ELb0EPsN6thrust23THRUST_200600_302600_NS16discard_iteratorINS9_11use_defaultEEENS9_5minusIsEEEE10hipError_tPvRmT2_T3_mT4_P12ihipStream_tbEUlT_E_NS1_11comp_targetILNS1_3genE8ELNS1_11target_archE1030ELNS1_3gpuE2ELNS1_3repE0EEENS1_30default_config_static_selectorELNS0_4arch9wavefront6targetE0EEEvT1_
                                        ; -- End function
	.section	.AMDGPU.csdata,"",@progbits
; Kernel info:
; codeLenInByte = 0
; NumSgprs: 0
; NumVgprs: 0
; ScratchSize: 0
; MemoryBound: 0
; FloatMode: 240
; IeeeMode: 1
; LDSByteSize: 0 bytes/workgroup (compile time only)
; SGPRBlocks: 0
; VGPRBlocks: 0
; NumSGPRsForWavesPerEU: 1
; NumVGPRsForWavesPerEU: 1
; Occupancy: 16
; WaveLimiterHint : 0
; COMPUTE_PGM_RSRC2:SCRATCH_EN: 0
; COMPUTE_PGM_RSRC2:USER_SGPR: 15
; COMPUTE_PGM_RSRC2:TRAP_HANDLER: 0
; COMPUTE_PGM_RSRC2:TGID_X_EN: 1
; COMPUTE_PGM_RSRC2:TGID_Y_EN: 0
; COMPUTE_PGM_RSRC2:TGID_Z_EN: 0
; COMPUTE_PGM_RSRC2:TIDIG_COMP_CNT: 0
	.section	.text._ZN6thrust23THRUST_200600_302600_NS11hip_rocprim14__parallel_for6kernelILj256ENS1_20__uninitialized_fill7functorINS0_10device_ptrIiEEiEEmLj1EEEvT0_T1_SA_,"axG",@progbits,_ZN6thrust23THRUST_200600_302600_NS11hip_rocprim14__parallel_for6kernelILj256ENS1_20__uninitialized_fill7functorINS0_10device_ptrIiEEiEEmLj1EEEvT0_T1_SA_,comdat
	.protected	_ZN6thrust23THRUST_200600_302600_NS11hip_rocprim14__parallel_for6kernelILj256ENS1_20__uninitialized_fill7functorINS0_10device_ptrIiEEiEEmLj1EEEvT0_T1_SA_ ; -- Begin function _ZN6thrust23THRUST_200600_302600_NS11hip_rocprim14__parallel_for6kernelILj256ENS1_20__uninitialized_fill7functorINS0_10device_ptrIiEEiEEmLj1EEEvT0_T1_SA_
	.globl	_ZN6thrust23THRUST_200600_302600_NS11hip_rocprim14__parallel_for6kernelILj256ENS1_20__uninitialized_fill7functorINS0_10device_ptrIiEEiEEmLj1EEEvT0_T1_SA_
	.p2align	8
	.type	_ZN6thrust23THRUST_200600_302600_NS11hip_rocprim14__parallel_for6kernelILj256ENS1_20__uninitialized_fill7functorINS0_10device_ptrIiEEiEEmLj1EEEvT0_T1_SA_,@function
_ZN6thrust23THRUST_200600_302600_NS11hip_rocprim14__parallel_for6kernelILj256ENS1_20__uninitialized_fill7functorINS0_10device_ptrIiEEiEEmLj1EEEvT0_T1_SA_: ; @_ZN6thrust23THRUST_200600_302600_NS11hip_rocprim14__parallel_for6kernelILj256ENS1_20__uninitialized_fill7functorINS0_10device_ptrIiEEiEEmLj1EEEvT0_T1_SA_
; %bb.0:
	s_load_b128 s[4:7], s[0:1], 0x10
	s_lshl_b32 s2, s15, 8
	s_waitcnt lgkmcnt(0)
	s_add_u32 s2, s2, s6
	s_addc_u32 s3, 0, s7
	s_sub_u32 s4, s4, s2
	s_subb_u32 s5, s5, s3
	s_delay_alu instid0(SALU_CYCLE_1) | instskip(NEXT) | instid1(VALU_DEP_1)
	v_cmp_gt_u64_e64 s5, 0x100, s[4:5]
	s_and_b32 vcc_lo, exec_lo, s5
	s_mov_b32 s5, 0
	s_cbranch_vccz .LBB909_2
; %bb.1:
	v_cmp_gt_u32_e32 vcc_lo, s4, v0
	s_and_b32 s5, vcc_lo, exec_lo
	s_cbranch_execz .LBB909_3
	s_branch .LBB909_4
.LBB909_2:
.LBB909_3:
	s_or_b32 s5, s5, exec_lo
.LBB909_4:
	s_delay_alu instid0(SALU_CYCLE_1)
	s_and_saveexec_b32 s4, s5
	s_cbranch_execnz .LBB909_6
; %bb.5:
	s_endpgm
.LBB909_6:
	s_clause 0x1
	s_load_b64 s[4:5], s[0:1], 0x0
	s_load_b32 s6, s[0:1], 0x8
	v_mov_b32_e32 v1, 0
	s_lshl_b64 s[0:1], s[2:3], 2
	s_waitcnt lgkmcnt(0)
	s_add_u32 s0, s4, s0
	v_mov_b32_e32 v2, s6
	v_lshlrev_b64 v[0:1], 2, v[0:1]
	s_addc_u32 s1, s5, s1
	s_delay_alu instid0(VALU_DEP_1) | instskip(NEXT) | instid1(VALU_DEP_2)
	v_add_co_u32 v0, vcc_lo, s0, v0
	v_add_co_ci_u32_e32 v1, vcc_lo, s1, v1, vcc_lo
	flat_store_b32 v[0:1], v2
	s_endpgm
	.section	.rodata,"a",@progbits
	.p2align	6, 0x0
	.amdhsa_kernel _ZN6thrust23THRUST_200600_302600_NS11hip_rocprim14__parallel_for6kernelILj256ENS1_20__uninitialized_fill7functorINS0_10device_ptrIiEEiEEmLj1EEEvT0_T1_SA_
		.amdhsa_group_segment_fixed_size 0
		.amdhsa_private_segment_fixed_size 0
		.amdhsa_kernarg_size 32
		.amdhsa_user_sgpr_count 15
		.amdhsa_user_sgpr_dispatch_ptr 0
		.amdhsa_user_sgpr_queue_ptr 0
		.amdhsa_user_sgpr_kernarg_segment_ptr 1
		.amdhsa_user_sgpr_dispatch_id 0
		.amdhsa_user_sgpr_private_segment_size 0
		.amdhsa_wavefront_size32 1
		.amdhsa_uses_dynamic_stack 0
		.amdhsa_enable_private_segment 0
		.amdhsa_system_sgpr_workgroup_id_x 1
		.amdhsa_system_sgpr_workgroup_id_y 0
		.amdhsa_system_sgpr_workgroup_id_z 0
		.amdhsa_system_sgpr_workgroup_info 0
		.amdhsa_system_vgpr_workitem_id 0
		.amdhsa_next_free_vgpr 3
		.amdhsa_next_free_sgpr 16
		.amdhsa_reserve_vcc 1
		.amdhsa_float_round_mode_32 0
		.amdhsa_float_round_mode_16_64 0
		.amdhsa_float_denorm_mode_32 3
		.amdhsa_float_denorm_mode_16_64 3
		.amdhsa_dx10_clamp 1
		.amdhsa_ieee_mode 1
		.amdhsa_fp16_overflow 0
		.amdhsa_workgroup_processor_mode 1
		.amdhsa_memory_ordered 1
		.amdhsa_forward_progress 0
		.amdhsa_shared_vgpr_count 0
		.amdhsa_exception_fp_ieee_invalid_op 0
		.amdhsa_exception_fp_denorm_src 0
		.amdhsa_exception_fp_ieee_div_zero 0
		.amdhsa_exception_fp_ieee_overflow 0
		.amdhsa_exception_fp_ieee_underflow 0
		.amdhsa_exception_fp_ieee_inexact 0
		.amdhsa_exception_int_div_zero 0
	.end_amdhsa_kernel
	.section	.text._ZN6thrust23THRUST_200600_302600_NS11hip_rocprim14__parallel_for6kernelILj256ENS1_20__uninitialized_fill7functorINS0_10device_ptrIiEEiEEmLj1EEEvT0_T1_SA_,"axG",@progbits,_ZN6thrust23THRUST_200600_302600_NS11hip_rocprim14__parallel_for6kernelILj256ENS1_20__uninitialized_fill7functorINS0_10device_ptrIiEEiEEmLj1EEEvT0_T1_SA_,comdat
.Lfunc_end909:
	.size	_ZN6thrust23THRUST_200600_302600_NS11hip_rocprim14__parallel_for6kernelILj256ENS1_20__uninitialized_fill7functorINS0_10device_ptrIiEEiEEmLj1EEEvT0_T1_SA_, .Lfunc_end909-_ZN6thrust23THRUST_200600_302600_NS11hip_rocprim14__parallel_for6kernelILj256ENS1_20__uninitialized_fill7functorINS0_10device_ptrIiEEiEEmLj1EEEvT0_T1_SA_
                                        ; -- End function
	.section	.AMDGPU.csdata,"",@progbits
; Kernel info:
; codeLenInByte = 176
; NumSgprs: 18
; NumVgprs: 3
; ScratchSize: 0
; MemoryBound: 0
; FloatMode: 240
; IeeeMode: 1
; LDSByteSize: 0 bytes/workgroup (compile time only)
; SGPRBlocks: 2
; VGPRBlocks: 0
; NumSGPRsForWavesPerEU: 18
; NumVGPRsForWavesPerEU: 3
; Occupancy: 16
; WaveLimiterHint : 0
; COMPUTE_PGM_RSRC2:SCRATCH_EN: 0
; COMPUTE_PGM_RSRC2:USER_SGPR: 15
; COMPUTE_PGM_RSRC2:TRAP_HANDLER: 0
; COMPUTE_PGM_RSRC2:TGID_X_EN: 1
; COMPUTE_PGM_RSRC2:TGID_Y_EN: 0
; COMPUTE_PGM_RSRC2:TGID_Z_EN: 0
; COMPUTE_PGM_RSRC2:TIDIG_COMP_CNT: 0
	.text
	.p2alignl 7, 3214868480
	.fill 96, 4, 3214868480
	.type	__hip_cuid_d076daea800c213b,@object ; @__hip_cuid_d076daea800c213b
	.section	.bss,"aw",@nobits
	.globl	__hip_cuid_d076daea800c213b
__hip_cuid_d076daea800c213b:
	.byte	0                               ; 0x0
	.size	__hip_cuid_d076daea800c213b, 1

	.ident	"AMD clang version 19.0.0git (https://github.com/RadeonOpenCompute/llvm-project roc-6.4.0 25133 c7fe45cf4b819c5991fe208aaa96edf142730f1d)"
	.section	".note.GNU-stack","",@progbits
	.addrsig
	.addrsig_sym __hip_cuid_d076daea800c213b
	.amdgpu_metadata
---
amdhsa.kernels:
  - .args:
      - .offset:         0
        .size:           4
        .value_kind:     by_value
      - .address_space:  global
        .offset:         8
        .size:           8
        .value_kind:     global_buffer
    .group_segment_fixed_size: 0
    .kernarg_segment_align: 8
    .kernarg_segment_size: 16
    .language:       OpenCL C
    .language_version:
      - 2
      - 0
    .max_flat_workgroup_size: 256
    .name:           _Z24AdjacentDifferenceKerneliPi
    .private_segment_fixed_size: 0
    .sgpr_count:     8
    .sgpr_spill_count: 0
    .symbol:         _Z24AdjacentDifferenceKerneliPi.kd
    .uniform_work_group_size: 1
    .uses_dynamic_stack: false
    .vgpr_count:     4
    .vgpr_spill_count: 0
    .wavefront_size: 32
    .workgroup_processor_mode: 1
  - .args:
      - .offset:         0
        .size:           16
        .value_kind:     by_value
      - .offset:         16
        .size:           8
        .value_kind:     by_value
      - .offset:         24
        .size:           8
        .value_kind:     by_value
    .group_segment_fixed_size: 0
    .kernarg_segment_align: 8
    .kernarg_segment_size: 32
    .language:       OpenCL C
    .language_version:
      - 2
      - 0
    .max_flat_workgroup_size: 256
    .name:           _ZN6thrust23THRUST_200600_302600_NS11hip_rocprim14__parallel_for6kernelILj256ENS1_20__uninitialized_fill7functorINS0_10device_ptrIdEEdEEmLj1EEEvT0_T1_SA_
    .private_segment_fixed_size: 0
    .sgpr_count:     18
    .sgpr_spill_count: 0
    .symbol:         _ZN6thrust23THRUST_200600_302600_NS11hip_rocprim14__parallel_for6kernelILj256ENS1_20__uninitialized_fill7functorINS0_10device_ptrIdEEdEEmLj1EEEvT0_T1_SA_.kd
    .uniform_work_group_size: 1
    .uses_dynamic_stack: false
    .vgpr_count:     4
    .vgpr_spill_count: 0
    .wavefront_size: 32
    .workgroup_processor_mode: 1
  - .args:
      - .offset:         0
        .size:           56
        .value_kind:     by_value
    .group_segment_fixed_size: 0
    .kernarg_segment_align: 8
    .kernarg_segment_size: 56
    .language:       OpenCL C
    .language_version:
      - 2
      - 0
    .max_flat_workgroup_size: 128
    .name:           _ZN7rocprim17ROCPRIM_400000_NS6detail17trampoline_kernelINS0_14default_configENS1_35adjacent_difference_config_selectorILb0EdEEZNS1_24adjacent_difference_implIS3_Lb0ELb0EPdS7_N6thrust23THRUST_200600_302600_NS5minusIdEEEE10hipError_tPvRmT2_T3_mT4_P12ihipStream_tbEUlT_E_NS1_11comp_targetILNS1_3genE0ELNS1_11target_archE4294967295ELNS1_3gpuE0ELNS1_3repE0EEENS1_30default_config_static_selectorELNS0_4arch9wavefront6targetE0EEEvT1_
    .private_segment_fixed_size: 0
    .sgpr_count:     0
    .sgpr_spill_count: 0
    .symbol:         _ZN7rocprim17ROCPRIM_400000_NS6detail17trampoline_kernelINS0_14default_configENS1_35adjacent_difference_config_selectorILb0EdEEZNS1_24adjacent_difference_implIS3_Lb0ELb0EPdS7_N6thrust23THRUST_200600_302600_NS5minusIdEEEE10hipError_tPvRmT2_T3_mT4_P12ihipStream_tbEUlT_E_NS1_11comp_targetILNS1_3genE0ELNS1_11target_archE4294967295ELNS1_3gpuE0ELNS1_3repE0EEENS1_30default_config_static_selectorELNS0_4arch9wavefront6targetE0EEEvT1_.kd
    .uniform_work_group_size: 1
    .uses_dynamic_stack: false
    .vgpr_count:     0
    .vgpr_spill_count: 0
    .wavefront_size: 32
    .workgroup_processor_mode: 1
  - .args:
      - .offset:         0
        .size:           56
        .value_kind:     by_value
    .group_segment_fixed_size: 0
    .kernarg_segment_align: 8
    .kernarg_segment_size: 56
    .language:       OpenCL C
    .language_version:
      - 2
      - 0
    .max_flat_workgroup_size: 32
    .name:           _ZN7rocprim17ROCPRIM_400000_NS6detail17trampoline_kernelINS0_14default_configENS1_35adjacent_difference_config_selectorILb0EdEEZNS1_24adjacent_difference_implIS3_Lb0ELb0EPdS7_N6thrust23THRUST_200600_302600_NS5minusIdEEEE10hipError_tPvRmT2_T3_mT4_P12ihipStream_tbEUlT_E_NS1_11comp_targetILNS1_3genE10ELNS1_11target_archE1201ELNS1_3gpuE5ELNS1_3repE0EEENS1_30default_config_static_selectorELNS0_4arch9wavefront6targetE0EEEvT1_
    .private_segment_fixed_size: 0
    .sgpr_count:     0
    .sgpr_spill_count: 0
    .symbol:         _ZN7rocprim17ROCPRIM_400000_NS6detail17trampoline_kernelINS0_14default_configENS1_35adjacent_difference_config_selectorILb0EdEEZNS1_24adjacent_difference_implIS3_Lb0ELb0EPdS7_N6thrust23THRUST_200600_302600_NS5minusIdEEEE10hipError_tPvRmT2_T3_mT4_P12ihipStream_tbEUlT_E_NS1_11comp_targetILNS1_3genE10ELNS1_11target_archE1201ELNS1_3gpuE5ELNS1_3repE0EEENS1_30default_config_static_selectorELNS0_4arch9wavefront6targetE0EEEvT1_.kd
    .uniform_work_group_size: 1
    .uses_dynamic_stack: false
    .vgpr_count:     0
    .vgpr_spill_count: 0
    .wavefront_size: 32
    .workgroup_processor_mode: 1
  - .args:
      - .offset:         0
        .size:           56
        .value_kind:     by_value
    .group_segment_fixed_size: 0
    .kernarg_segment_align: 8
    .kernarg_segment_size: 56
    .language:       OpenCL C
    .language_version:
      - 2
      - 0
    .max_flat_workgroup_size: 64
    .name:           _ZN7rocprim17ROCPRIM_400000_NS6detail17trampoline_kernelINS0_14default_configENS1_35adjacent_difference_config_selectorILb0EdEEZNS1_24adjacent_difference_implIS3_Lb0ELb0EPdS7_N6thrust23THRUST_200600_302600_NS5minusIdEEEE10hipError_tPvRmT2_T3_mT4_P12ihipStream_tbEUlT_E_NS1_11comp_targetILNS1_3genE5ELNS1_11target_archE942ELNS1_3gpuE9ELNS1_3repE0EEENS1_30default_config_static_selectorELNS0_4arch9wavefront6targetE0EEEvT1_
    .private_segment_fixed_size: 0
    .sgpr_count:     0
    .sgpr_spill_count: 0
    .symbol:         _ZN7rocprim17ROCPRIM_400000_NS6detail17trampoline_kernelINS0_14default_configENS1_35adjacent_difference_config_selectorILb0EdEEZNS1_24adjacent_difference_implIS3_Lb0ELb0EPdS7_N6thrust23THRUST_200600_302600_NS5minusIdEEEE10hipError_tPvRmT2_T3_mT4_P12ihipStream_tbEUlT_E_NS1_11comp_targetILNS1_3genE5ELNS1_11target_archE942ELNS1_3gpuE9ELNS1_3repE0EEENS1_30default_config_static_selectorELNS0_4arch9wavefront6targetE0EEEvT1_.kd
    .uniform_work_group_size: 1
    .uses_dynamic_stack: false
    .vgpr_count:     0
    .vgpr_spill_count: 0
    .wavefront_size: 32
    .workgroup_processor_mode: 1
  - .args:
      - .offset:         0
        .size:           56
        .value_kind:     by_value
    .group_segment_fixed_size: 0
    .kernarg_segment_align: 8
    .kernarg_segment_size: 56
    .language:       OpenCL C
    .language_version:
      - 2
      - 0
    .max_flat_workgroup_size: 256
    .name:           _ZN7rocprim17ROCPRIM_400000_NS6detail17trampoline_kernelINS0_14default_configENS1_35adjacent_difference_config_selectorILb0EdEEZNS1_24adjacent_difference_implIS3_Lb0ELb0EPdS7_N6thrust23THRUST_200600_302600_NS5minusIdEEEE10hipError_tPvRmT2_T3_mT4_P12ihipStream_tbEUlT_E_NS1_11comp_targetILNS1_3genE4ELNS1_11target_archE910ELNS1_3gpuE8ELNS1_3repE0EEENS1_30default_config_static_selectorELNS0_4arch9wavefront6targetE0EEEvT1_
    .private_segment_fixed_size: 0
    .sgpr_count:     0
    .sgpr_spill_count: 0
    .symbol:         _ZN7rocprim17ROCPRIM_400000_NS6detail17trampoline_kernelINS0_14default_configENS1_35adjacent_difference_config_selectorILb0EdEEZNS1_24adjacent_difference_implIS3_Lb0ELb0EPdS7_N6thrust23THRUST_200600_302600_NS5minusIdEEEE10hipError_tPvRmT2_T3_mT4_P12ihipStream_tbEUlT_E_NS1_11comp_targetILNS1_3genE4ELNS1_11target_archE910ELNS1_3gpuE8ELNS1_3repE0EEENS1_30default_config_static_selectorELNS0_4arch9wavefront6targetE0EEEvT1_.kd
    .uniform_work_group_size: 1
    .uses_dynamic_stack: false
    .vgpr_count:     0
    .vgpr_spill_count: 0
    .wavefront_size: 32
    .workgroup_processor_mode: 1
  - .args:
      - .offset:         0
        .size:           56
        .value_kind:     by_value
    .group_segment_fixed_size: 0
    .kernarg_segment_align: 8
    .kernarg_segment_size: 56
    .language:       OpenCL C
    .language_version:
      - 2
      - 0
    .max_flat_workgroup_size: 128
    .name:           _ZN7rocprim17ROCPRIM_400000_NS6detail17trampoline_kernelINS0_14default_configENS1_35adjacent_difference_config_selectorILb0EdEEZNS1_24adjacent_difference_implIS3_Lb0ELb0EPdS7_N6thrust23THRUST_200600_302600_NS5minusIdEEEE10hipError_tPvRmT2_T3_mT4_P12ihipStream_tbEUlT_E_NS1_11comp_targetILNS1_3genE3ELNS1_11target_archE908ELNS1_3gpuE7ELNS1_3repE0EEENS1_30default_config_static_selectorELNS0_4arch9wavefront6targetE0EEEvT1_
    .private_segment_fixed_size: 0
    .sgpr_count:     0
    .sgpr_spill_count: 0
    .symbol:         _ZN7rocprim17ROCPRIM_400000_NS6detail17trampoline_kernelINS0_14default_configENS1_35adjacent_difference_config_selectorILb0EdEEZNS1_24adjacent_difference_implIS3_Lb0ELb0EPdS7_N6thrust23THRUST_200600_302600_NS5minusIdEEEE10hipError_tPvRmT2_T3_mT4_P12ihipStream_tbEUlT_E_NS1_11comp_targetILNS1_3genE3ELNS1_11target_archE908ELNS1_3gpuE7ELNS1_3repE0EEENS1_30default_config_static_selectorELNS0_4arch9wavefront6targetE0EEEvT1_.kd
    .uniform_work_group_size: 1
    .uses_dynamic_stack: false
    .vgpr_count:     0
    .vgpr_spill_count: 0
    .wavefront_size: 32
    .workgroup_processor_mode: 1
  - .args:
      - .offset:         0
        .size:           56
        .value_kind:     by_value
    .group_segment_fixed_size: 0
    .kernarg_segment_align: 8
    .kernarg_segment_size: 56
    .language:       OpenCL C
    .language_version:
      - 2
      - 0
    .max_flat_workgroup_size: 1024
    .name:           _ZN7rocprim17ROCPRIM_400000_NS6detail17trampoline_kernelINS0_14default_configENS1_35adjacent_difference_config_selectorILb0EdEEZNS1_24adjacent_difference_implIS3_Lb0ELb0EPdS7_N6thrust23THRUST_200600_302600_NS5minusIdEEEE10hipError_tPvRmT2_T3_mT4_P12ihipStream_tbEUlT_E_NS1_11comp_targetILNS1_3genE2ELNS1_11target_archE906ELNS1_3gpuE6ELNS1_3repE0EEENS1_30default_config_static_selectorELNS0_4arch9wavefront6targetE0EEEvT1_
    .private_segment_fixed_size: 0
    .sgpr_count:     0
    .sgpr_spill_count: 0
    .symbol:         _ZN7rocprim17ROCPRIM_400000_NS6detail17trampoline_kernelINS0_14default_configENS1_35adjacent_difference_config_selectorILb0EdEEZNS1_24adjacent_difference_implIS3_Lb0ELb0EPdS7_N6thrust23THRUST_200600_302600_NS5minusIdEEEE10hipError_tPvRmT2_T3_mT4_P12ihipStream_tbEUlT_E_NS1_11comp_targetILNS1_3genE2ELNS1_11target_archE906ELNS1_3gpuE6ELNS1_3repE0EEENS1_30default_config_static_selectorELNS0_4arch9wavefront6targetE0EEEvT1_.kd
    .uniform_work_group_size: 1
    .uses_dynamic_stack: false
    .vgpr_count:     0
    .vgpr_spill_count: 0
    .wavefront_size: 32
    .workgroup_processor_mode: 1
  - .args:
      - .offset:         0
        .size:           56
        .value_kind:     by_value
    .group_segment_fixed_size: 16896
    .kernarg_segment_align: 8
    .kernarg_segment_size: 56
    .language:       OpenCL C
    .language_version:
      - 2
      - 0
    .max_flat_workgroup_size: 1024
    .name:           _ZN7rocprim17ROCPRIM_400000_NS6detail17trampoline_kernelINS0_14default_configENS1_35adjacent_difference_config_selectorILb0EdEEZNS1_24adjacent_difference_implIS3_Lb0ELb0EPdS7_N6thrust23THRUST_200600_302600_NS5minusIdEEEE10hipError_tPvRmT2_T3_mT4_P12ihipStream_tbEUlT_E_NS1_11comp_targetILNS1_3genE9ELNS1_11target_archE1100ELNS1_3gpuE3ELNS1_3repE0EEENS1_30default_config_static_selectorELNS0_4arch9wavefront6targetE0EEEvT1_
    .private_segment_fixed_size: 0
    .sgpr_count:     21
    .sgpr_spill_count: 0
    .symbol:         _ZN7rocprim17ROCPRIM_400000_NS6detail17trampoline_kernelINS0_14default_configENS1_35adjacent_difference_config_selectorILb0EdEEZNS1_24adjacent_difference_implIS3_Lb0ELb0EPdS7_N6thrust23THRUST_200600_302600_NS5minusIdEEEE10hipError_tPvRmT2_T3_mT4_P12ihipStream_tbEUlT_E_NS1_11comp_targetILNS1_3genE9ELNS1_11target_archE1100ELNS1_3gpuE3ELNS1_3repE0EEENS1_30default_config_static_selectorELNS0_4arch9wavefront6targetE0EEEvT1_.kd
    .uniform_work_group_size: 1
    .uses_dynamic_stack: false
    .vgpr_count:     15
    .vgpr_spill_count: 0
    .wavefront_size: 32
    .workgroup_processor_mode: 1
  - .args:
      - .offset:         0
        .size:           56
        .value_kind:     by_value
    .group_segment_fixed_size: 0
    .kernarg_segment_align: 8
    .kernarg_segment_size: 56
    .language:       OpenCL C
    .language_version:
      - 2
      - 0
    .max_flat_workgroup_size: 1024
    .name:           _ZN7rocprim17ROCPRIM_400000_NS6detail17trampoline_kernelINS0_14default_configENS1_35adjacent_difference_config_selectorILb0EdEEZNS1_24adjacent_difference_implIS3_Lb0ELb0EPdS7_N6thrust23THRUST_200600_302600_NS5minusIdEEEE10hipError_tPvRmT2_T3_mT4_P12ihipStream_tbEUlT_E_NS1_11comp_targetILNS1_3genE8ELNS1_11target_archE1030ELNS1_3gpuE2ELNS1_3repE0EEENS1_30default_config_static_selectorELNS0_4arch9wavefront6targetE0EEEvT1_
    .private_segment_fixed_size: 0
    .sgpr_count:     0
    .sgpr_spill_count: 0
    .symbol:         _ZN7rocprim17ROCPRIM_400000_NS6detail17trampoline_kernelINS0_14default_configENS1_35adjacent_difference_config_selectorILb0EdEEZNS1_24adjacent_difference_implIS3_Lb0ELb0EPdS7_N6thrust23THRUST_200600_302600_NS5minusIdEEEE10hipError_tPvRmT2_T3_mT4_P12ihipStream_tbEUlT_E_NS1_11comp_targetILNS1_3genE8ELNS1_11target_archE1030ELNS1_3gpuE2ELNS1_3repE0EEENS1_30default_config_static_selectorELNS0_4arch9wavefront6targetE0EEEvT1_.kd
    .uniform_work_group_size: 1
    .uses_dynamic_stack: false
    .vgpr_count:     0
    .vgpr_spill_count: 0
    .wavefront_size: 32
    .workgroup_processor_mode: 1
  - .args:
      - .offset:         0
        .size:           56
        .value_kind:     by_value
    .group_segment_fixed_size: 0
    .kernarg_segment_align: 8
    .kernarg_segment_size: 56
    .language:       OpenCL C
    .language_version:
      - 2
      - 0
    .max_flat_workgroup_size: 128
    .name:           _ZN7rocprim17ROCPRIM_400000_NS6detail17trampoline_kernelINS0_14default_configENS1_25transform_config_selectorIdLb0EEEZNS1_14transform_implILb0ES3_S5_NS0_18transform_iteratorINS0_17counting_iteratorImlEEZNS1_24adjacent_difference_implIS3_Lb1ELb0EPdSB_N6thrust23THRUST_200600_302600_NS5minusIdEEEE10hipError_tPvRmT2_T3_mT4_P12ihipStream_tbEUlmE_dEESB_NS0_8identityIvEEEESG_SJ_SK_mSL_SN_bEUlT_E_NS1_11comp_targetILNS1_3genE0ELNS1_11target_archE4294967295ELNS1_3gpuE0ELNS1_3repE0EEENS1_30default_config_static_selectorELNS0_4arch9wavefront6targetE0EEEvT1_
    .private_segment_fixed_size: 0
    .sgpr_count:     0
    .sgpr_spill_count: 0
    .symbol:         _ZN7rocprim17ROCPRIM_400000_NS6detail17trampoline_kernelINS0_14default_configENS1_25transform_config_selectorIdLb0EEEZNS1_14transform_implILb0ES3_S5_NS0_18transform_iteratorINS0_17counting_iteratorImlEEZNS1_24adjacent_difference_implIS3_Lb1ELb0EPdSB_N6thrust23THRUST_200600_302600_NS5minusIdEEEE10hipError_tPvRmT2_T3_mT4_P12ihipStream_tbEUlmE_dEESB_NS0_8identityIvEEEESG_SJ_SK_mSL_SN_bEUlT_E_NS1_11comp_targetILNS1_3genE0ELNS1_11target_archE4294967295ELNS1_3gpuE0ELNS1_3repE0EEENS1_30default_config_static_selectorELNS0_4arch9wavefront6targetE0EEEvT1_.kd
    .uniform_work_group_size: 1
    .uses_dynamic_stack: false
    .vgpr_count:     0
    .vgpr_spill_count: 0
    .wavefront_size: 32
    .workgroup_processor_mode: 1
  - .args:
      - .offset:         0
        .size:           56
        .value_kind:     by_value
    .group_segment_fixed_size: 0
    .kernarg_segment_align: 8
    .kernarg_segment_size: 56
    .language:       OpenCL C
    .language_version:
      - 2
      - 0
    .max_flat_workgroup_size: 512
    .name:           _ZN7rocprim17ROCPRIM_400000_NS6detail17trampoline_kernelINS0_14default_configENS1_25transform_config_selectorIdLb0EEEZNS1_14transform_implILb0ES3_S5_NS0_18transform_iteratorINS0_17counting_iteratorImlEEZNS1_24adjacent_difference_implIS3_Lb1ELb0EPdSB_N6thrust23THRUST_200600_302600_NS5minusIdEEEE10hipError_tPvRmT2_T3_mT4_P12ihipStream_tbEUlmE_dEESB_NS0_8identityIvEEEESG_SJ_SK_mSL_SN_bEUlT_E_NS1_11comp_targetILNS1_3genE5ELNS1_11target_archE942ELNS1_3gpuE9ELNS1_3repE0EEENS1_30default_config_static_selectorELNS0_4arch9wavefront6targetE0EEEvT1_
    .private_segment_fixed_size: 0
    .sgpr_count:     0
    .sgpr_spill_count: 0
    .symbol:         _ZN7rocprim17ROCPRIM_400000_NS6detail17trampoline_kernelINS0_14default_configENS1_25transform_config_selectorIdLb0EEEZNS1_14transform_implILb0ES3_S5_NS0_18transform_iteratorINS0_17counting_iteratorImlEEZNS1_24adjacent_difference_implIS3_Lb1ELb0EPdSB_N6thrust23THRUST_200600_302600_NS5minusIdEEEE10hipError_tPvRmT2_T3_mT4_P12ihipStream_tbEUlmE_dEESB_NS0_8identityIvEEEESG_SJ_SK_mSL_SN_bEUlT_E_NS1_11comp_targetILNS1_3genE5ELNS1_11target_archE942ELNS1_3gpuE9ELNS1_3repE0EEENS1_30default_config_static_selectorELNS0_4arch9wavefront6targetE0EEEvT1_.kd
    .uniform_work_group_size: 1
    .uses_dynamic_stack: false
    .vgpr_count:     0
    .vgpr_spill_count: 0
    .wavefront_size: 32
    .workgroup_processor_mode: 1
  - .args:
      - .offset:         0
        .size:           56
        .value_kind:     by_value
    .group_segment_fixed_size: 0
    .kernarg_segment_align: 8
    .kernarg_segment_size: 56
    .language:       OpenCL C
    .language_version:
      - 2
      - 0
    .max_flat_workgroup_size: 256
    .name:           _ZN7rocprim17ROCPRIM_400000_NS6detail17trampoline_kernelINS0_14default_configENS1_25transform_config_selectorIdLb0EEEZNS1_14transform_implILb0ES3_S5_NS0_18transform_iteratorINS0_17counting_iteratorImlEEZNS1_24adjacent_difference_implIS3_Lb1ELb0EPdSB_N6thrust23THRUST_200600_302600_NS5minusIdEEEE10hipError_tPvRmT2_T3_mT4_P12ihipStream_tbEUlmE_dEESB_NS0_8identityIvEEEESG_SJ_SK_mSL_SN_bEUlT_E_NS1_11comp_targetILNS1_3genE4ELNS1_11target_archE910ELNS1_3gpuE8ELNS1_3repE0EEENS1_30default_config_static_selectorELNS0_4arch9wavefront6targetE0EEEvT1_
    .private_segment_fixed_size: 0
    .sgpr_count:     0
    .sgpr_spill_count: 0
    .symbol:         _ZN7rocprim17ROCPRIM_400000_NS6detail17trampoline_kernelINS0_14default_configENS1_25transform_config_selectorIdLb0EEEZNS1_14transform_implILb0ES3_S5_NS0_18transform_iteratorINS0_17counting_iteratorImlEEZNS1_24adjacent_difference_implIS3_Lb1ELb0EPdSB_N6thrust23THRUST_200600_302600_NS5minusIdEEEE10hipError_tPvRmT2_T3_mT4_P12ihipStream_tbEUlmE_dEESB_NS0_8identityIvEEEESG_SJ_SK_mSL_SN_bEUlT_E_NS1_11comp_targetILNS1_3genE4ELNS1_11target_archE910ELNS1_3gpuE8ELNS1_3repE0EEENS1_30default_config_static_selectorELNS0_4arch9wavefront6targetE0EEEvT1_.kd
    .uniform_work_group_size: 1
    .uses_dynamic_stack: false
    .vgpr_count:     0
    .vgpr_spill_count: 0
    .wavefront_size: 32
    .workgroup_processor_mode: 1
  - .args:
      - .offset:         0
        .size:           56
        .value_kind:     by_value
    .group_segment_fixed_size: 0
    .kernarg_segment_align: 8
    .kernarg_segment_size: 56
    .language:       OpenCL C
    .language_version:
      - 2
      - 0
    .max_flat_workgroup_size: 128
    .name:           _ZN7rocprim17ROCPRIM_400000_NS6detail17trampoline_kernelINS0_14default_configENS1_25transform_config_selectorIdLb0EEEZNS1_14transform_implILb0ES3_S5_NS0_18transform_iteratorINS0_17counting_iteratorImlEEZNS1_24adjacent_difference_implIS3_Lb1ELb0EPdSB_N6thrust23THRUST_200600_302600_NS5minusIdEEEE10hipError_tPvRmT2_T3_mT4_P12ihipStream_tbEUlmE_dEESB_NS0_8identityIvEEEESG_SJ_SK_mSL_SN_bEUlT_E_NS1_11comp_targetILNS1_3genE3ELNS1_11target_archE908ELNS1_3gpuE7ELNS1_3repE0EEENS1_30default_config_static_selectorELNS0_4arch9wavefront6targetE0EEEvT1_
    .private_segment_fixed_size: 0
    .sgpr_count:     0
    .sgpr_spill_count: 0
    .symbol:         _ZN7rocprim17ROCPRIM_400000_NS6detail17trampoline_kernelINS0_14default_configENS1_25transform_config_selectorIdLb0EEEZNS1_14transform_implILb0ES3_S5_NS0_18transform_iteratorINS0_17counting_iteratorImlEEZNS1_24adjacent_difference_implIS3_Lb1ELb0EPdSB_N6thrust23THRUST_200600_302600_NS5minusIdEEEE10hipError_tPvRmT2_T3_mT4_P12ihipStream_tbEUlmE_dEESB_NS0_8identityIvEEEESG_SJ_SK_mSL_SN_bEUlT_E_NS1_11comp_targetILNS1_3genE3ELNS1_11target_archE908ELNS1_3gpuE7ELNS1_3repE0EEENS1_30default_config_static_selectorELNS0_4arch9wavefront6targetE0EEEvT1_.kd
    .uniform_work_group_size: 1
    .uses_dynamic_stack: false
    .vgpr_count:     0
    .vgpr_spill_count: 0
    .wavefront_size: 32
    .workgroup_processor_mode: 1
  - .args:
      - .offset:         0
        .size:           56
        .value_kind:     by_value
    .group_segment_fixed_size: 0
    .kernarg_segment_align: 8
    .kernarg_segment_size: 56
    .language:       OpenCL C
    .language_version:
      - 2
      - 0
    .max_flat_workgroup_size: 1024
    .name:           _ZN7rocprim17ROCPRIM_400000_NS6detail17trampoline_kernelINS0_14default_configENS1_25transform_config_selectorIdLb0EEEZNS1_14transform_implILb0ES3_S5_NS0_18transform_iteratorINS0_17counting_iteratorImlEEZNS1_24adjacent_difference_implIS3_Lb1ELb0EPdSB_N6thrust23THRUST_200600_302600_NS5minusIdEEEE10hipError_tPvRmT2_T3_mT4_P12ihipStream_tbEUlmE_dEESB_NS0_8identityIvEEEESG_SJ_SK_mSL_SN_bEUlT_E_NS1_11comp_targetILNS1_3genE2ELNS1_11target_archE906ELNS1_3gpuE6ELNS1_3repE0EEENS1_30default_config_static_selectorELNS0_4arch9wavefront6targetE0EEEvT1_
    .private_segment_fixed_size: 0
    .sgpr_count:     0
    .sgpr_spill_count: 0
    .symbol:         _ZN7rocprim17ROCPRIM_400000_NS6detail17trampoline_kernelINS0_14default_configENS1_25transform_config_selectorIdLb0EEEZNS1_14transform_implILb0ES3_S5_NS0_18transform_iteratorINS0_17counting_iteratorImlEEZNS1_24adjacent_difference_implIS3_Lb1ELb0EPdSB_N6thrust23THRUST_200600_302600_NS5minusIdEEEE10hipError_tPvRmT2_T3_mT4_P12ihipStream_tbEUlmE_dEESB_NS0_8identityIvEEEESG_SJ_SK_mSL_SN_bEUlT_E_NS1_11comp_targetILNS1_3genE2ELNS1_11target_archE906ELNS1_3gpuE6ELNS1_3repE0EEENS1_30default_config_static_selectorELNS0_4arch9wavefront6targetE0EEEvT1_.kd
    .uniform_work_group_size: 1
    .uses_dynamic_stack: false
    .vgpr_count:     0
    .vgpr_spill_count: 0
    .wavefront_size: 32
    .workgroup_processor_mode: 1
  - .args:
      - .offset:         0
        .size:           56
        .value_kind:     by_value
    .group_segment_fixed_size: 0
    .kernarg_segment_align: 8
    .kernarg_segment_size: 56
    .language:       OpenCL C
    .language_version:
      - 2
      - 0
    .max_flat_workgroup_size: 64
    .name:           _ZN7rocprim17ROCPRIM_400000_NS6detail17trampoline_kernelINS0_14default_configENS1_25transform_config_selectorIdLb0EEEZNS1_14transform_implILb0ES3_S5_NS0_18transform_iteratorINS0_17counting_iteratorImlEEZNS1_24adjacent_difference_implIS3_Lb1ELb0EPdSB_N6thrust23THRUST_200600_302600_NS5minusIdEEEE10hipError_tPvRmT2_T3_mT4_P12ihipStream_tbEUlmE_dEESB_NS0_8identityIvEEEESG_SJ_SK_mSL_SN_bEUlT_E_NS1_11comp_targetILNS1_3genE10ELNS1_11target_archE1201ELNS1_3gpuE5ELNS1_3repE0EEENS1_30default_config_static_selectorELNS0_4arch9wavefront6targetE0EEEvT1_
    .private_segment_fixed_size: 0
    .sgpr_count:     0
    .sgpr_spill_count: 0
    .symbol:         _ZN7rocprim17ROCPRIM_400000_NS6detail17trampoline_kernelINS0_14default_configENS1_25transform_config_selectorIdLb0EEEZNS1_14transform_implILb0ES3_S5_NS0_18transform_iteratorINS0_17counting_iteratorImlEEZNS1_24adjacent_difference_implIS3_Lb1ELb0EPdSB_N6thrust23THRUST_200600_302600_NS5minusIdEEEE10hipError_tPvRmT2_T3_mT4_P12ihipStream_tbEUlmE_dEESB_NS0_8identityIvEEEESG_SJ_SK_mSL_SN_bEUlT_E_NS1_11comp_targetILNS1_3genE10ELNS1_11target_archE1201ELNS1_3gpuE5ELNS1_3repE0EEENS1_30default_config_static_selectorELNS0_4arch9wavefront6targetE0EEEvT1_.kd
    .uniform_work_group_size: 1
    .uses_dynamic_stack: false
    .vgpr_count:     0
    .vgpr_spill_count: 0
    .wavefront_size: 32
    .workgroup_processor_mode: 1
  - .args:
      - .offset:         0
        .size:           56
        .value_kind:     by_value
    .group_segment_fixed_size: 0
    .kernarg_segment_align: 8
    .kernarg_segment_size: 56
    .language:       OpenCL C
    .language_version:
      - 2
      - 0
    .max_flat_workgroup_size: 512
    .name:           _ZN7rocprim17ROCPRIM_400000_NS6detail17trampoline_kernelINS0_14default_configENS1_25transform_config_selectorIdLb0EEEZNS1_14transform_implILb0ES3_S5_NS0_18transform_iteratorINS0_17counting_iteratorImlEEZNS1_24adjacent_difference_implIS3_Lb1ELb0EPdSB_N6thrust23THRUST_200600_302600_NS5minusIdEEEE10hipError_tPvRmT2_T3_mT4_P12ihipStream_tbEUlmE_dEESB_NS0_8identityIvEEEESG_SJ_SK_mSL_SN_bEUlT_E_NS1_11comp_targetILNS1_3genE10ELNS1_11target_archE1200ELNS1_3gpuE4ELNS1_3repE0EEENS1_30default_config_static_selectorELNS0_4arch9wavefront6targetE0EEEvT1_
    .private_segment_fixed_size: 0
    .sgpr_count:     0
    .sgpr_spill_count: 0
    .symbol:         _ZN7rocprim17ROCPRIM_400000_NS6detail17trampoline_kernelINS0_14default_configENS1_25transform_config_selectorIdLb0EEEZNS1_14transform_implILb0ES3_S5_NS0_18transform_iteratorINS0_17counting_iteratorImlEEZNS1_24adjacent_difference_implIS3_Lb1ELb0EPdSB_N6thrust23THRUST_200600_302600_NS5minusIdEEEE10hipError_tPvRmT2_T3_mT4_P12ihipStream_tbEUlmE_dEESB_NS0_8identityIvEEEESG_SJ_SK_mSL_SN_bEUlT_E_NS1_11comp_targetILNS1_3genE10ELNS1_11target_archE1200ELNS1_3gpuE4ELNS1_3repE0EEENS1_30default_config_static_selectorELNS0_4arch9wavefront6targetE0EEEvT1_.kd
    .uniform_work_group_size: 1
    .uses_dynamic_stack: false
    .vgpr_count:     0
    .vgpr_spill_count: 0
    .wavefront_size: 32
    .workgroup_processor_mode: 1
  - .args:
      - .offset:         0
        .size:           56
        .value_kind:     by_value
      - .offset:         56
        .size:           4
        .value_kind:     hidden_block_count_x
      - .offset:         60
        .size:           4
        .value_kind:     hidden_block_count_y
      - .offset:         64
        .size:           4
        .value_kind:     hidden_block_count_z
      - .offset:         68
        .size:           2
        .value_kind:     hidden_group_size_x
      - .offset:         70
        .size:           2
        .value_kind:     hidden_group_size_y
      - .offset:         72
        .size:           2
        .value_kind:     hidden_group_size_z
      - .offset:         74
        .size:           2
        .value_kind:     hidden_remainder_x
      - .offset:         76
        .size:           2
        .value_kind:     hidden_remainder_y
      - .offset:         78
        .size:           2
        .value_kind:     hidden_remainder_z
      - .offset:         96
        .size:           8
        .value_kind:     hidden_global_offset_x
      - .offset:         104
        .size:           8
        .value_kind:     hidden_global_offset_y
      - .offset:         112
        .size:           8
        .value_kind:     hidden_global_offset_z
      - .offset:         120
        .size:           2
        .value_kind:     hidden_grid_dims
    .group_segment_fixed_size: 0
    .kernarg_segment_align: 8
    .kernarg_segment_size: 312
    .language:       OpenCL C
    .language_version:
      - 2
      - 0
    .max_flat_workgroup_size: 512
    .name:           _ZN7rocprim17ROCPRIM_400000_NS6detail17trampoline_kernelINS0_14default_configENS1_25transform_config_selectorIdLb0EEEZNS1_14transform_implILb0ES3_S5_NS0_18transform_iteratorINS0_17counting_iteratorImlEEZNS1_24adjacent_difference_implIS3_Lb1ELb0EPdSB_N6thrust23THRUST_200600_302600_NS5minusIdEEEE10hipError_tPvRmT2_T3_mT4_P12ihipStream_tbEUlmE_dEESB_NS0_8identityIvEEEESG_SJ_SK_mSL_SN_bEUlT_E_NS1_11comp_targetILNS1_3genE9ELNS1_11target_archE1100ELNS1_3gpuE3ELNS1_3repE0EEENS1_30default_config_static_selectorELNS0_4arch9wavefront6targetE0EEEvT1_
    .private_segment_fixed_size: 0
    .sgpr_count:     18
    .sgpr_spill_count: 0
    .symbol:         _ZN7rocprim17ROCPRIM_400000_NS6detail17trampoline_kernelINS0_14default_configENS1_25transform_config_selectorIdLb0EEEZNS1_14transform_implILb0ES3_S5_NS0_18transform_iteratorINS0_17counting_iteratorImlEEZNS1_24adjacent_difference_implIS3_Lb1ELb0EPdSB_N6thrust23THRUST_200600_302600_NS5minusIdEEEE10hipError_tPvRmT2_T3_mT4_P12ihipStream_tbEUlmE_dEESB_NS0_8identityIvEEEESG_SJ_SK_mSL_SN_bEUlT_E_NS1_11comp_targetILNS1_3genE9ELNS1_11target_archE1100ELNS1_3gpuE3ELNS1_3repE0EEENS1_30default_config_static_selectorELNS0_4arch9wavefront6targetE0EEEvT1_.kd
    .uniform_work_group_size: 1
    .uses_dynamic_stack: false
    .vgpr_count:     6
    .vgpr_spill_count: 0
    .wavefront_size: 32
    .workgroup_processor_mode: 1
  - .args:
      - .offset:         0
        .size:           56
        .value_kind:     by_value
    .group_segment_fixed_size: 0
    .kernarg_segment_align: 8
    .kernarg_segment_size: 56
    .language:       OpenCL C
    .language_version:
      - 2
      - 0
    .max_flat_workgroup_size: 512
    .name:           _ZN7rocprim17ROCPRIM_400000_NS6detail17trampoline_kernelINS0_14default_configENS1_25transform_config_selectorIdLb0EEEZNS1_14transform_implILb0ES3_S5_NS0_18transform_iteratorINS0_17counting_iteratorImlEEZNS1_24adjacent_difference_implIS3_Lb1ELb0EPdSB_N6thrust23THRUST_200600_302600_NS5minusIdEEEE10hipError_tPvRmT2_T3_mT4_P12ihipStream_tbEUlmE_dEESB_NS0_8identityIvEEEESG_SJ_SK_mSL_SN_bEUlT_E_NS1_11comp_targetILNS1_3genE8ELNS1_11target_archE1030ELNS1_3gpuE2ELNS1_3repE0EEENS1_30default_config_static_selectorELNS0_4arch9wavefront6targetE0EEEvT1_
    .private_segment_fixed_size: 0
    .sgpr_count:     0
    .sgpr_spill_count: 0
    .symbol:         _ZN7rocprim17ROCPRIM_400000_NS6detail17trampoline_kernelINS0_14default_configENS1_25transform_config_selectorIdLb0EEEZNS1_14transform_implILb0ES3_S5_NS0_18transform_iteratorINS0_17counting_iteratorImlEEZNS1_24adjacent_difference_implIS3_Lb1ELb0EPdSB_N6thrust23THRUST_200600_302600_NS5minusIdEEEE10hipError_tPvRmT2_T3_mT4_P12ihipStream_tbEUlmE_dEESB_NS0_8identityIvEEEESG_SJ_SK_mSL_SN_bEUlT_E_NS1_11comp_targetILNS1_3genE8ELNS1_11target_archE1030ELNS1_3gpuE2ELNS1_3repE0EEENS1_30default_config_static_selectorELNS0_4arch9wavefront6targetE0EEEvT1_.kd
    .uniform_work_group_size: 1
    .uses_dynamic_stack: false
    .vgpr_count:     0
    .vgpr_spill_count: 0
    .wavefront_size: 32
    .workgroup_processor_mode: 1
  - .args:
      - .offset:         0
        .size:           56
        .value_kind:     by_value
    .group_segment_fixed_size: 0
    .kernarg_segment_align: 8
    .kernarg_segment_size: 56
    .language:       OpenCL C
    .language_version:
      - 2
      - 0
    .max_flat_workgroup_size: 512
    .name:           _ZN7rocprim17ROCPRIM_400000_NS6detail17trampoline_kernelINS0_14default_configENS1_35adjacent_difference_config_selectorILb1EdEEZNS1_24adjacent_difference_implIS3_Lb1ELb0EPdS7_N6thrust23THRUST_200600_302600_NS5minusIdEEEE10hipError_tPvRmT2_T3_mT4_P12ihipStream_tbEUlT_E_NS1_11comp_targetILNS1_3genE0ELNS1_11target_archE4294967295ELNS1_3gpuE0ELNS1_3repE0EEENS1_30default_config_static_selectorELNS0_4arch9wavefront6targetE0EEEvT1_
    .private_segment_fixed_size: 0
    .sgpr_count:     0
    .sgpr_spill_count: 0
    .symbol:         _ZN7rocprim17ROCPRIM_400000_NS6detail17trampoline_kernelINS0_14default_configENS1_35adjacent_difference_config_selectorILb1EdEEZNS1_24adjacent_difference_implIS3_Lb1ELb0EPdS7_N6thrust23THRUST_200600_302600_NS5minusIdEEEE10hipError_tPvRmT2_T3_mT4_P12ihipStream_tbEUlT_E_NS1_11comp_targetILNS1_3genE0ELNS1_11target_archE4294967295ELNS1_3gpuE0ELNS1_3repE0EEENS1_30default_config_static_selectorELNS0_4arch9wavefront6targetE0EEEvT1_.kd
    .uniform_work_group_size: 1
    .uses_dynamic_stack: false
    .vgpr_count:     0
    .vgpr_spill_count: 0
    .wavefront_size: 32
    .workgroup_processor_mode: 1
  - .args:
      - .offset:         0
        .size:           56
        .value_kind:     by_value
    .group_segment_fixed_size: 0
    .kernarg_segment_align: 8
    .kernarg_segment_size: 56
    .language:       OpenCL C
    .language_version:
      - 2
      - 0
    .max_flat_workgroup_size: 256
    .name:           _ZN7rocprim17ROCPRIM_400000_NS6detail17trampoline_kernelINS0_14default_configENS1_35adjacent_difference_config_selectorILb1EdEEZNS1_24adjacent_difference_implIS3_Lb1ELb0EPdS7_N6thrust23THRUST_200600_302600_NS5minusIdEEEE10hipError_tPvRmT2_T3_mT4_P12ihipStream_tbEUlT_E_NS1_11comp_targetILNS1_3genE10ELNS1_11target_archE1201ELNS1_3gpuE5ELNS1_3repE0EEENS1_30default_config_static_selectorELNS0_4arch9wavefront6targetE0EEEvT1_
    .private_segment_fixed_size: 0
    .sgpr_count:     0
    .sgpr_spill_count: 0
    .symbol:         _ZN7rocprim17ROCPRIM_400000_NS6detail17trampoline_kernelINS0_14default_configENS1_35adjacent_difference_config_selectorILb1EdEEZNS1_24adjacent_difference_implIS3_Lb1ELb0EPdS7_N6thrust23THRUST_200600_302600_NS5minusIdEEEE10hipError_tPvRmT2_T3_mT4_P12ihipStream_tbEUlT_E_NS1_11comp_targetILNS1_3genE10ELNS1_11target_archE1201ELNS1_3gpuE5ELNS1_3repE0EEENS1_30default_config_static_selectorELNS0_4arch9wavefront6targetE0EEEvT1_.kd
    .uniform_work_group_size: 1
    .uses_dynamic_stack: false
    .vgpr_count:     0
    .vgpr_spill_count: 0
    .wavefront_size: 32
    .workgroup_processor_mode: 1
  - .args:
      - .offset:         0
        .size:           56
        .value_kind:     by_value
    .group_segment_fixed_size: 0
    .kernarg_segment_align: 8
    .kernarg_segment_size: 56
    .language:       OpenCL C
    .language_version:
      - 2
      - 0
    .max_flat_workgroup_size: 128
    .name:           _ZN7rocprim17ROCPRIM_400000_NS6detail17trampoline_kernelINS0_14default_configENS1_35adjacent_difference_config_selectorILb1EdEEZNS1_24adjacent_difference_implIS3_Lb1ELb0EPdS7_N6thrust23THRUST_200600_302600_NS5minusIdEEEE10hipError_tPvRmT2_T3_mT4_P12ihipStream_tbEUlT_E_NS1_11comp_targetILNS1_3genE5ELNS1_11target_archE942ELNS1_3gpuE9ELNS1_3repE0EEENS1_30default_config_static_selectorELNS0_4arch9wavefront6targetE0EEEvT1_
    .private_segment_fixed_size: 0
    .sgpr_count:     0
    .sgpr_spill_count: 0
    .symbol:         _ZN7rocprim17ROCPRIM_400000_NS6detail17trampoline_kernelINS0_14default_configENS1_35adjacent_difference_config_selectorILb1EdEEZNS1_24adjacent_difference_implIS3_Lb1ELb0EPdS7_N6thrust23THRUST_200600_302600_NS5minusIdEEEE10hipError_tPvRmT2_T3_mT4_P12ihipStream_tbEUlT_E_NS1_11comp_targetILNS1_3genE5ELNS1_11target_archE942ELNS1_3gpuE9ELNS1_3repE0EEENS1_30default_config_static_selectorELNS0_4arch9wavefront6targetE0EEEvT1_.kd
    .uniform_work_group_size: 1
    .uses_dynamic_stack: false
    .vgpr_count:     0
    .vgpr_spill_count: 0
    .wavefront_size: 32
    .workgroup_processor_mode: 1
  - .args:
      - .offset:         0
        .size:           56
        .value_kind:     by_value
    .group_segment_fixed_size: 0
    .kernarg_segment_align: 8
    .kernarg_segment_size: 56
    .language:       OpenCL C
    .language_version:
      - 2
      - 0
    .max_flat_workgroup_size: 512
    .name:           _ZN7rocprim17ROCPRIM_400000_NS6detail17trampoline_kernelINS0_14default_configENS1_35adjacent_difference_config_selectorILb1EdEEZNS1_24adjacent_difference_implIS3_Lb1ELb0EPdS7_N6thrust23THRUST_200600_302600_NS5minusIdEEEE10hipError_tPvRmT2_T3_mT4_P12ihipStream_tbEUlT_E_NS1_11comp_targetILNS1_3genE4ELNS1_11target_archE910ELNS1_3gpuE8ELNS1_3repE0EEENS1_30default_config_static_selectorELNS0_4arch9wavefront6targetE0EEEvT1_
    .private_segment_fixed_size: 0
    .sgpr_count:     0
    .sgpr_spill_count: 0
    .symbol:         _ZN7rocprim17ROCPRIM_400000_NS6detail17trampoline_kernelINS0_14default_configENS1_35adjacent_difference_config_selectorILb1EdEEZNS1_24adjacent_difference_implIS3_Lb1ELb0EPdS7_N6thrust23THRUST_200600_302600_NS5minusIdEEEE10hipError_tPvRmT2_T3_mT4_P12ihipStream_tbEUlT_E_NS1_11comp_targetILNS1_3genE4ELNS1_11target_archE910ELNS1_3gpuE8ELNS1_3repE0EEENS1_30default_config_static_selectorELNS0_4arch9wavefront6targetE0EEEvT1_.kd
    .uniform_work_group_size: 1
    .uses_dynamic_stack: false
    .vgpr_count:     0
    .vgpr_spill_count: 0
    .wavefront_size: 32
    .workgroup_processor_mode: 1
  - .args:
      - .offset:         0
        .size:           56
        .value_kind:     by_value
    .group_segment_fixed_size: 0
    .kernarg_segment_align: 8
    .kernarg_segment_size: 56
    .language:       OpenCL C
    .language_version:
      - 2
      - 0
    .max_flat_workgroup_size: 512
    .name:           _ZN7rocprim17ROCPRIM_400000_NS6detail17trampoline_kernelINS0_14default_configENS1_35adjacent_difference_config_selectorILb1EdEEZNS1_24adjacent_difference_implIS3_Lb1ELb0EPdS7_N6thrust23THRUST_200600_302600_NS5minusIdEEEE10hipError_tPvRmT2_T3_mT4_P12ihipStream_tbEUlT_E_NS1_11comp_targetILNS1_3genE3ELNS1_11target_archE908ELNS1_3gpuE7ELNS1_3repE0EEENS1_30default_config_static_selectorELNS0_4arch9wavefront6targetE0EEEvT1_
    .private_segment_fixed_size: 0
    .sgpr_count:     0
    .sgpr_spill_count: 0
    .symbol:         _ZN7rocprim17ROCPRIM_400000_NS6detail17trampoline_kernelINS0_14default_configENS1_35adjacent_difference_config_selectorILb1EdEEZNS1_24adjacent_difference_implIS3_Lb1ELb0EPdS7_N6thrust23THRUST_200600_302600_NS5minusIdEEEE10hipError_tPvRmT2_T3_mT4_P12ihipStream_tbEUlT_E_NS1_11comp_targetILNS1_3genE3ELNS1_11target_archE908ELNS1_3gpuE7ELNS1_3repE0EEENS1_30default_config_static_selectorELNS0_4arch9wavefront6targetE0EEEvT1_.kd
    .uniform_work_group_size: 1
    .uses_dynamic_stack: false
    .vgpr_count:     0
    .vgpr_spill_count: 0
    .wavefront_size: 32
    .workgroup_processor_mode: 1
  - .args:
      - .offset:         0
        .size:           56
        .value_kind:     by_value
    .group_segment_fixed_size: 0
    .kernarg_segment_align: 8
    .kernarg_segment_size: 56
    .language:       OpenCL C
    .language_version:
      - 2
      - 0
    .max_flat_workgroup_size: 128
    .name:           _ZN7rocprim17ROCPRIM_400000_NS6detail17trampoline_kernelINS0_14default_configENS1_35adjacent_difference_config_selectorILb1EdEEZNS1_24adjacent_difference_implIS3_Lb1ELb0EPdS7_N6thrust23THRUST_200600_302600_NS5minusIdEEEE10hipError_tPvRmT2_T3_mT4_P12ihipStream_tbEUlT_E_NS1_11comp_targetILNS1_3genE2ELNS1_11target_archE906ELNS1_3gpuE6ELNS1_3repE0EEENS1_30default_config_static_selectorELNS0_4arch9wavefront6targetE0EEEvT1_
    .private_segment_fixed_size: 0
    .sgpr_count:     0
    .sgpr_spill_count: 0
    .symbol:         _ZN7rocprim17ROCPRIM_400000_NS6detail17trampoline_kernelINS0_14default_configENS1_35adjacent_difference_config_selectorILb1EdEEZNS1_24adjacent_difference_implIS3_Lb1ELb0EPdS7_N6thrust23THRUST_200600_302600_NS5minusIdEEEE10hipError_tPvRmT2_T3_mT4_P12ihipStream_tbEUlT_E_NS1_11comp_targetILNS1_3genE2ELNS1_11target_archE906ELNS1_3gpuE6ELNS1_3repE0EEENS1_30default_config_static_selectorELNS0_4arch9wavefront6targetE0EEEvT1_.kd
    .uniform_work_group_size: 1
    .uses_dynamic_stack: false
    .vgpr_count:     0
    .vgpr_spill_count: 0
    .wavefront_size: 32
    .workgroup_processor_mode: 1
  - .args:
      - .offset:         0
        .size:           56
        .value_kind:     by_value
    .group_segment_fixed_size: 29696
    .kernarg_segment_align: 8
    .kernarg_segment_size: 56
    .language:       OpenCL C
    .language_version:
      - 2
      - 0
    .max_flat_workgroup_size: 128
    .name:           _ZN7rocprim17ROCPRIM_400000_NS6detail17trampoline_kernelINS0_14default_configENS1_35adjacent_difference_config_selectorILb1EdEEZNS1_24adjacent_difference_implIS3_Lb1ELb0EPdS7_N6thrust23THRUST_200600_302600_NS5minusIdEEEE10hipError_tPvRmT2_T3_mT4_P12ihipStream_tbEUlT_E_NS1_11comp_targetILNS1_3genE9ELNS1_11target_archE1100ELNS1_3gpuE3ELNS1_3repE0EEENS1_30default_config_static_selectorELNS0_4arch9wavefront6targetE0EEEvT1_
    .private_segment_fixed_size: 0
    .sgpr_count:     28
    .sgpr_spill_count: 0
    .symbol:         _ZN7rocprim17ROCPRIM_400000_NS6detail17trampoline_kernelINS0_14default_configENS1_35adjacent_difference_config_selectorILb1EdEEZNS1_24adjacent_difference_implIS3_Lb1ELb0EPdS7_N6thrust23THRUST_200600_302600_NS5minusIdEEEE10hipError_tPvRmT2_T3_mT4_P12ihipStream_tbEUlT_E_NS1_11comp_targetILNS1_3genE9ELNS1_11target_archE1100ELNS1_3gpuE3ELNS1_3repE0EEENS1_30default_config_static_selectorELNS0_4arch9wavefront6targetE0EEEvT1_.kd
    .uniform_work_group_size: 1
    .uses_dynamic_stack: false
    .vgpr_count:     148
    .vgpr_spill_count: 0
    .wavefront_size: 32
    .workgroup_processor_mode: 1
  - .args:
      - .offset:         0
        .size:           56
        .value_kind:     by_value
    .group_segment_fixed_size: 0
    .kernarg_segment_align: 8
    .kernarg_segment_size: 56
    .language:       OpenCL C
    .language_version:
      - 2
      - 0
    .max_flat_workgroup_size: 32
    .name:           _ZN7rocprim17ROCPRIM_400000_NS6detail17trampoline_kernelINS0_14default_configENS1_35adjacent_difference_config_selectorILb1EdEEZNS1_24adjacent_difference_implIS3_Lb1ELb0EPdS7_N6thrust23THRUST_200600_302600_NS5minusIdEEEE10hipError_tPvRmT2_T3_mT4_P12ihipStream_tbEUlT_E_NS1_11comp_targetILNS1_3genE8ELNS1_11target_archE1030ELNS1_3gpuE2ELNS1_3repE0EEENS1_30default_config_static_selectorELNS0_4arch9wavefront6targetE0EEEvT1_
    .private_segment_fixed_size: 0
    .sgpr_count:     0
    .sgpr_spill_count: 0
    .symbol:         _ZN7rocprim17ROCPRIM_400000_NS6detail17trampoline_kernelINS0_14default_configENS1_35adjacent_difference_config_selectorILb1EdEEZNS1_24adjacent_difference_implIS3_Lb1ELb0EPdS7_N6thrust23THRUST_200600_302600_NS5minusIdEEEE10hipError_tPvRmT2_T3_mT4_P12ihipStream_tbEUlT_E_NS1_11comp_targetILNS1_3genE8ELNS1_11target_archE1030ELNS1_3gpuE2ELNS1_3repE0EEENS1_30default_config_static_selectorELNS0_4arch9wavefront6targetE0EEEvT1_.kd
    .uniform_work_group_size: 1
    .uses_dynamic_stack: false
    .vgpr_count:     0
    .vgpr_spill_count: 0
    .wavefront_size: 32
    .workgroup_processor_mode: 1
  - .args:
      - .offset:         0
        .size:           56
        .value_kind:     by_value
    .group_segment_fixed_size: 0
    .kernarg_segment_align: 8
    .kernarg_segment_size: 56
    .language:       OpenCL C
    .language_version:
      - 2
      - 0
    .max_flat_workgroup_size: 128
    .name:           _ZN7rocprim17ROCPRIM_400000_NS6detail17trampoline_kernelINS0_14default_configENS1_35adjacent_difference_config_selectorILb0EdEEZNS1_24adjacent_difference_implIS3_Lb0ELb0EPdS7_N6thrust23THRUST_200600_302600_NS4plusIdEEEE10hipError_tPvRmT2_T3_mT4_P12ihipStream_tbEUlT_E_NS1_11comp_targetILNS1_3genE0ELNS1_11target_archE4294967295ELNS1_3gpuE0ELNS1_3repE0EEENS1_30default_config_static_selectorELNS0_4arch9wavefront6targetE0EEEvT1_
    .private_segment_fixed_size: 0
    .sgpr_count:     0
    .sgpr_spill_count: 0
    .symbol:         _ZN7rocprim17ROCPRIM_400000_NS6detail17trampoline_kernelINS0_14default_configENS1_35adjacent_difference_config_selectorILb0EdEEZNS1_24adjacent_difference_implIS3_Lb0ELb0EPdS7_N6thrust23THRUST_200600_302600_NS4plusIdEEEE10hipError_tPvRmT2_T3_mT4_P12ihipStream_tbEUlT_E_NS1_11comp_targetILNS1_3genE0ELNS1_11target_archE4294967295ELNS1_3gpuE0ELNS1_3repE0EEENS1_30default_config_static_selectorELNS0_4arch9wavefront6targetE0EEEvT1_.kd
    .uniform_work_group_size: 1
    .uses_dynamic_stack: false
    .vgpr_count:     0
    .vgpr_spill_count: 0
    .wavefront_size: 32
    .workgroup_processor_mode: 1
  - .args:
      - .offset:         0
        .size:           56
        .value_kind:     by_value
    .group_segment_fixed_size: 0
    .kernarg_segment_align: 8
    .kernarg_segment_size: 56
    .language:       OpenCL C
    .language_version:
      - 2
      - 0
    .max_flat_workgroup_size: 32
    .name:           _ZN7rocprim17ROCPRIM_400000_NS6detail17trampoline_kernelINS0_14default_configENS1_35adjacent_difference_config_selectorILb0EdEEZNS1_24adjacent_difference_implIS3_Lb0ELb0EPdS7_N6thrust23THRUST_200600_302600_NS4plusIdEEEE10hipError_tPvRmT2_T3_mT4_P12ihipStream_tbEUlT_E_NS1_11comp_targetILNS1_3genE10ELNS1_11target_archE1201ELNS1_3gpuE5ELNS1_3repE0EEENS1_30default_config_static_selectorELNS0_4arch9wavefront6targetE0EEEvT1_
    .private_segment_fixed_size: 0
    .sgpr_count:     0
    .sgpr_spill_count: 0
    .symbol:         _ZN7rocprim17ROCPRIM_400000_NS6detail17trampoline_kernelINS0_14default_configENS1_35adjacent_difference_config_selectorILb0EdEEZNS1_24adjacent_difference_implIS3_Lb0ELb0EPdS7_N6thrust23THRUST_200600_302600_NS4plusIdEEEE10hipError_tPvRmT2_T3_mT4_P12ihipStream_tbEUlT_E_NS1_11comp_targetILNS1_3genE10ELNS1_11target_archE1201ELNS1_3gpuE5ELNS1_3repE0EEENS1_30default_config_static_selectorELNS0_4arch9wavefront6targetE0EEEvT1_.kd
    .uniform_work_group_size: 1
    .uses_dynamic_stack: false
    .vgpr_count:     0
    .vgpr_spill_count: 0
    .wavefront_size: 32
    .workgroup_processor_mode: 1
  - .args:
      - .offset:         0
        .size:           56
        .value_kind:     by_value
    .group_segment_fixed_size: 0
    .kernarg_segment_align: 8
    .kernarg_segment_size: 56
    .language:       OpenCL C
    .language_version:
      - 2
      - 0
    .max_flat_workgroup_size: 64
    .name:           _ZN7rocprim17ROCPRIM_400000_NS6detail17trampoline_kernelINS0_14default_configENS1_35adjacent_difference_config_selectorILb0EdEEZNS1_24adjacent_difference_implIS3_Lb0ELb0EPdS7_N6thrust23THRUST_200600_302600_NS4plusIdEEEE10hipError_tPvRmT2_T3_mT4_P12ihipStream_tbEUlT_E_NS1_11comp_targetILNS1_3genE5ELNS1_11target_archE942ELNS1_3gpuE9ELNS1_3repE0EEENS1_30default_config_static_selectorELNS0_4arch9wavefront6targetE0EEEvT1_
    .private_segment_fixed_size: 0
    .sgpr_count:     0
    .sgpr_spill_count: 0
    .symbol:         _ZN7rocprim17ROCPRIM_400000_NS6detail17trampoline_kernelINS0_14default_configENS1_35adjacent_difference_config_selectorILb0EdEEZNS1_24adjacent_difference_implIS3_Lb0ELb0EPdS7_N6thrust23THRUST_200600_302600_NS4plusIdEEEE10hipError_tPvRmT2_T3_mT4_P12ihipStream_tbEUlT_E_NS1_11comp_targetILNS1_3genE5ELNS1_11target_archE942ELNS1_3gpuE9ELNS1_3repE0EEENS1_30default_config_static_selectorELNS0_4arch9wavefront6targetE0EEEvT1_.kd
    .uniform_work_group_size: 1
    .uses_dynamic_stack: false
    .vgpr_count:     0
    .vgpr_spill_count: 0
    .wavefront_size: 32
    .workgroup_processor_mode: 1
  - .args:
      - .offset:         0
        .size:           56
        .value_kind:     by_value
    .group_segment_fixed_size: 0
    .kernarg_segment_align: 8
    .kernarg_segment_size: 56
    .language:       OpenCL C
    .language_version:
      - 2
      - 0
    .max_flat_workgroup_size: 256
    .name:           _ZN7rocprim17ROCPRIM_400000_NS6detail17trampoline_kernelINS0_14default_configENS1_35adjacent_difference_config_selectorILb0EdEEZNS1_24adjacent_difference_implIS3_Lb0ELb0EPdS7_N6thrust23THRUST_200600_302600_NS4plusIdEEEE10hipError_tPvRmT2_T3_mT4_P12ihipStream_tbEUlT_E_NS1_11comp_targetILNS1_3genE4ELNS1_11target_archE910ELNS1_3gpuE8ELNS1_3repE0EEENS1_30default_config_static_selectorELNS0_4arch9wavefront6targetE0EEEvT1_
    .private_segment_fixed_size: 0
    .sgpr_count:     0
    .sgpr_spill_count: 0
    .symbol:         _ZN7rocprim17ROCPRIM_400000_NS6detail17trampoline_kernelINS0_14default_configENS1_35adjacent_difference_config_selectorILb0EdEEZNS1_24adjacent_difference_implIS3_Lb0ELb0EPdS7_N6thrust23THRUST_200600_302600_NS4plusIdEEEE10hipError_tPvRmT2_T3_mT4_P12ihipStream_tbEUlT_E_NS1_11comp_targetILNS1_3genE4ELNS1_11target_archE910ELNS1_3gpuE8ELNS1_3repE0EEENS1_30default_config_static_selectorELNS0_4arch9wavefront6targetE0EEEvT1_.kd
    .uniform_work_group_size: 1
    .uses_dynamic_stack: false
    .vgpr_count:     0
    .vgpr_spill_count: 0
    .wavefront_size: 32
    .workgroup_processor_mode: 1
  - .args:
      - .offset:         0
        .size:           56
        .value_kind:     by_value
    .group_segment_fixed_size: 0
    .kernarg_segment_align: 8
    .kernarg_segment_size: 56
    .language:       OpenCL C
    .language_version:
      - 2
      - 0
    .max_flat_workgroup_size: 128
    .name:           _ZN7rocprim17ROCPRIM_400000_NS6detail17trampoline_kernelINS0_14default_configENS1_35adjacent_difference_config_selectorILb0EdEEZNS1_24adjacent_difference_implIS3_Lb0ELb0EPdS7_N6thrust23THRUST_200600_302600_NS4plusIdEEEE10hipError_tPvRmT2_T3_mT4_P12ihipStream_tbEUlT_E_NS1_11comp_targetILNS1_3genE3ELNS1_11target_archE908ELNS1_3gpuE7ELNS1_3repE0EEENS1_30default_config_static_selectorELNS0_4arch9wavefront6targetE0EEEvT1_
    .private_segment_fixed_size: 0
    .sgpr_count:     0
    .sgpr_spill_count: 0
    .symbol:         _ZN7rocprim17ROCPRIM_400000_NS6detail17trampoline_kernelINS0_14default_configENS1_35adjacent_difference_config_selectorILb0EdEEZNS1_24adjacent_difference_implIS3_Lb0ELb0EPdS7_N6thrust23THRUST_200600_302600_NS4plusIdEEEE10hipError_tPvRmT2_T3_mT4_P12ihipStream_tbEUlT_E_NS1_11comp_targetILNS1_3genE3ELNS1_11target_archE908ELNS1_3gpuE7ELNS1_3repE0EEENS1_30default_config_static_selectorELNS0_4arch9wavefront6targetE0EEEvT1_.kd
    .uniform_work_group_size: 1
    .uses_dynamic_stack: false
    .vgpr_count:     0
    .vgpr_spill_count: 0
    .wavefront_size: 32
    .workgroup_processor_mode: 1
  - .args:
      - .offset:         0
        .size:           56
        .value_kind:     by_value
    .group_segment_fixed_size: 0
    .kernarg_segment_align: 8
    .kernarg_segment_size: 56
    .language:       OpenCL C
    .language_version:
      - 2
      - 0
    .max_flat_workgroup_size: 1024
    .name:           _ZN7rocprim17ROCPRIM_400000_NS6detail17trampoline_kernelINS0_14default_configENS1_35adjacent_difference_config_selectorILb0EdEEZNS1_24adjacent_difference_implIS3_Lb0ELb0EPdS7_N6thrust23THRUST_200600_302600_NS4plusIdEEEE10hipError_tPvRmT2_T3_mT4_P12ihipStream_tbEUlT_E_NS1_11comp_targetILNS1_3genE2ELNS1_11target_archE906ELNS1_3gpuE6ELNS1_3repE0EEENS1_30default_config_static_selectorELNS0_4arch9wavefront6targetE0EEEvT1_
    .private_segment_fixed_size: 0
    .sgpr_count:     0
    .sgpr_spill_count: 0
    .symbol:         _ZN7rocprim17ROCPRIM_400000_NS6detail17trampoline_kernelINS0_14default_configENS1_35adjacent_difference_config_selectorILb0EdEEZNS1_24adjacent_difference_implIS3_Lb0ELb0EPdS7_N6thrust23THRUST_200600_302600_NS4plusIdEEEE10hipError_tPvRmT2_T3_mT4_P12ihipStream_tbEUlT_E_NS1_11comp_targetILNS1_3genE2ELNS1_11target_archE906ELNS1_3gpuE6ELNS1_3repE0EEENS1_30default_config_static_selectorELNS0_4arch9wavefront6targetE0EEEvT1_.kd
    .uniform_work_group_size: 1
    .uses_dynamic_stack: false
    .vgpr_count:     0
    .vgpr_spill_count: 0
    .wavefront_size: 32
    .workgroup_processor_mode: 1
  - .args:
      - .offset:         0
        .size:           56
        .value_kind:     by_value
    .group_segment_fixed_size: 16896
    .kernarg_segment_align: 8
    .kernarg_segment_size: 56
    .language:       OpenCL C
    .language_version:
      - 2
      - 0
    .max_flat_workgroup_size: 1024
    .name:           _ZN7rocprim17ROCPRIM_400000_NS6detail17trampoline_kernelINS0_14default_configENS1_35adjacent_difference_config_selectorILb0EdEEZNS1_24adjacent_difference_implIS3_Lb0ELb0EPdS7_N6thrust23THRUST_200600_302600_NS4plusIdEEEE10hipError_tPvRmT2_T3_mT4_P12ihipStream_tbEUlT_E_NS1_11comp_targetILNS1_3genE9ELNS1_11target_archE1100ELNS1_3gpuE3ELNS1_3repE0EEENS1_30default_config_static_selectorELNS0_4arch9wavefront6targetE0EEEvT1_
    .private_segment_fixed_size: 0
    .sgpr_count:     21
    .sgpr_spill_count: 0
    .symbol:         _ZN7rocprim17ROCPRIM_400000_NS6detail17trampoline_kernelINS0_14default_configENS1_35adjacent_difference_config_selectorILb0EdEEZNS1_24adjacent_difference_implIS3_Lb0ELb0EPdS7_N6thrust23THRUST_200600_302600_NS4plusIdEEEE10hipError_tPvRmT2_T3_mT4_P12ihipStream_tbEUlT_E_NS1_11comp_targetILNS1_3genE9ELNS1_11target_archE1100ELNS1_3gpuE3ELNS1_3repE0EEENS1_30default_config_static_selectorELNS0_4arch9wavefront6targetE0EEEvT1_.kd
    .uniform_work_group_size: 1
    .uses_dynamic_stack: false
    .vgpr_count:     15
    .vgpr_spill_count: 0
    .wavefront_size: 32
    .workgroup_processor_mode: 1
  - .args:
      - .offset:         0
        .size:           56
        .value_kind:     by_value
    .group_segment_fixed_size: 0
    .kernarg_segment_align: 8
    .kernarg_segment_size: 56
    .language:       OpenCL C
    .language_version:
      - 2
      - 0
    .max_flat_workgroup_size: 1024
    .name:           _ZN7rocprim17ROCPRIM_400000_NS6detail17trampoline_kernelINS0_14default_configENS1_35adjacent_difference_config_selectorILb0EdEEZNS1_24adjacent_difference_implIS3_Lb0ELb0EPdS7_N6thrust23THRUST_200600_302600_NS4plusIdEEEE10hipError_tPvRmT2_T3_mT4_P12ihipStream_tbEUlT_E_NS1_11comp_targetILNS1_3genE8ELNS1_11target_archE1030ELNS1_3gpuE2ELNS1_3repE0EEENS1_30default_config_static_selectorELNS0_4arch9wavefront6targetE0EEEvT1_
    .private_segment_fixed_size: 0
    .sgpr_count:     0
    .sgpr_spill_count: 0
    .symbol:         _ZN7rocprim17ROCPRIM_400000_NS6detail17trampoline_kernelINS0_14default_configENS1_35adjacent_difference_config_selectorILb0EdEEZNS1_24adjacent_difference_implIS3_Lb0ELb0EPdS7_N6thrust23THRUST_200600_302600_NS4plusIdEEEE10hipError_tPvRmT2_T3_mT4_P12ihipStream_tbEUlT_E_NS1_11comp_targetILNS1_3genE8ELNS1_11target_archE1030ELNS1_3gpuE2ELNS1_3repE0EEENS1_30default_config_static_selectorELNS0_4arch9wavefront6targetE0EEEvT1_.kd
    .uniform_work_group_size: 1
    .uses_dynamic_stack: false
    .vgpr_count:     0
    .vgpr_spill_count: 0
    .wavefront_size: 32
    .workgroup_processor_mode: 1
  - .args:
      - .offset:         0
        .size:           56
        .value_kind:     by_value
    .group_segment_fixed_size: 0
    .kernarg_segment_align: 8
    .kernarg_segment_size: 56
    .language:       OpenCL C
    .language_version:
      - 2
      - 0
    .max_flat_workgroup_size: 128
    .name:           _ZN7rocprim17ROCPRIM_400000_NS6detail17trampoline_kernelINS0_14default_configENS1_25transform_config_selectorIdLb0EEEZNS1_14transform_implILb0ES3_S5_NS0_18transform_iteratorINS0_17counting_iteratorImlEEZNS1_24adjacent_difference_implIS3_Lb1ELb0EPdSB_N6thrust23THRUST_200600_302600_NS4plusIdEEEE10hipError_tPvRmT2_T3_mT4_P12ihipStream_tbEUlmE_dEESB_NS0_8identityIvEEEESG_SJ_SK_mSL_SN_bEUlT_E_NS1_11comp_targetILNS1_3genE0ELNS1_11target_archE4294967295ELNS1_3gpuE0ELNS1_3repE0EEENS1_30default_config_static_selectorELNS0_4arch9wavefront6targetE0EEEvT1_
    .private_segment_fixed_size: 0
    .sgpr_count:     0
    .sgpr_spill_count: 0
    .symbol:         _ZN7rocprim17ROCPRIM_400000_NS6detail17trampoline_kernelINS0_14default_configENS1_25transform_config_selectorIdLb0EEEZNS1_14transform_implILb0ES3_S5_NS0_18transform_iteratorINS0_17counting_iteratorImlEEZNS1_24adjacent_difference_implIS3_Lb1ELb0EPdSB_N6thrust23THRUST_200600_302600_NS4plusIdEEEE10hipError_tPvRmT2_T3_mT4_P12ihipStream_tbEUlmE_dEESB_NS0_8identityIvEEEESG_SJ_SK_mSL_SN_bEUlT_E_NS1_11comp_targetILNS1_3genE0ELNS1_11target_archE4294967295ELNS1_3gpuE0ELNS1_3repE0EEENS1_30default_config_static_selectorELNS0_4arch9wavefront6targetE0EEEvT1_.kd
    .uniform_work_group_size: 1
    .uses_dynamic_stack: false
    .vgpr_count:     0
    .vgpr_spill_count: 0
    .wavefront_size: 32
    .workgroup_processor_mode: 1
  - .args:
      - .offset:         0
        .size:           56
        .value_kind:     by_value
    .group_segment_fixed_size: 0
    .kernarg_segment_align: 8
    .kernarg_segment_size: 56
    .language:       OpenCL C
    .language_version:
      - 2
      - 0
    .max_flat_workgroup_size: 512
    .name:           _ZN7rocprim17ROCPRIM_400000_NS6detail17trampoline_kernelINS0_14default_configENS1_25transform_config_selectorIdLb0EEEZNS1_14transform_implILb0ES3_S5_NS0_18transform_iteratorINS0_17counting_iteratorImlEEZNS1_24adjacent_difference_implIS3_Lb1ELb0EPdSB_N6thrust23THRUST_200600_302600_NS4plusIdEEEE10hipError_tPvRmT2_T3_mT4_P12ihipStream_tbEUlmE_dEESB_NS0_8identityIvEEEESG_SJ_SK_mSL_SN_bEUlT_E_NS1_11comp_targetILNS1_3genE5ELNS1_11target_archE942ELNS1_3gpuE9ELNS1_3repE0EEENS1_30default_config_static_selectorELNS0_4arch9wavefront6targetE0EEEvT1_
    .private_segment_fixed_size: 0
    .sgpr_count:     0
    .sgpr_spill_count: 0
    .symbol:         _ZN7rocprim17ROCPRIM_400000_NS6detail17trampoline_kernelINS0_14default_configENS1_25transform_config_selectorIdLb0EEEZNS1_14transform_implILb0ES3_S5_NS0_18transform_iteratorINS0_17counting_iteratorImlEEZNS1_24adjacent_difference_implIS3_Lb1ELb0EPdSB_N6thrust23THRUST_200600_302600_NS4plusIdEEEE10hipError_tPvRmT2_T3_mT4_P12ihipStream_tbEUlmE_dEESB_NS0_8identityIvEEEESG_SJ_SK_mSL_SN_bEUlT_E_NS1_11comp_targetILNS1_3genE5ELNS1_11target_archE942ELNS1_3gpuE9ELNS1_3repE0EEENS1_30default_config_static_selectorELNS0_4arch9wavefront6targetE0EEEvT1_.kd
    .uniform_work_group_size: 1
    .uses_dynamic_stack: false
    .vgpr_count:     0
    .vgpr_spill_count: 0
    .wavefront_size: 32
    .workgroup_processor_mode: 1
  - .args:
      - .offset:         0
        .size:           56
        .value_kind:     by_value
    .group_segment_fixed_size: 0
    .kernarg_segment_align: 8
    .kernarg_segment_size: 56
    .language:       OpenCL C
    .language_version:
      - 2
      - 0
    .max_flat_workgroup_size: 256
    .name:           _ZN7rocprim17ROCPRIM_400000_NS6detail17trampoline_kernelINS0_14default_configENS1_25transform_config_selectorIdLb0EEEZNS1_14transform_implILb0ES3_S5_NS0_18transform_iteratorINS0_17counting_iteratorImlEEZNS1_24adjacent_difference_implIS3_Lb1ELb0EPdSB_N6thrust23THRUST_200600_302600_NS4plusIdEEEE10hipError_tPvRmT2_T3_mT4_P12ihipStream_tbEUlmE_dEESB_NS0_8identityIvEEEESG_SJ_SK_mSL_SN_bEUlT_E_NS1_11comp_targetILNS1_3genE4ELNS1_11target_archE910ELNS1_3gpuE8ELNS1_3repE0EEENS1_30default_config_static_selectorELNS0_4arch9wavefront6targetE0EEEvT1_
    .private_segment_fixed_size: 0
    .sgpr_count:     0
    .sgpr_spill_count: 0
    .symbol:         _ZN7rocprim17ROCPRIM_400000_NS6detail17trampoline_kernelINS0_14default_configENS1_25transform_config_selectorIdLb0EEEZNS1_14transform_implILb0ES3_S5_NS0_18transform_iteratorINS0_17counting_iteratorImlEEZNS1_24adjacent_difference_implIS3_Lb1ELb0EPdSB_N6thrust23THRUST_200600_302600_NS4plusIdEEEE10hipError_tPvRmT2_T3_mT4_P12ihipStream_tbEUlmE_dEESB_NS0_8identityIvEEEESG_SJ_SK_mSL_SN_bEUlT_E_NS1_11comp_targetILNS1_3genE4ELNS1_11target_archE910ELNS1_3gpuE8ELNS1_3repE0EEENS1_30default_config_static_selectorELNS0_4arch9wavefront6targetE0EEEvT1_.kd
    .uniform_work_group_size: 1
    .uses_dynamic_stack: false
    .vgpr_count:     0
    .vgpr_spill_count: 0
    .wavefront_size: 32
    .workgroup_processor_mode: 1
  - .args:
      - .offset:         0
        .size:           56
        .value_kind:     by_value
    .group_segment_fixed_size: 0
    .kernarg_segment_align: 8
    .kernarg_segment_size: 56
    .language:       OpenCL C
    .language_version:
      - 2
      - 0
    .max_flat_workgroup_size: 128
    .name:           _ZN7rocprim17ROCPRIM_400000_NS6detail17trampoline_kernelINS0_14default_configENS1_25transform_config_selectorIdLb0EEEZNS1_14transform_implILb0ES3_S5_NS0_18transform_iteratorINS0_17counting_iteratorImlEEZNS1_24adjacent_difference_implIS3_Lb1ELb0EPdSB_N6thrust23THRUST_200600_302600_NS4plusIdEEEE10hipError_tPvRmT2_T3_mT4_P12ihipStream_tbEUlmE_dEESB_NS0_8identityIvEEEESG_SJ_SK_mSL_SN_bEUlT_E_NS1_11comp_targetILNS1_3genE3ELNS1_11target_archE908ELNS1_3gpuE7ELNS1_3repE0EEENS1_30default_config_static_selectorELNS0_4arch9wavefront6targetE0EEEvT1_
    .private_segment_fixed_size: 0
    .sgpr_count:     0
    .sgpr_spill_count: 0
    .symbol:         _ZN7rocprim17ROCPRIM_400000_NS6detail17trampoline_kernelINS0_14default_configENS1_25transform_config_selectorIdLb0EEEZNS1_14transform_implILb0ES3_S5_NS0_18transform_iteratorINS0_17counting_iteratorImlEEZNS1_24adjacent_difference_implIS3_Lb1ELb0EPdSB_N6thrust23THRUST_200600_302600_NS4plusIdEEEE10hipError_tPvRmT2_T3_mT4_P12ihipStream_tbEUlmE_dEESB_NS0_8identityIvEEEESG_SJ_SK_mSL_SN_bEUlT_E_NS1_11comp_targetILNS1_3genE3ELNS1_11target_archE908ELNS1_3gpuE7ELNS1_3repE0EEENS1_30default_config_static_selectorELNS0_4arch9wavefront6targetE0EEEvT1_.kd
    .uniform_work_group_size: 1
    .uses_dynamic_stack: false
    .vgpr_count:     0
    .vgpr_spill_count: 0
    .wavefront_size: 32
    .workgroup_processor_mode: 1
  - .args:
      - .offset:         0
        .size:           56
        .value_kind:     by_value
    .group_segment_fixed_size: 0
    .kernarg_segment_align: 8
    .kernarg_segment_size: 56
    .language:       OpenCL C
    .language_version:
      - 2
      - 0
    .max_flat_workgroup_size: 1024
    .name:           _ZN7rocprim17ROCPRIM_400000_NS6detail17trampoline_kernelINS0_14default_configENS1_25transform_config_selectorIdLb0EEEZNS1_14transform_implILb0ES3_S5_NS0_18transform_iteratorINS0_17counting_iteratorImlEEZNS1_24adjacent_difference_implIS3_Lb1ELb0EPdSB_N6thrust23THRUST_200600_302600_NS4plusIdEEEE10hipError_tPvRmT2_T3_mT4_P12ihipStream_tbEUlmE_dEESB_NS0_8identityIvEEEESG_SJ_SK_mSL_SN_bEUlT_E_NS1_11comp_targetILNS1_3genE2ELNS1_11target_archE906ELNS1_3gpuE6ELNS1_3repE0EEENS1_30default_config_static_selectorELNS0_4arch9wavefront6targetE0EEEvT1_
    .private_segment_fixed_size: 0
    .sgpr_count:     0
    .sgpr_spill_count: 0
    .symbol:         _ZN7rocprim17ROCPRIM_400000_NS6detail17trampoline_kernelINS0_14default_configENS1_25transform_config_selectorIdLb0EEEZNS1_14transform_implILb0ES3_S5_NS0_18transform_iteratorINS0_17counting_iteratorImlEEZNS1_24adjacent_difference_implIS3_Lb1ELb0EPdSB_N6thrust23THRUST_200600_302600_NS4plusIdEEEE10hipError_tPvRmT2_T3_mT4_P12ihipStream_tbEUlmE_dEESB_NS0_8identityIvEEEESG_SJ_SK_mSL_SN_bEUlT_E_NS1_11comp_targetILNS1_3genE2ELNS1_11target_archE906ELNS1_3gpuE6ELNS1_3repE0EEENS1_30default_config_static_selectorELNS0_4arch9wavefront6targetE0EEEvT1_.kd
    .uniform_work_group_size: 1
    .uses_dynamic_stack: false
    .vgpr_count:     0
    .vgpr_spill_count: 0
    .wavefront_size: 32
    .workgroup_processor_mode: 1
  - .args:
      - .offset:         0
        .size:           56
        .value_kind:     by_value
    .group_segment_fixed_size: 0
    .kernarg_segment_align: 8
    .kernarg_segment_size: 56
    .language:       OpenCL C
    .language_version:
      - 2
      - 0
    .max_flat_workgroup_size: 64
    .name:           _ZN7rocprim17ROCPRIM_400000_NS6detail17trampoline_kernelINS0_14default_configENS1_25transform_config_selectorIdLb0EEEZNS1_14transform_implILb0ES3_S5_NS0_18transform_iteratorINS0_17counting_iteratorImlEEZNS1_24adjacent_difference_implIS3_Lb1ELb0EPdSB_N6thrust23THRUST_200600_302600_NS4plusIdEEEE10hipError_tPvRmT2_T3_mT4_P12ihipStream_tbEUlmE_dEESB_NS0_8identityIvEEEESG_SJ_SK_mSL_SN_bEUlT_E_NS1_11comp_targetILNS1_3genE10ELNS1_11target_archE1201ELNS1_3gpuE5ELNS1_3repE0EEENS1_30default_config_static_selectorELNS0_4arch9wavefront6targetE0EEEvT1_
    .private_segment_fixed_size: 0
    .sgpr_count:     0
    .sgpr_spill_count: 0
    .symbol:         _ZN7rocprim17ROCPRIM_400000_NS6detail17trampoline_kernelINS0_14default_configENS1_25transform_config_selectorIdLb0EEEZNS1_14transform_implILb0ES3_S5_NS0_18transform_iteratorINS0_17counting_iteratorImlEEZNS1_24adjacent_difference_implIS3_Lb1ELb0EPdSB_N6thrust23THRUST_200600_302600_NS4plusIdEEEE10hipError_tPvRmT2_T3_mT4_P12ihipStream_tbEUlmE_dEESB_NS0_8identityIvEEEESG_SJ_SK_mSL_SN_bEUlT_E_NS1_11comp_targetILNS1_3genE10ELNS1_11target_archE1201ELNS1_3gpuE5ELNS1_3repE0EEENS1_30default_config_static_selectorELNS0_4arch9wavefront6targetE0EEEvT1_.kd
    .uniform_work_group_size: 1
    .uses_dynamic_stack: false
    .vgpr_count:     0
    .vgpr_spill_count: 0
    .wavefront_size: 32
    .workgroup_processor_mode: 1
  - .args:
      - .offset:         0
        .size:           56
        .value_kind:     by_value
    .group_segment_fixed_size: 0
    .kernarg_segment_align: 8
    .kernarg_segment_size: 56
    .language:       OpenCL C
    .language_version:
      - 2
      - 0
    .max_flat_workgroup_size: 512
    .name:           _ZN7rocprim17ROCPRIM_400000_NS6detail17trampoline_kernelINS0_14default_configENS1_25transform_config_selectorIdLb0EEEZNS1_14transform_implILb0ES3_S5_NS0_18transform_iteratorINS0_17counting_iteratorImlEEZNS1_24adjacent_difference_implIS3_Lb1ELb0EPdSB_N6thrust23THRUST_200600_302600_NS4plusIdEEEE10hipError_tPvRmT2_T3_mT4_P12ihipStream_tbEUlmE_dEESB_NS0_8identityIvEEEESG_SJ_SK_mSL_SN_bEUlT_E_NS1_11comp_targetILNS1_3genE10ELNS1_11target_archE1200ELNS1_3gpuE4ELNS1_3repE0EEENS1_30default_config_static_selectorELNS0_4arch9wavefront6targetE0EEEvT1_
    .private_segment_fixed_size: 0
    .sgpr_count:     0
    .sgpr_spill_count: 0
    .symbol:         _ZN7rocprim17ROCPRIM_400000_NS6detail17trampoline_kernelINS0_14default_configENS1_25transform_config_selectorIdLb0EEEZNS1_14transform_implILb0ES3_S5_NS0_18transform_iteratorINS0_17counting_iteratorImlEEZNS1_24adjacent_difference_implIS3_Lb1ELb0EPdSB_N6thrust23THRUST_200600_302600_NS4plusIdEEEE10hipError_tPvRmT2_T3_mT4_P12ihipStream_tbEUlmE_dEESB_NS0_8identityIvEEEESG_SJ_SK_mSL_SN_bEUlT_E_NS1_11comp_targetILNS1_3genE10ELNS1_11target_archE1200ELNS1_3gpuE4ELNS1_3repE0EEENS1_30default_config_static_selectorELNS0_4arch9wavefront6targetE0EEEvT1_.kd
    .uniform_work_group_size: 1
    .uses_dynamic_stack: false
    .vgpr_count:     0
    .vgpr_spill_count: 0
    .wavefront_size: 32
    .workgroup_processor_mode: 1
  - .args:
      - .offset:         0
        .size:           56
        .value_kind:     by_value
      - .offset:         56
        .size:           4
        .value_kind:     hidden_block_count_x
      - .offset:         60
        .size:           4
        .value_kind:     hidden_block_count_y
      - .offset:         64
        .size:           4
        .value_kind:     hidden_block_count_z
      - .offset:         68
        .size:           2
        .value_kind:     hidden_group_size_x
      - .offset:         70
        .size:           2
        .value_kind:     hidden_group_size_y
      - .offset:         72
        .size:           2
        .value_kind:     hidden_group_size_z
      - .offset:         74
        .size:           2
        .value_kind:     hidden_remainder_x
      - .offset:         76
        .size:           2
        .value_kind:     hidden_remainder_y
      - .offset:         78
        .size:           2
        .value_kind:     hidden_remainder_z
      - .offset:         96
        .size:           8
        .value_kind:     hidden_global_offset_x
      - .offset:         104
        .size:           8
        .value_kind:     hidden_global_offset_y
      - .offset:         112
        .size:           8
        .value_kind:     hidden_global_offset_z
      - .offset:         120
        .size:           2
        .value_kind:     hidden_grid_dims
    .group_segment_fixed_size: 0
    .kernarg_segment_align: 8
    .kernarg_segment_size: 312
    .language:       OpenCL C
    .language_version:
      - 2
      - 0
    .max_flat_workgroup_size: 512
    .name:           _ZN7rocprim17ROCPRIM_400000_NS6detail17trampoline_kernelINS0_14default_configENS1_25transform_config_selectorIdLb0EEEZNS1_14transform_implILb0ES3_S5_NS0_18transform_iteratorINS0_17counting_iteratorImlEEZNS1_24adjacent_difference_implIS3_Lb1ELb0EPdSB_N6thrust23THRUST_200600_302600_NS4plusIdEEEE10hipError_tPvRmT2_T3_mT4_P12ihipStream_tbEUlmE_dEESB_NS0_8identityIvEEEESG_SJ_SK_mSL_SN_bEUlT_E_NS1_11comp_targetILNS1_3genE9ELNS1_11target_archE1100ELNS1_3gpuE3ELNS1_3repE0EEENS1_30default_config_static_selectorELNS0_4arch9wavefront6targetE0EEEvT1_
    .private_segment_fixed_size: 0
    .sgpr_count:     18
    .sgpr_spill_count: 0
    .symbol:         _ZN7rocprim17ROCPRIM_400000_NS6detail17trampoline_kernelINS0_14default_configENS1_25transform_config_selectorIdLb0EEEZNS1_14transform_implILb0ES3_S5_NS0_18transform_iteratorINS0_17counting_iteratorImlEEZNS1_24adjacent_difference_implIS3_Lb1ELb0EPdSB_N6thrust23THRUST_200600_302600_NS4plusIdEEEE10hipError_tPvRmT2_T3_mT4_P12ihipStream_tbEUlmE_dEESB_NS0_8identityIvEEEESG_SJ_SK_mSL_SN_bEUlT_E_NS1_11comp_targetILNS1_3genE9ELNS1_11target_archE1100ELNS1_3gpuE3ELNS1_3repE0EEENS1_30default_config_static_selectorELNS0_4arch9wavefront6targetE0EEEvT1_.kd
    .uniform_work_group_size: 1
    .uses_dynamic_stack: false
    .vgpr_count:     6
    .vgpr_spill_count: 0
    .wavefront_size: 32
    .workgroup_processor_mode: 1
  - .args:
      - .offset:         0
        .size:           56
        .value_kind:     by_value
    .group_segment_fixed_size: 0
    .kernarg_segment_align: 8
    .kernarg_segment_size: 56
    .language:       OpenCL C
    .language_version:
      - 2
      - 0
    .max_flat_workgroup_size: 512
    .name:           _ZN7rocprim17ROCPRIM_400000_NS6detail17trampoline_kernelINS0_14default_configENS1_25transform_config_selectorIdLb0EEEZNS1_14transform_implILb0ES3_S5_NS0_18transform_iteratorINS0_17counting_iteratorImlEEZNS1_24adjacent_difference_implIS3_Lb1ELb0EPdSB_N6thrust23THRUST_200600_302600_NS4plusIdEEEE10hipError_tPvRmT2_T3_mT4_P12ihipStream_tbEUlmE_dEESB_NS0_8identityIvEEEESG_SJ_SK_mSL_SN_bEUlT_E_NS1_11comp_targetILNS1_3genE8ELNS1_11target_archE1030ELNS1_3gpuE2ELNS1_3repE0EEENS1_30default_config_static_selectorELNS0_4arch9wavefront6targetE0EEEvT1_
    .private_segment_fixed_size: 0
    .sgpr_count:     0
    .sgpr_spill_count: 0
    .symbol:         _ZN7rocprim17ROCPRIM_400000_NS6detail17trampoline_kernelINS0_14default_configENS1_25transform_config_selectorIdLb0EEEZNS1_14transform_implILb0ES3_S5_NS0_18transform_iteratorINS0_17counting_iteratorImlEEZNS1_24adjacent_difference_implIS3_Lb1ELb0EPdSB_N6thrust23THRUST_200600_302600_NS4plusIdEEEE10hipError_tPvRmT2_T3_mT4_P12ihipStream_tbEUlmE_dEESB_NS0_8identityIvEEEESG_SJ_SK_mSL_SN_bEUlT_E_NS1_11comp_targetILNS1_3genE8ELNS1_11target_archE1030ELNS1_3gpuE2ELNS1_3repE0EEENS1_30default_config_static_selectorELNS0_4arch9wavefront6targetE0EEEvT1_.kd
    .uniform_work_group_size: 1
    .uses_dynamic_stack: false
    .vgpr_count:     0
    .vgpr_spill_count: 0
    .wavefront_size: 32
    .workgroup_processor_mode: 1
  - .args:
      - .offset:         0
        .size:           56
        .value_kind:     by_value
    .group_segment_fixed_size: 0
    .kernarg_segment_align: 8
    .kernarg_segment_size: 56
    .language:       OpenCL C
    .language_version:
      - 2
      - 0
    .max_flat_workgroup_size: 512
    .name:           _ZN7rocprim17ROCPRIM_400000_NS6detail17trampoline_kernelINS0_14default_configENS1_35adjacent_difference_config_selectorILb1EdEEZNS1_24adjacent_difference_implIS3_Lb1ELb0EPdS7_N6thrust23THRUST_200600_302600_NS4plusIdEEEE10hipError_tPvRmT2_T3_mT4_P12ihipStream_tbEUlT_E_NS1_11comp_targetILNS1_3genE0ELNS1_11target_archE4294967295ELNS1_3gpuE0ELNS1_3repE0EEENS1_30default_config_static_selectorELNS0_4arch9wavefront6targetE0EEEvT1_
    .private_segment_fixed_size: 0
    .sgpr_count:     0
    .sgpr_spill_count: 0
    .symbol:         _ZN7rocprim17ROCPRIM_400000_NS6detail17trampoline_kernelINS0_14default_configENS1_35adjacent_difference_config_selectorILb1EdEEZNS1_24adjacent_difference_implIS3_Lb1ELb0EPdS7_N6thrust23THRUST_200600_302600_NS4plusIdEEEE10hipError_tPvRmT2_T3_mT4_P12ihipStream_tbEUlT_E_NS1_11comp_targetILNS1_3genE0ELNS1_11target_archE4294967295ELNS1_3gpuE0ELNS1_3repE0EEENS1_30default_config_static_selectorELNS0_4arch9wavefront6targetE0EEEvT1_.kd
    .uniform_work_group_size: 1
    .uses_dynamic_stack: false
    .vgpr_count:     0
    .vgpr_spill_count: 0
    .wavefront_size: 32
    .workgroup_processor_mode: 1
  - .args:
      - .offset:         0
        .size:           56
        .value_kind:     by_value
    .group_segment_fixed_size: 0
    .kernarg_segment_align: 8
    .kernarg_segment_size: 56
    .language:       OpenCL C
    .language_version:
      - 2
      - 0
    .max_flat_workgroup_size: 256
    .name:           _ZN7rocprim17ROCPRIM_400000_NS6detail17trampoline_kernelINS0_14default_configENS1_35adjacent_difference_config_selectorILb1EdEEZNS1_24adjacent_difference_implIS3_Lb1ELb0EPdS7_N6thrust23THRUST_200600_302600_NS4plusIdEEEE10hipError_tPvRmT2_T3_mT4_P12ihipStream_tbEUlT_E_NS1_11comp_targetILNS1_3genE10ELNS1_11target_archE1201ELNS1_3gpuE5ELNS1_3repE0EEENS1_30default_config_static_selectorELNS0_4arch9wavefront6targetE0EEEvT1_
    .private_segment_fixed_size: 0
    .sgpr_count:     0
    .sgpr_spill_count: 0
    .symbol:         _ZN7rocprim17ROCPRIM_400000_NS6detail17trampoline_kernelINS0_14default_configENS1_35adjacent_difference_config_selectorILb1EdEEZNS1_24adjacent_difference_implIS3_Lb1ELb0EPdS7_N6thrust23THRUST_200600_302600_NS4plusIdEEEE10hipError_tPvRmT2_T3_mT4_P12ihipStream_tbEUlT_E_NS1_11comp_targetILNS1_3genE10ELNS1_11target_archE1201ELNS1_3gpuE5ELNS1_3repE0EEENS1_30default_config_static_selectorELNS0_4arch9wavefront6targetE0EEEvT1_.kd
    .uniform_work_group_size: 1
    .uses_dynamic_stack: false
    .vgpr_count:     0
    .vgpr_spill_count: 0
    .wavefront_size: 32
    .workgroup_processor_mode: 1
  - .args:
      - .offset:         0
        .size:           56
        .value_kind:     by_value
    .group_segment_fixed_size: 0
    .kernarg_segment_align: 8
    .kernarg_segment_size: 56
    .language:       OpenCL C
    .language_version:
      - 2
      - 0
    .max_flat_workgroup_size: 128
    .name:           _ZN7rocprim17ROCPRIM_400000_NS6detail17trampoline_kernelINS0_14default_configENS1_35adjacent_difference_config_selectorILb1EdEEZNS1_24adjacent_difference_implIS3_Lb1ELb0EPdS7_N6thrust23THRUST_200600_302600_NS4plusIdEEEE10hipError_tPvRmT2_T3_mT4_P12ihipStream_tbEUlT_E_NS1_11comp_targetILNS1_3genE5ELNS1_11target_archE942ELNS1_3gpuE9ELNS1_3repE0EEENS1_30default_config_static_selectorELNS0_4arch9wavefront6targetE0EEEvT1_
    .private_segment_fixed_size: 0
    .sgpr_count:     0
    .sgpr_spill_count: 0
    .symbol:         _ZN7rocprim17ROCPRIM_400000_NS6detail17trampoline_kernelINS0_14default_configENS1_35adjacent_difference_config_selectorILb1EdEEZNS1_24adjacent_difference_implIS3_Lb1ELb0EPdS7_N6thrust23THRUST_200600_302600_NS4plusIdEEEE10hipError_tPvRmT2_T3_mT4_P12ihipStream_tbEUlT_E_NS1_11comp_targetILNS1_3genE5ELNS1_11target_archE942ELNS1_3gpuE9ELNS1_3repE0EEENS1_30default_config_static_selectorELNS0_4arch9wavefront6targetE0EEEvT1_.kd
    .uniform_work_group_size: 1
    .uses_dynamic_stack: false
    .vgpr_count:     0
    .vgpr_spill_count: 0
    .wavefront_size: 32
    .workgroup_processor_mode: 1
  - .args:
      - .offset:         0
        .size:           56
        .value_kind:     by_value
    .group_segment_fixed_size: 0
    .kernarg_segment_align: 8
    .kernarg_segment_size: 56
    .language:       OpenCL C
    .language_version:
      - 2
      - 0
    .max_flat_workgroup_size: 512
    .name:           _ZN7rocprim17ROCPRIM_400000_NS6detail17trampoline_kernelINS0_14default_configENS1_35adjacent_difference_config_selectorILb1EdEEZNS1_24adjacent_difference_implIS3_Lb1ELb0EPdS7_N6thrust23THRUST_200600_302600_NS4plusIdEEEE10hipError_tPvRmT2_T3_mT4_P12ihipStream_tbEUlT_E_NS1_11comp_targetILNS1_3genE4ELNS1_11target_archE910ELNS1_3gpuE8ELNS1_3repE0EEENS1_30default_config_static_selectorELNS0_4arch9wavefront6targetE0EEEvT1_
    .private_segment_fixed_size: 0
    .sgpr_count:     0
    .sgpr_spill_count: 0
    .symbol:         _ZN7rocprim17ROCPRIM_400000_NS6detail17trampoline_kernelINS0_14default_configENS1_35adjacent_difference_config_selectorILb1EdEEZNS1_24adjacent_difference_implIS3_Lb1ELb0EPdS7_N6thrust23THRUST_200600_302600_NS4plusIdEEEE10hipError_tPvRmT2_T3_mT4_P12ihipStream_tbEUlT_E_NS1_11comp_targetILNS1_3genE4ELNS1_11target_archE910ELNS1_3gpuE8ELNS1_3repE0EEENS1_30default_config_static_selectorELNS0_4arch9wavefront6targetE0EEEvT1_.kd
    .uniform_work_group_size: 1
    .uses_dynamic_stack: false
    .vgpr_count:     0
    .vgpr_spill_count: 0
    .wavefront_size: 32
    .workgroup_processor_mode: 1
  - .args:
      - .offset:         0
        .size:           56
        .value_kind:     by_value
    .group_segment_fixed_size: 0
    .kernarg_segment_align: 8
    .kernarg_segment_size: 56
    .language:       OpenCL C
    .language_version:
      - 2
      - 0
    .max_flat_workgroup_size: 512
    .name:           _ZN7rocprim17ROCPRIM_400000_NS6detail17trampoline_kernelINS0_14default_configENS1_35adjacent_difference_config_selectorILb1EdEEZNS1_24adjacent_difference_implIS3_Lb1ELb0EPdS7_N6thrust23THRUST_200600_302600_NS4plusIdEEEE10hipError_tPvRmT2_T3_mT4_P12ihipStream_tbEUlT_E_NS1_11comp_targetILNS1_3genE3ELNS1_11target_archE908ELNS1_3gpuE7ELNS1_3repE0EEENS1_30default_config_static_selectorELNS0_4arch9wavefront6targetE0EEEvT1_
    .private_segment_fixed_size: 0
    .sgpr_count:     0
    .sgpr_spill_count: 0
    .symbol:         _ZN7rocprim17ROCPRIM_400000_NS6detail17trampoline_kernelINS0_14default_configENS1_35adjacent_difference_config_selectorILb1EdEEZNS1_24adjacent_difference_implIS3_Lb1ELb0EPdS7_N6thrust23THRUST_200600_302600_NS4plusIdEEEE10hipError_tPvRmT2_T3_mT4_P12ihipStream_tbEUlT_E_NS1_11comp_targetILNS1_3genE3ELNS1_11target_archE908ELNS1_3gpuE7ELNS1_3repE0EEENS1_30default_config_static_selectorELNS0_4arch9wavefront6targetE0EEEvT1_.kd
    .uniform_work_group_size: 1
    .uses_dynamic_stack: false
    .vgpr_count:     0
    .vgpr_spill_count: 0
    .wavefront_size: 32
    .workgroup_processor_mode: 1
  - .args:
      - .offset:         0
        .size:           56
        .value_kind:     by_value
    .group_segment_fixed_size: 0
    .kernarg_segment_align: 8
    .kernarg_segment_size: 56
    .language:       OpenCL C
    .language_version:
      - 2
      - 0
    .max_flat_workgroup_size: 128
    .name:           _ZN7rocprim17ROCPRIM_400000_NS6detail17trampoline_kernelINS0_14default_configENS1_35adjacent_difference_config_selectorILb1EdEEZNS1_24adjacent_difference_implIS3_Lb1ELb0EPdS7_N6thrust23THRUST_200600_302600_NS4plusIdEEEE10hipError_tPvRmT2_T3_mT4_P12ihipStream_tbEUlT_E_NS1_11comp_targetILNS1_3genE2ELNS1_11target_archE906ELNS1_3gpuE6ELNS1_3repE0EEENS1_30default_config_static_selectorELNS0_4arch9wavefront6targetE0EEEvT1_
    .private_segment_fixed_size: 0
    .sgpr_count:     0
    .sgpr_spill_count: 0
    .symbol:         _ZN7rocprim17ROCPRIM_400000_NS6detail17trampoline_kernelINS0_14default_configENS1_35adjacent_difference_config_selectorILb1EdEEZNS1_24adjacent_difference_implIS3_Lb1ELb0EPdS7_N6thrust23THRUST_200600_302600_NS4plusIdEEEE10hipError_tPvRmT2_T3_mT4_P12ihipStream_tbEUlT_E_NS1_11comp_targetILNS1_3genE2ELNS1_11target_archE906ELNS1_3gpuE6ELNS1_3repE0EEENS1_30default_config_static_selectorELNS0_4arch9wavefront6targetE0EEEvT1_.kd
    .uniform_work_group_size: 1
    .uses_dynamic_stack: false
    .vgpr_count:     0
    .vgpr_spill_count: 0
    .wavefront_size: 32
    .workgroup_processor_mode: 1
  - .args:
      - .offset:         0
        .size:           56
        .value_kind:     by_value
    .group_segment_fixed_size: 29696
    .kernarg_segment_align: 8
    .kernarg_segment_size: 56
    .language:       OpenCL C
    .language_version:
      - 2
      - 0
    .max_flat_workgroup_size: 128
    .name:           _ZN7rocprim17ROCPRIM_400000_NS6detail17trampoline_kernelINS0_14default_configENS1_35adjacent_difference_config_selectorILb1EdEEZNS1_24adjacent_difference_implIS3_Lb1ELb0EPdS7_N6thrust23THRUST_200600_302600_NS4plusIdEEEE10hipError_tPvRmT2_T3_mT4_P12ihipStream_tbEUlT_E_NS1_11comp_targetILNS1_3genE9ELNS1_11target_archE1100ELNS1_3gpuE3ELNS1_3repE0EEENS1_30default_config_static_selectorELNS0_4arch9wavefront6targetE0EEEvT1_
    .private_segment_fixed_size: 0
    .sgpr_count:     28
    .sgpr_spill_count: 0
    .symbol:         _ZN7rocprim17ROCPRIM_400000_NS6detail17trampoline_kernelINS0_14default_configENS1_35adjacent_difference_config_selectorILb1EdEEZNS1_24adjacent_difference_implIS3_Lb1ELb0EPdS7_N6thrust23THRUST_200600_302600_NS4plusIdEEEE10hipError_tPvRmT2_T3_mT4_P12ihipStream_tbEUlT_E_NS1_11comp_targetILNS1_3genE9ELNS1_11target_archE1100ELNS1_3gpuE3ELNS1_3repE0EEENS1_30default_config_static_selectorELNS0_4arch9wavefront6targetE0EEEvT1_.kd
    .uniform_work_group_size: 1
    .uses_dynamic_stack: false
    .vgpr_count:     148
    .vgpr_spill_count: 0
    .wavefront_size: 32
    .workgroup_processor_mode: 1
  - .args:
      - .offset:         0
        .size:           56
        .value_kind:     by_value
    .group_segment_fixed_size: 0
    .kernarg_segment_align: 8
    .kernarg_segment_size: 56
    .language:       OpenCL C
    .language_version:
      - 2
      - 0
    .max_flat_workgroup_size: 32
    .name:           _ZN7rocprim17ROCPRIM_400000_NS6detail17trampoline_kernelINS0_14default_configENS1_35adjacent_difference_config_selectorILb1EdEEZNS1_24adjacent_difference_implIS3_Lb1ELb0EPdS7_N6thrust23THRUST_200600_302600_NS4plusIdEEEE10hipError_tPvRmT2_T3_mT4_P12ihipStream_tbEUlT_E_NS1_11comp_targetILNS1_3genE8ELNS1_11target_archE1030ELNS1_3gpuE2ELNS1_3repE0EEENS1_30default_config_static_selectorELNS0_4arch9wavefront6targetE0EEEvT1_
    .private_segment_fixed_size: 0
    .sgpr_count:     0
    .sgpr_spill_count: 0
    .symbol:         _ZN7rocprim17ROCPRIM_400000_NS6detail17trampoline_kernelINS0_14default_configENS1_35adjacent_difference_config_selectorILb1EdEEZNS1_24adjacent_difference_implIS3_Lb1ELb0EPdS7_N6thrust23THRUST_200600_302600_NS4plusIdEEEE10hipError_tPvRmT2_T3_mT4_P12ihipStream_tbEUlT_E_NS1_11comp_targetILNS1_3genE8ELNS1_11target_archE1030ELNS1_3gpuE2ELNS1_3repE0EEENS1_30default_config_static_selectorELNS0_4arch9wavefront6targetE0EEEvT1_.kd
    .uniform_work_group_size: 1
    .uses_dynamic_stack: false
    .vgpr_count:     0
    .vgpr_spill_count: 0
    .wavefront_size: 32
    .workgroup_processor_mode: 1
  - .args:
      - .offset:         0
        .size:           16
        .value_kind:     by_value
      - .offset:         16
        .size:           8
        .value_kind:     by_value
      - .offset:         24
        .size:           8
        .value_kind:     by_value
    .group_segment_fixed_size: 0
    .kernarg_segment_align: 8
    .kernarg_segment_size: 32
    .language:       OpenCL C
    .language_version:
      - 2
      - 0
    .max_flat_workgroup_size: 256
    .name:           _ZN6thrust23THRUST_200600_302600_NS11hip_rocprim14__parallel_for6kernelILj256ENS1_20__uninitialized_fill7functorINS0_10device_ptrIfEEfEEmLj1EEEvT0_T1_SA_
    .private_segment_fixed_size: 0
    .sgpr_count:     18
    .sgpr_spill_count: 0
    .symbol:         _ZN6thrust23THRUST_200600_302600_NS11hip_rocprim14__parallel_for6kernelILj256ENS1_20__uninitialized_fill7functorINS0_10device_ptrIfEEfEEmLj1EEEvT0_T1_SA_.kd
    .uniform_work_group_size: 1
    .uses_dynamic_stack: false
    .vgpr_count:     3
    .vgpr_spill_count: 0
    .wavefront_size: 32
    .workgroup_processor_mode: 1
  - .args:
      - .offset:         0
        .size:           56
        .value_kind:     by_value
    .group_segment_fixed_size: 0
    .kernarg_segment_align: 8
    .kernarg_segment_size: 56
    .language:       OpenCL C
    .language_version:
      - 2
      - 0
    .max_flat_workgroup_size: 128
    .name:           _ZN7rocprim17ROCPRIM_400000_NS6detail17trampoline_kernelINS0_14default_configENS1_35adjacent_difference_config_selectorILb0EfEEZNS1_24adjacent_difference_implIS3_Lb0ELb0EPfS7_N6thrust23THRUST_200600_302600_NS5minusIfEEEE10hipError_tPvRmT2_T3_mT4_P12ihipStream_tbEUlT_E_NS1_11comp_targetILNS1_3genE0ELNS1_11target_archE4294967295ELNS1_3gpuE0ELNS1_3repE0EEENS1_30default_config_static_selectorELNS0_4arch9wavefront6targetE0EEEvT1_
    .private_segment_fixed_size: 0
    .sgpr_count:     0
    .sgpr_spill_count: 0
    .symbol:         _ZN7rocprim17ROCPRIM_400000_NS6detail17trampoline_kernelINS0_14default_configENS1_35adjacent_difference_config_selectorILb0EfEEZNS1_24adjacent_difference_implIS3_Lb0ELb0EPfS7_N6thrust23THRUST_200600_302600_NS5minusIfEEEE10hipError_tPvRmT2_T3_mT4_P12ihipStream_tbEUlT_E_NS1_11comp_targetILNS1_3genE0ELNS1_11target_archE4294967295ELNS1_3gpuE0ELNS1_3repE0EEENS1_30default_config_static_selectorELNS0_4arch9wavefront6targetE0EEEvT1_.kd
    .uniform_work_group_size: 1
    .uses_dynamic_stack: false
    .vgpr_count:     0
    .vgpr_spill_count: 0
    .wavefront_size: 32
    .workgroup_processor_mode: 1
  - .args:
      - .offset:         0
        .size:           56
        .value_kind:     by_value
    .group_segment_fixed_size: 0
    .kernarg_segment_align: 8
    .kernarg_segment_size: 56
    .language:       OpenCL C
    .language_version:
      - 2
      - 0
    .max_flat_workgroup_size: 1024
    .name:           _ZN7rocprim17ROCPRIM_400000_NS6detail17trampoline_kernelINS0_14default_configENS1_35adjacent_difference_config_selectorILb0EfEEZNS1_24adjacent_difference_implIS3_Lb0ELb0EPfS7_N6thrust23THRUST_200600_302600_NS5minusIfEEEE10hipError_tPvRmT2_T3_mT4_P12ihipStream_tbEUlT_E_NS1_11comp_targetILNS1_3genE10ELNS1_11target_archE1201ELNS1_3gpuE5ELNS1_3repE0EEENS1_30default_config_static_selectorELNS0_4arch9wavefront6targetE0EEEvT1_
    .private_segment_fixed_size: 0
    .sgpr_count:     0
    .sgpr_spill_count: 0
    .symbol:         _ZN7rocprim17ROCPRIM_400000_NS6detail17trampoline_kernelINS0_14default_configENS1_35adjacent_difference_config_selectorILb0EfEEZNS1_24adjacent_difference_implIS3_Lb0ELb0EPfS7_N6thrust23THRUST_200600_302600_NS5minusIfEEEE10hipError_tPvRmT2_T3_mT4_P12ihipStream_tbEUlT_E_NS1_11comp_targetILNS1_3genE10ELNS1_11target_archE1201ELNS1_3gpuE5ELNS1_3repE0EEENS1_30default_config_static_selectorELNS0_4arch9wavefront6targetE0EEEvT1_.kd
    .uniform_work_group_size: 1
    .uses_dynamic_stack: false
    .vgpr_count:     0
    .vgpr_spill_count: 0
    .wavefront_size: 32
    .workgroup_processor_mode: 1
  - .args:
      - .offset:         0
        .size:           56
        .value_kind:     by_value
    .group_segment_fixed_size: 0
    .kernarg_segment_align: 8
    .kernarg_segment_size: 56
    .language:       OpenCL C
    .language_version:
      - 2
      - 0
    .max_flat_workgroup_size: 64
    .name:           _ZN7rocprim17ROCPRIM_400000_NS6detail17trampoline_kernelINS0_14default_configENS1_35adjacent_difference_config_selectorILb0EfEEZNS1_24adjacent_difference_implIS3_Lb0ELb0EPfS7_N6thrust23THRUST_200600_302600_NS5minusIfEEEE10hipError_tPvRmT2_T3_mT4_P12ihipStream_tbEUlT_E_NS1_11comp_targetILNS1_3genE5ELNS1_11target_archE942ELNS1_3gpuE9ELNS1_3repE0EEENS1_30default_config_static_selectorELNS0_4arch9wavefront6targetE0EEEvT1_
    .private_segment_fixed_size: 0
    .sgpr_count:     0
    .sgpr_spill_count: 0
    .symbol:         _ZN7rocprim17ROCPRIM_400000_NS6detail17trampoline_kernelINS0_14default_configENS1_35adjacent_difference_config_selectorILb0EfEEZNS1_24adjacent_difference_implIS3_Lb0ELb0EPfS7_N6thrust23THRUST_200600_302600_NS5minusIfEEEE10hipError_tPvRmT2_T3_mT4_P12ihipStream_tbEUlT_E_NS1_11comp_targetILNS1_3genE5ELNS1_11target_archE942ELNS1_3gpuE9ELNS1_3repE0EEENS1_30default_config_static_selectorELNS0_4arch9wavefront6targetE0EEEvT1_.kd
    .uniform_work_group_size: 1
    .uses_dynamic_stack: false
    .vgpr_count:     0
    .vgpr_spill_count: 0
    .wavefront_size: 32
    .workgroup_processor_mode: 1
  - .args:
      - .offset:         0
        .size:           56
        .value_kind:     by_value
    .group_segment_fixed_size: 0
    .kernarg_segment_align: 8
    .kernarg_segment_size: 56
    .language:       OpenCL C
    .language_version:
      - 2
      - 0
    .max_flat_workgroup_size: 512
    .name:           _ZN7rocprim17ROCPRIM_400000_NS6detail17trampoline_kernelINS0_14default_configENS1_35adjacent_difference_config_selectorILb0EfEEZNS1_24adjacent_difference_implIS3_Lb0ELb0EPfS7_N6thrust23THRUST_200600_302600_NS5minusIfEEEE10hipError_tPvRmT2_T3_mT4_P12ihipStream_tbEUlT_E_NS1_11comp_targetILNS1_3genE4ELNS1_11target_archE910ELNS1_3gpuE8ELNS1_3repE0EEENS1_30default_config_static_selectorELNS0_4arch9wavefront6targetE0EEEvT1_
    .private_segment_fixed_size: 0
    .sgpr_count:     0
    .sgpr_spill_count: 0
    .symbol:         _ZN7rocprim17ROCPRIM_400000_NS6detail17trampoline_kernelINS0_14default_configENS1_35adjacent_difference_config_selectorILb0EfEEZNS1_24adjacent_difference_implIS3_Lb0ELb0EPfS7_N6thrust23THRUST_200600_302600_NS5minusIfEEEE10hipError_tPvRmT2_T3_mT4_P12ihipStream_tbEUlT_E_NS1_11comp_targetILNS1_3genE4ELNS1_11target_archE910ELNS1_3gpuE8ELNS1_3repE0EEENS1_30default_config_static_selectorELNS0_4arch9wavefront6targetE0EEEvT1_.kd
    .uniform_work_group_size: 1
    .uses_dynamic_stack: false
    .vgpr_count:     0
    .vgpr_spill_count: 0
    .wavefront_size: 32
    .workgroup_processor_mode: 1
  - .args:
      - .offset:         0
        .size:           56
        .value_kind:     by_value
    .group_segment_fixed_size: 0
    .kernarg_segment_align: 8
    .kernarg_segment_size: 56
    .language:       OpenCL C
    .language_version:
      - 2
      - 0
    .max_flat_workgroup_size: 128
    .name:           _ZN7rocprim17ROCPRIM_400000_NS6detail17trampoline_kernelINS0_14default_configENS1_35adjacent_difference_config_selectorILb0EfEEZNS1_24adjacent_difference_implIS3_Lb0ELb0EPfS7_N6thrust23THRUST_200600_302600_NS5minusIfEEEE10hipError_tPvRmT2_T3_mT4_P12ihipStream_tbEUlT_E_NS1_11comp_targetILNS1_3genE3ELNS1_11target_archE908ELNS1_3gpuE7ELNS1_3repE0EEENS1_30default_config_static_selectorELNS0_4arch9wavefront6targetE0EEEvT1_
    .private_segment_fixed_size: 0
    .sgpr_count:     0
    .sgpr_spill_count: 0
    .symbol:         _ZN7rocprim17ROCPRIM_400000_NS6detail17trampoline_kernelINS0_14default_configENS1_35adjacent_difference_config_selectorILb0EfEEZNS1_24adjacent_difference_implIS3_Lb0ELb0EPfS7_N6thrust23THRUST_200600_302600_NS5minusIfEEEE10hipError_tPvRmT2_T3_mT4_P12ihipStream_tbEUlT_E_NS1_11comp_targetILNS1_3genE3ELNS1_11target_archE908ELNS1_3gpuE7ELNS1_3repE0EEENS1_30default_config_static_selectorELNS0_4arch9wavefront6targetE0EEEvT1_.kd
    .uniform_work_group_size: 1
    .uses_dynamic_stack: false
    .vgpr_count:     0
    .vgpr_spill_count: 0
    .wavefront_size: 32
    .workgroup_processor_mode: 1
  - .args:
      - .offset:         0
        .size:           56
        .value_kind:     by_value
    .group_segment_fixed_size: 0
    .kernarg_segment_align: 8
    .kernarg_segment_size: 56
    .language:       OpenCL C
    .language_version:
      - 2
      - 0
    .max_flat_workgroup_size: 1024
    .name:           _ZN7rocprim17ROCPRIM_400000_NS6detail17trampoline_kernelINS0_14default_configENS1_35adjacent_difference_config_selectorILb0EfEEZNS1_24adjacent_difference_implIS3_Lb0ELb0EPfS7_N6thrust23THRUST_200600_302600_NS5minusIfEEEE10hipError_tPvRmT2_T3_mT4_P12ihipStream_tbEUlT_E_NS1_11comp_targetILNS1_3genE2ELNS1_11target_archE906ELNS1_3gpuE6ELNS1_3repE0EEENS1_30default_config_static_selectorELNS0_4arch9wavefront6targetE0EEEvT1_
    .private_segment_fixed_size: 0
    .sgpr_count:     0
    .sgpr_spill_count: 0
    .symbol:         _ZN7rocprim17ROCPRIM_400000_NS6detail17trampoline_kernelINS0_14default_configENS1_35adjacent_difference_config_selectorILb0EfEEZNS1_24adjacent_difference_implIS3_Lb0ELb0EPfS7_N6thrust23THRUST_200600_302600_NS5minusIfEEEE10hipError_tPvRmT2_T3_mT4_P12ihipStream_tbEUlT_E_NS1_11comp_targetILNS1_3genE2ELNS1_11target_archE906ELNS1_3gpuE6ELNS1_3repE0EEENS1_30default_config_static_selectorELNS0_4arch9wavefront6targetE0EEEvT1_.kd
    .uniform_work_group_size: 1
    .uses_dynamic_stack: false
    .vgpr_count:     0
    .vgpr_spill_count: 0
    .wavefront_size: 32
    .workgroup_processor_mode: 1
  - .args:
      - .offset:         0
        .size:           56
        .value_kind:     by_value
    .group_segment_fixed_size: 20480
    .kernarg_segment_align: 8
    .kernarg_segment_size: 56
    .language:       OpenCL C
    .language_version:
      - 2
      - 0
    .max_flat_workgroup_size: 1024
    .name:           _ZN7rocprim17ROCPRIM_400000_NS6detail17trampoline_kernelINS0_14default_configENS1_35adjacent_difference_config_selectorILb0EfEEZNS1_24adjacent_difference_implIS3_Lb0ELb0EPfS7_N6thrust23THRUST_200600_302600_NS5minusIfEEEE10hipError_tPvRmT2_T3_mT4_P12ihipStream_tbEUlT_E_NS1_11comp_targetILNS1_3genE9ELNS1_11target_archE1100ELNS1_3gpuE3ELNS1_3repE0EEENS1_30default_config_static_selectorELNS0_4arch9wavefront6targetE0EEEvT1_
    .private_segment_fixed_size: 0
    .sgpr_count:     23
    .sgpr_spill_count: 0
    .symbol:         _ZN7rocprim17ROCPRIM_400000_NS6detail17trampoline_kernelINS0_14default_configENS1_35adjacent_difference_config_selectorILb0EfEEZNS1_24adjacent_difference_implIS3_Lb0ELb0EPfS7_N6thrust23THRUST_200600_302600_NS5minusIfEEEE10hipError_tPvRmT2_T3_mT4_P12ihipStream_tbEUlT_E_NS1_11comp_targetILNS1_3genE9ELNS1_11target_archE1100ELNS1_3gpuE3ELNS1_3repE0EEENS1_30default_config_static_selectorELNS0_4arch9wavefront6targetE0EEEvT1_.kd
    .uniform_work_group_size: 1
    .uses_dynamic_stack: false
    .vgpr_count:     17
    .vgpr_spill_count: 0
    .wavefront_size: 32
    .workgroup_processor_mode: 1
  - .args:
      - .offset:         0
        .size:           56
        .value_kind:     by_value
    .group_segment_fixed_size: 0
    .kernarg_segment_align: 8
    .kernarg_segment_size: 56
    .language:       OpenCL C
    .language_version:
      - 2
      - 0
    .max_flat_workgroup_size: 1024
    .name:           _ZN7rocprim17ROCPRIM_400000_NS6detail17trampoline_kernelINS0_14default_configENS1_35adjacent_difference_config_selectorILb0EfEEZNS1_24adjacent_difference_implIS3_Lb0ELb0EPfS7_N6thrust23THRUST_200600_302600_NS5minusIfEEEE10hipError_tPvRmT2_T3_mT4_P12ihipStream_tbEUlT_E_NS1_11comp_targetILNS1_3genE8ELNS1_11target_archE1030ELNS1_3gpuE2ELNS1_3repE0EEENS1_30default_config_static_selectorELNS0_4arch9wavefront6targetE0EEEvT1_
    .private_segment_fixed_size: 0
    .sgpr_count:     0
    .sgpr_spill_count: 0
    .symbol:         _ZN7rocprim17ROCPRIM_400000_NS6detail17trampoline_kernelINS0_14default_configENS1_35adjacent_difference_config_selectorILb0EfEEZNS1_24adjacent_difference_implIS3_Lb0ELb0EPfS7_N6thrust23THRUST_200600_302600_NS5minusIfEEEE10hipError_tPvRmT2_T3_mT4_P12ihipStream_tbEUlT_E_NS1_11comp_targetILNS1_3genE8ELNS1_11target_archE1030ELNS1_3gpuE2ELNS1_3repE0EEENS1_30default_config_static_selectorELNS0_4arch9wavefront6targetE0EEEvT1_.kd
    .uniform_work_group_size: 1
    .uses_dynamic_stack: false
    .vgpr_count:     0
    .vgpr_spill_count: 0
    .wavefront_size: 32
    .workgroup_processor_mode: 1
  - .args:
      - .offset:         0
        .size:           56
        .value_kind:     by_value
    .group_segment_fixed_size: 0
    .kernarg_segment_align: 8
    .kernarg_segment_size: 56
    .language:       OpenCL C
    .language_version:
      - 2
      - 0
    .max_flat_workgroup_size: 128
    .name:           _ZN7rocprim17ROCPRIM_400000_NS6detail17trampoline_kernelINS0_14default_configENS1_25transform_config_selectorIfLb0EEEZNS1_14transform_implILb0ES3_S5_NS0_18transform_iteratorINS0_17counting_iteratorImlEEZNS1_24adjacent_difference_implIS3_Lb1ELb0EPfSB_N6thrust23THRUST_200600_302600_NS5minusIfEEEE10hipError_tPvRmT2_T3_mT4_P12ihipStream_tbEUlmE_fEESB_NS0_8identityIvEEEESG_SJ_SK_mSL_SN_bEUlT_E_NS1_11comp_targetILNS1_3genE0ELNS1_11target_archE4294967295ELNS1_3gpuE0ELNS1_3repE0EEENS1_30default_config_static_selectorELNS0_4arch9wavefront6targetE0EEEvT1_
    .private_segment_fixed_size: 0
    .sgpr_count:     0
    .sgpr_spill_count: 0
    .symbol:         _ZN7rocprim17ROCPRIM_400000_NS6detail17trampoline_kernelINS0_14default_configENS1_25transform_config_selectorIfLb0EEEZNS1_14transform_implILb0ES3_S5_NS0_18transform_iteratorINS0_17counting_iteratorImlEEZNS1_24adjacent_difference_implIS3_Lb1ELb0EPfSB_N6thrust23THRUST_200600_302600_NS5minusIfEEEE10hipError_tPvRmT2_T3_mT4_P12ihipStream_tbEUlmE_fEESB_NS0_8identityIvEEEESG_SJ_SK_mSL_SN_bEUlT_E_NS1_11comp_targetILNS1_3genE0ELNS1_11target_archE4294967295ELNS1_3gpuE0ELNS1_3repE0EEENS1_30default_config_static_selectorELNS0_4arch9wavefront6targetE0EEEvT1_.kd
    .uniform_work_group_size: 1
    .uses_dynamic_stack: false
    .vgpr_count:     0
    .vgpr_spill_count: 0
    .wavefront_size: 32
    .workgroup_processor_mode: 1
  - .args:
      - .offset:         0
        .size:           56
        .value_kind:     by_value
    .group_segment_fixed_size: 0
    .kernarg_segment_align: 8
    .kernarg_segment_size: 56
    .language:       OpenCL C
    .language_version:
      - 2
      - 0
    .max_flat_workgroup_size: 256
    .name:           _ZN7rocprim17ROCPRIM_400000_NS6detail17trampoline_kernelINS0_14default_configENS1_25transform_config_selectorIfLb0EEEZNS1_14transform_implILb0ES3_S5_NS0_18transform_iteratorINS0_17counting_iteratorImlEEZNS1_24adjacent_difference_implIS3_Lb1ELb0EPfSB_N6thrust23THRUST_200600_302600_NS5minusIfEEEE10hipError_tPvRmT2_T3_mT4_P12ihipStream_tbEUlmE_fEESB_NS0_8identityIvEEEESG_SJ_SK_mSL_SN_bEUlT_E_NS1_11comp_targetILNS1_3genE5ELNS1_11target_archE942ELNS1_3gpuE9ELNS1_3repE0EEENS1_30default_config_static_selectorELNS0_4arch9wavefront6targetE0EEEvT1_
    .private_segment_fixed_size: 0
    .sgpr_count:     0
    .sgpr_spill_count: 0
    .symbol:         _ZN7rocprim17ROCPRIM_400000_NS6detail17trampoline_kernelINS0_14default_configENS1_25transform_config_selectorIfLb0EEEZNS1_14transform_implILb0ES3_S5_NS0_18transform_iteratorINS0_17counting_iteratorImlEEZNS1_24adjacent_difference_implIS3_Lb1ELb0EPfSB_N6thrust23THRUST_200600_302600_NS5minusIfEEEE10hipError_tPvRmT2_T3_mT4_P12ihipStream_tbEUlmE_fEESB_NS0_8identityIvEEEESG_SJ_SK_mSL_SN_bEUlT_E_NS1_11comp_targetILNS1_3genE5ELNS1_11target_archE942ELNS1_3gpuE9ELNS1_3repE0EEENS1_30default_config_static_selectorELNS0_4arch9wavefront6targetE0EEEvT1_.kd
    .uniform_work_group_size: 1
    .uses_dynamic_stack: false
    .vgpr_count:     0
    .vgpr_spill_count: 0
    .wavefront_size: 32
    .workgroup_processor_mode: 1
  - .args:
      - .offset:         0
        .size:           56
        .value_kind:     by_value
    .group_segment_fixed_size: 0
    .kernarg_segment_align: 8
    .kernarg_segment_size: 56
    .language:       OpenCL C
    .language_version:
      - 2
      - 0
    .max_flat_workgroup_size: 1024
    .name:           _ZN7rocprim17ROCPRIM_400000_NS6detail17trampoline_kernelINS0_14default_configENS1_25transform_config_selectorIfLb0EEEZNS1_14transform_implILb0ES3_S5_NS0_18transform_iteratorINS0_17counting_iteratorImlEEZNS1_24adjacent_difference_implIS3_Lb1ELb0EPfSB_N6thrust23THRUST_200600_302600_NS5minusIfEEEE10hipError_tPvRmT2_T3_mT4_P12ihipStream_tbEUlmE_fEESB_NS0_8identityIvEEEESG_SJ_SK_mSL_SN_bEUlT_E_NS1_11comp_targetILNS1_3genE4ELNS1_11target_archE910ELNS1_3gpuE8ELNS1_3repE0EEENS1_30default_config_static_selectorELNS0_4arch9wavefront6targetE0EEEvT1_
    .private_segment_fixed_size: 0
    .sgpr_count:     0
    .sgpr_spill_count: 0
    .symbol:         _ZN7rocprim17ROCPRIM_400000_NS6detail17trampoline_kernelINS0_14default_configENS1_25transform_config_selectorIfLb0EEEZNS1_14transform_implILb0ES3_S5_NS0_18transform_iteratorINS0_17counting_iteratorImlEEZNS1_24adjacent_difference_implIS3_Lb1ELb0EPfSB_N6thrust23THRUST_200600_302600_NS5minusIfEEEE10hipError_tPvRmT2_T3_mT4_P12ihipStream_tbEUlmE_fEESB_NS0_8identityIvEEEESG_SJ_SK_mSL_SN_bEUlT_E_NS1_11comp_targetILNS1_3genE4ELNS1_11target_archE910ELNS1_3gpuE8ELNS1_3repE0EEENS1_30default_config_static_selectorELNS0_4arch9wavefront6targetE0EEEvT1_.kd
    .uniform_work_group_size: 1
    .uses_dynamic_stack: false
    .vgpr_count:     0
    .vgpr_spill_count: 0
    .wavefront_size: 32
    .workgroup_processor_mode: 1
  - .args:
      - .offset:         0
        .size:           56
        .value_kind:     by_value
    .group_segment_fixed_size: 0
    .kernarg_segment_align: 8
    .kernarg_segment_size: 56
    .language:       OpenCL C
    .language_version:
      - 2
      - 0
    .max_flat_workgroup_size: 128
    .name:           _ZN7rocprim17ROCPRIM_400000_NS6detail17trampoline_kernelINS0_14default_configENS1_25transform_config_selectorIfLb0EEEZNS1_14transform_implILb0ES3_S5_NS0_18transform_iteratorINS0_17counting_iteratorImlEEZNS1_24adjacent_difference_implIS3_Lb1ELb0EPfSB_N6thrust23THRUST_200600_302600_NS5minusIfEEEE10hipError_tPvRmT2_T3_mT4_P12ihipStream_tbEUlmE_fEESB_NS0_8identityIvEEEESG_SJ_SK_mSL_SN_bEUlT_E_NS1_11comp_targetILNS1_3genE3ELNS1_11target_archE908ELNS1_3gpuE7ELNS1_3repE0EEENS1_30default_config_static_selectorELNS0_4arch9wavefront6targetE0EEEvT1_
    .private_segment_fixed_size: 0
    .sgpr_count:     0
    .sgpr_spill_count: 0
    .symbol:         _ZN7rocprim17ROCPRIM_400000_NS6detail17trampoline_kernelINS0_14default_configENS1_25transform_config_selectorIfLb0EEEZNS1_14transform_implILb0ES3_S5_NS0_18transform_iteratorINS0_17counting_iteratorImlEEZNS1_24adjacent_difference_implIS3_Lb1ELb0EPfSB_N6thrust23THRUST_200600_302600_NS5minusIfEEEE10hipError_tPvRmT2_T3_mT4_P12ihipStream_tbEUlmE_fEESB_NS0_8identityIvEEEESG_SJ_SK_mSL_SN_bEUlT_E_NS1_11comp_targetILNS1_3genE3ELNS1_11target_archE908ELNS1_3gpuE7ELNS1_3repE0EEENS1_30default_config_static_selectorELNS0_4arch9wavefront6targetE0EEEvT1_.kd
    .uniform_work_group_size: 1
    .uses_dynamic_stack: false
    .vgpr_count:     0
    .vgpr_spill_count: 0
    .wavefront_size: 32
    .workgroup_processor_mode: 1
  - .args:
      - .offset:         0
        .size:           56
        .value_kind:     by_value
    .group_segment_fixed_size: 0
    .kernarg_segment_align: 8
    .kernarg_segment_size: 56
    .language:       OpenCL C
    .language_version:
      - 2
      - 0
    .max_flat_workgroup_size: 1024
    .name:           _ZN7rocprim17ROCPRIM_400000_NS6detail17trampoline_kernelINS0_14default_configENS1_25transform_config_selectorIfLb0EEEZNS1_14transform_implILb0ES3_S5_NS0_18transform_iteratorINS0_17counting_iteratorImlEEZNS1_24adjacent_difference_implIS3_Lb1ELb0EPfSB_N6thrust23THRUST_200600_302600_NS5minusIfEEEE10hipError_tPvRmT2_T3_mT4_P12ihipStream_tbEUlmE_fEESB_NS0_8identityIvEEEESG_SJ_SK_mSL_SN_bEUlT_E_NS1_11comp_targetILNS1_3genE2ELNS1_11target_archE906ELNS1_3gpuE6ELNS1_3repE0EEENS1_30default_config_static_selectorELNS0_4arch9wavefront6targetE0EEEvT1_
    .private_segment_fixed_size: 0
    .sgpr_count:     0
    .sgpr_spill_count: 0
    .symbol:         _ZN7rocprim17ROCPRIM_400000_NS6detail17trampoline_kernelINS0_14default_configENS1_25transform_config_selectorIfLb0EEEZNS1_14transform_implILb0ES3_S5_NS0_18transform_iteratorINS0_17counting_iteratorImlEEZNS1_24adjacent_difference_implIS3_Lb1ELb0EPfSB_N6thrust23THRUST_200600_302600_NS5minusIfEEEE10hipError_tPvRmT2_T3_mT4_P12ihipStream_tbEUlmE_fEESB_NS0_8identityIvEEEESG_SJ_SK_mSL_SN_bEUlT_E_NS1_11comp_targetILNS1_3genE2ELNS1_11target_archE906ELNS1_3gpuE6ELNS1_3repE0EEENS1_30default_config_static_selectorELNS0_4arch9wavefront6targetE0EEEvT1_.kd
    .uniform_work_group_size: 1
    .uses_dynamic_stack: false
    .vgpr_count:     0
    .vgpr_spill_count: 0
    .wavefront_size: 32
    .workgroup_processor_mode: 1
  - .args:
      - .offset:         0
        .size:           56
        .value_kind:     by_value
    .group_segment_fixed_size: 0
    .kernarg_segment_align: 8
    .kernarg_segment_size: 56
    .language:       OpenCL C
    .language_version:
      - 2
      - 0
    .max_flat_workgroup_size: 512
    .name:           _ZN7rocprim17ROCPRIM_400000_NS6detail17trampoline_kernelINS0_14default_configENS1_25transform_config_selectorIfLb0EEEZNS1_14transform_implILb0ES3_S5_NS0_18transform_iteratorINS0_17counting_iteratorImlEEZNS1_24adjacent_difference_implIS3_Lb1ELb0EPfSB_N6thrust23THRUST_200600_302600_NS5minusIfEEEE10hipError_tPvRmT2_T3_mT4_P12ihipStream_tbEUlmE_fEESB_NS0_8identityIvEEEESG_SJ_SK_mSL_SN_bEUlT_E_NS1_11comp_targetILNS1_3genE10ELNS1_11target_archE1201ELNS1_3gpuE5ELNS1_3repE0EEENS1_30default_config_static_selectorELNS0_4arch9wavefront6targetE0EEEvT1_
    .private_segment_fixed_size: 0
    .sgpr_count:     0
    .sgpr_spill_count: 0
    .symbol:         _ZN7rocprim17ROCPRIM_400000_NS6detail17trampoline_kernelINS0_14default_configENS1_25transform_config_selectorIfLb0EEEZNS1_14transform_implILb0ES3_S5_NS0_18transform_iteratorINS0_17counting_iteratorImlEEZNS1_24adjacent_difference_implIS3_Lb1ELb0EPfSB_N6thrust23THRUST_200600_302600_NS5minusIfEEEE10hipError_tPvRmT2_T3_mT4_P12ihipStream_tbEUlmE_fEESB_NS0_8identityIvEEEESG_SJ_SK_mSL_SN_bEUlT_E_NS1_11comp_targetILNS1_3genE10ELNS1_11target_archE1201ELNS1_3gpuE5ELNS1_3repE0EEENS1_30default_config_static_selectorELNS0_4arch9wavefront6targetE0EEEvT1_.kd
    .uniform_work_group_size: 1
    .uses_dynamic_stack: false
    .vgpr_count:     0
    .vgpr_spill_count: 0
    .wavefront_size: 32
    .workgroup_processor_mode: 1
  - .args:
      - .offset:         0
        .size:           56
        .value_kind:     by_value
    .group_segment_fixed_size: 0
    .kernarg_segment_align: 8
    .kernarg_segment_size: 56
    .language:       OpenCL C
    .language_version:
      - 2
      - 0
    .max_flat_workgroup_size: 512
    .name:           _ZN7rocprim17ROCPRIM_400000_NS6detail17trampoline_kernelINS0_14default_configENS1_25transform_config_selectorIfLb0EEEZNS1_14transform_implILb0ES3_S5_NS0_18transform_iteratorINS0_17counting_iteratorImlEEZNS1_24adjacent_difference_implIS3_Lb1ELb0EPfSB_N6thrust23THRUST_200600_302600_NS5minusIfEEEE10hipError_tPvRmT2_T3_mT4_P12ihipStream_tbEUlmE_fEESB_NS0_8identityIvEEEESG_SJ_SK_mSL_SN_bEUlT_E_NS1_11comp_targetILNS1_3genE10ELNS1_11target_archE1200ELNS1_3gpuE4ELNS1_3repE0EEENS1_30default_config_static_selectorELNS0_4arch9wavefront6targetE0EEEvT1_
    .private_segment_fixed_size: 0
    .sgpr_count:     0
    .sgpr_spill_count: 0
    .symbol:         _ZN7rocprim17ROCPRIM_400000_NS6detail17trampoline_kernelINS0_14default_configENS1_25transform_config_selectorIfLb0EEEZNS1_14transform_implILb0ES3_S5_NS0_18transform_iteratorINS0_17counting_iteratorImlEEZNS1_24adjacent_difference_implIS3_Lb1ELb0EPfSB_N6thrust23THRUST_200600_302600_NS5minusIfEEEE10hipError_tPvRmT2_T3_mT4_P12ihipStream_tbEUlmE_fEESB_NS0_8identityIvEEEESG_SJ_SK_mSL_SN_bEUlT_E_NS1_11comp_targetILNS1_3genE10ELNS1_11target_archE1200ELNS1_3gpuE4ELNS1_3repE0EEENS1_30default_config_static_selectorELNS0_4arch9wavefront6targetE0EEEvT1_.kd
    .uniform_work_group_size: 1
    .uses_dynamic_stack: false
    .vgpr_count:     0
    .vgpr_spill_count: 0
    .wavefront_size: 32
    .workgroup_processor_mode: 1
  - .args:
      - .offset:         0
        .size:           56
        .value_kind:     by_value
      - .offset:         56
        .size:           4
        .value_kind:     hidden_block_count_x
      - .offset:         60
        .size:           4
        .value_kind:     hidden_block_count_y
      - .offset:         64
        .size:           4
        .value_kind:     hidden_block_count_z
      - .offset:         68
        .size:           2
        .value_kind:     hidden_group_size_x
      - .offset:         70
        .size:           2
        .value_kind:     hidden_group_size_y
      - .offset:         72
        .size:           2
        .value_kind:     hidden_group_size_z
      - .offset:         74
        .size:           2
        .value_kind:     hidden_remainder_x
      - .offset:         76
        .size:           2
        .value_kind:     hidden_remainder_y
      - .offset:         78
        .size:           2
        .value_kind:     hidden_remainder_z
      - .offset:         96
        .size:           8
        .value_kind:     hidden_global_offset_x
      - .offset:         104
        .size:           8
        .value_kind:     hidden_global_offset_y
      - .offset:         112
        .size:           8
        .value_kind:     hidden_global_offset_z
      - .offset:         120
        .size:           2
        .value_kind:     hidden_grid_dims
    .group_segment_fixed_size: 0
    .kernarg_segment_align: 8
    .kernarg_segment_size: 312
    .language:       OpenCL C
    .language_version:
      - 2
      - 0
    .max_flat_workgroup_size: 1024
    .name:           _ZN7rocprim17ROCPRIM_400000_NS6detail17trampoline_kernelINS0_14default_configENS1_25transform_config_selectorIfLb0EEEZNS1_14transform_implILb0ES3_S5_NS0_18transform_iteratorINS0_17counting_iteratorImlEEZNS1_24adjacent_difference_implIS3_Lb1ELb0EPfSB_N6thrust23THRUST_200600_302600_NS5minusIfEEEE10hipError_tPvRmT2_T3_mT4_P12ihipStream_tbEUlmE_fEESB_NS0_8identityIvEEEESG_SJ_SK_mSL_SN_bEUlT_E_NS1_11comp_targetILNS1_3genE9ELNS1_11target_archE1100ELNS1_3gpuE3ELNS1_3repE0EEENS1_30default_config_static_selectorELNS0_4arch9wavefront6targetE0EEEvT1_
    .private_segment_fixed_size: 0
    .sgpr_count:     18
    .sgpr_spill_count: 0
    .symbol:         _ZN7rocprim17ROCPRIM_400000_NS6detail17trampoline_kernelINS0_14default_configENS1_25transform_config_selectorIfLb0EEEZNS1_14transform_implILb0ES3_S5_NS0_18transform_iteratorINS0_17counting_iteratorImlEEZNS1_24adjacent_difference_implIS3_Lb1ELb0EPfSB_N6thrust23THRUST_200600_302600_NS5minusIfEEEE10hipError_tPvRmT2_T3_mT4_P12ihipStream_tbEUlmE_fEESB_NS0_8identityIvEEEESG_SJ_SK_mSL_SN_bEUlT_E_NS1_11comp_targetILNS1_3genE9ELNS1_11target_archE1100ELNS1_3gpuE3ELNS1_3repE0EEENS1_30default_config_static_selectorELNS0_4arch9wavefront6targetE0EEEvT1_.kd
    .uniform_work_group_size: 1
    .uses_dynamic_stack: false
    .vgpr_count:     6
    .vgpr_spill_count: 0
    .wavefront_size: 32
    .workgroup_processor_mode: 1
  - .args:
      - .offset:         0
        .size:           56
        .value_kind:     by_value
    .group_segment_fixed_size: 0
    .kernarg_segment_align: 8
    .kernarg_segment_size: 56
    .language:       OpenCL C
    .language_version:
      - 2
      - 0
    .max_flat_workgroup_size: 256
    .name:           _ZN7rocprim17ROCPRIM_400000_NS6detail17trampoline_kernelINS0_14default_configENS1_25transform_config_selectorIfLb0EEEZNS1_14transform_implILb0ES3_S5_NS0_18transform_iteratorINS0_17counting_iteratorImlEEZNS1_24adjacent_difference_implIS3_Lb1ELb0EPfSB_N6thrust23THRUST_200600_302600_NS5minusIfEEEE10hipError_tPvRmT2_T3_mT4_P12ihipStream_tbEUlmE_fEESB_NS0_8identityIvEEEESG_SJ_SK_mSL_SN_bEUlT_E_NS1_11comp_targetILNS1_3genE8ELNS1_11target_archE1030ELNS1_3gpuE2ELNS1_3repE0EEENS1_30default_config_static_selectorELNS0_4arch9wavefront6targetE0EEEvT1_
    .private_segment_fixed_size: 0
    .sgpr_count:     0
    .sgpr_spill_count: 0
    .symbol:         _ZN7rocprim17ROCPRIM_400000_NS6detail17trampoline_kernelINS0_14default_configENS1_25transform_config_selectorIfLb0EEEZNS1_14transform_implILb0ES3_S5_NS0_18transform_iteratorINS0_17counting_iteratorImlEEZNS1_24adjacent_difference_implIS3_Lb1ELb0EPfSB_N6thrust23THRUST_200600_302600_NS5minusIfEEEE10hipError_tPvRmT2_T3_mT4_P12ihipStream_tbEUlmE_fEESB_NS0_8identityIvEEEESG_SJ_SK_mSL_SN_bEUlT_E_NS1_11comp_targetILNS1_3genE8ELNS1_11target_archE1030ELNS1_3gpuE2ELNS1_3repE0EEENS1_30default_config_static_selectorELNS0_4arch9wavefront6targetE0EEEvT1_.kd
    .uniform_work_group_size: 1
    .uses_dynamic_stack: false
    .vgpr_count:     0
    .vgpr_spill_count: 0
    .wavefront_size: 32
    .workgroup_processor_mode: 1
  - .args:
      - .offset:         0
        .size:           56
        .value_kind:     by_value
    .group_segment_fixed_size: 0
    .kernarg_segment_align: 8
    .kernarg_segment_size: 56
    .language:       OpenCL C
    .language_version:
      - 2
      - 0
    .max_flat_workgroup_size: 1024
    .name:           _ZN7rocprim17ROCPRIM_400000_NS6detail17trampoline_kernelINS0_14default_configENS1_35adjacent_difference_config_selectorILb1EfEEZNS1_24adjacent_difference_implIS3_Lb1ELb0EPfS7_N6thrust23THRUST_200600_302600_NS5minusIfEEEE10hipError_tPvRmT2_T3_mT4_P12ihipStream_tbEUlT_E_NS1_11comp_targetILNS1_3genE0ELNS1_11target_archE4294967295ELNS1_3gpuE0ELNS1_3repE0EEENS1_30default_config_static_selectorELNS0_4arch9wavefront6targetE0EEEvT1_
    .private_segment_fixed_size: 0
    .sgpr_count:     0
    .sgpr_spill_count: 0
    .symbol:         _ZN7rocprim17ROCPRIM_400000_NS6detail17trampoline_kernelINS0_14default_configENS1_35adjacent_difference_config_selectorILb1EfEEZNS1_24adjacent_difference_implIS3_Lb1ELb0EPfS7_N6thrust23THRUST_200600_302600_NS5minusIfEEEE10hipError_tPvRmT2_T3_mT4_P12ihipStream_tbEUlT_E_NS1_11comp_targetILNS1_3genE0ELNS1_11target_archE4294967295ELNS1_3gpuE0ELNS1_3repE0EEENS1_30default_config_static_selectorELNS0_4arch9wavefront6targetE0EEEvT1_.kd
    .uniform_work_group_size: 1
    .uses_dynamic_stack: false
    .vgpr_count:     0
    .vgpr_spill_count: 0
    .wavefront_size: 32
    .workgroup_processor_mode: 1
  - .args:
      - .offset:         0
        .size:           56
        .value_kind:     by_value
    .group_segment_fixed_size: 0
    .kernarg_segment_align: 8
    .kernarg_segment_size: 56
    .language:       OpenCL C
    .language_version:
      - 2
      - 0
    .max_flat_workgroup_size: 128
    .name:           _ZN7rocprim17ROCPRIM_400000_NS6detail17trampoline_kernelINS0_14default_configENS1_35adjacent_difference_config_selectorILb1EfEEZNS1_24adjacent_difference_implIS3_Lb1ELb0EPfS7_N6thrust23THRUST_200600_302600_NS5minusIfEEEE10hipError_tPvRmT2_T3_mT4_P12ihipStream_tbEUlT_E_NS1_11comp_targetILNS1_3genE10ELNS1_11target_archE1201ELNS1_3gpuE5ELNS1_3repE0EEENS1_30default_config_static_selectorELNS0_4arch9wavefront6targetE0EEEvT1_
    .private_segment_fixed_size: 0
    .sgpr_count:     0
    .sgpr_spill_count: 0
    .symbol:         _ZN7rocprim17ROCPRIM_400000_NS6detail17trampoline_kernelINS0_14default_configENS1_35adjacent_difference_config_selectorILb1EfEEZNS1_24adjacent_difference_implIS3_Lb1ELb0EPfS7_N6thrust23THRUST_200600_302600_NS5minusIfEEEE10hipError_tPvRmT2_T3_mT4_P12ihipStream_tbEUlT_E_NS1_11comp_targetILNS1_3genE10ELNS1_11target_archE1201ELNS1_3gpuE5ELNS1_3repE0EEENS1_30default_config_static_selectorELNS0_4arch9wavefront6targetE0EEEvT1_.kd
    .uniform_work_group_size: 1
    .uses_dynamic_stack: false
    .vgpr_count:     0
    .vgpr_spill_count: 0
    .wavefront_size: 32
    .workgroup_processor_mode: 1
  - .args:
      - .offset:         0
        .size:           56
        .value_kind:     by_value
    .group_segment_fixed_size: 0
    .kernarg_segment_align: 8
    .kernarg_segment_size: 56
    .language:       OpenCL C
    .language_version:
      - 2
      - 0
    .max_flat_workgroup_size: 256
    .name:           _ZN7rocprim17ROCPRIM_400000_NS6detail17trampoline_kernelINS0_14default_configENS1_35adjacent_difference_config_selectorILb1EfEEZNS1_24adjacent_difference_implIS3_Lb1ELb0EPfS7_N6thrust23THRUST_200600_302600_NS5minusIfEEEE10hipError_tPvRmT2_T3_mT4_P12ihipStream_tbEUlT_E_NS1_11comp_targetILNS1_3genE5ELNS1_11target_archE942ELNS1_3gpuE9ELNS1_3repE0EEENS1_30default_config_static_selectorELNS0_4arch9wavefront6targetE0EEEvT1_
    .private_segment_fixed_size: 0
    .sgpr_count:     0
    .sgpr_spill_count: 0
    .symbol:         _ZN7rocprim17ROCPRIM_400000_NS6detail17trampoline_kernelINS0_14default_configENS1_35adjacent_difference_config_selectorILb1EfEEZNS1_24adjacent_difference_implIS3_Lb1ELb0EPfS7_N6thrust23THRUST_200600_302600_NS5minusIfEEEE10hipError_tPvRmT2_T3_mT4_P12ihipStream_tbEUlT_E_NS1_11comp_targetILNS1_3genE5ELNS1_11target_archE942ELNS1_3gpuE9ELNS1_3repE0EEENS1_30default_config_static_selectorELNS0_4arch9wavefront6targetE0EEEvT1_.kd
    .uniform_work_group_size: 1
    .uses_dynamic_stack: false
    .vgpr_count:     0
    .vgpr_spill_count: 0
    .wavefront_size: 32
    .workgroup_processor_mode: 1
  - .args:
      - .offset:         0
        .size:           56
        .value_kind:     by_value
    .group_segment_fixed_size: 0
    .kernarg_segment_align: 8
    .kernarg_segment_size: 56
    .language:       OpenCL C
    .language_version:
      - 2
      - 0
    .max_flat_workgroup_size: 512
    .name:           _ZN7rocprim17ROCPRIM_400000_NS6detail17trampoline_kernelINS0_14default_configENS1_35adjacent_difference_config_selectorILb1EfEEZNS1_24adjacent_difference_implIS3_Lb1ELb0EPfS7_N6thrust23THRUST_200600_302600_NS5minusIfEEEE10hipError_tPvRmT2_T3_mT4_P12ihipStream_tbEUlT_E_NS1_11comp_targetILNS1_3genE4ELNS1_11target_archE910ELNS1_3gpuE8ELNS1_3repE0EEENS1_30default_config_static_selectorELNS0_4arch9wavefront6targetE0EEEvT1_
    .private_segment_fixed_size: 0
    .sgpr_count:     0
    .sgpr_spill_count: 0
    .symbol:         _ZN7rocprim17ROCPRIM_400000_NS6detail17trampoline_kernelINS0_14default_configENS1_35adjacent_difference_config_selectorILb1EfEEZNS1_24adjacent_difference_implIS3_Lb1ELb0EPfS7_N6thrust23THRUST_200600_302600_NS5minusIfEEEE10hipError_tPvRmT2_T3_mT4_P12ihipStream_tbEUlT_E_NS1_11comp_targetILNS1_3genE4ELNS1_11target_archE910ELNS1_3gpuE8ELNS1_3repE0EEENS1_30default_config_static_selectorELNS0_4arch9wavefront6targetE0EEEvT1_.kd
    .uniform_work_group_size: 1
    .uses_dynamic_stack: false
    .vgpr_count:     0
    .vgpr_spill_count: 0
    .wavefront_size: 32
    .workgroup_processor_mode: 1
  - .args:
      - .offset:         0
        .size:           56
        .value_kind:     by_value
    .group_segment_fixed_size: 0
    .kernarg_segment_align: 8
    .kernarg_segment_size: 56
    .language:       OpenCL C
    .language_version:
      - 2
      - 0
    .max_flat_workgroup_size: 1024
    .name:           _ZN7rocprim17ROCPRIM_400000_NS6detail17trampoline_kernelINS0_14default_configENS1_35adjacent_difference_config_selectorILb1EfEEZNS1_24adjacent_difference_implIS3_Lb1ELb0EPfS7_N6thrust23THRUST_200600_302600_NS5minusIfEEEE10hipError_tPvRmT2_T3_mT4_P12ihipStream_tbEUlT_E_NS1_11comp_targetILNS1_3genE3ELNS1_11target_archE908ELNS1_3gpuE7ELNS1_3repE0EEENS1_30default_config_static_selectorELNS0_4arch9wavefront6targetE0EEEvT1_
    .private_segment_fixed_size: 0
    .sgpr_count:     0
    .sgpr_spill_count: 0
    .symbol:         _ZN7rocprim17ROCPRIM_400000_NS6detail17trampoline_kernelINS0_14default_configENS1_35adjacent_difference_config_selectorILb1EfEEZNS1_24adjacent_difference_implIS3_Lb1ELb0EPfS7_N6thrust23THRUST_200600_302600_NS5minusIfEEEE10hipError_tPvRmT2_T3_mT4_P12ihipStream_tbEUlT_E_NS1_11comp_targetILNS1_3genE3ELNS1_11target_archE908ELNS1_3gpuE7ELNS1_3repE0EEENS1_30default_config_static_selectorELNS0_4arch9wavefront6targetE0EEEvT1_.kd
    .uniform_work_group_size: 1
    .uses_dynamic_stack: false
    .vgpr_count:     0
    .vgpr_spill_count: 0
    .wavefront_size: 32
    .workgroup_processor_mode: 1
  - .args:
      - .offset:         0
        .size:           56
        .value_kind:     by_value
    .group_segment_fixed_size: 0
    .kernarg_segment_align: 8
    .kernarg_segment_size: 56
    .language:       OpenCL C
    .language_version:
      - 2
      - 0
    .max_flat_workgroup_size: 256
    .name:           _ZN7rocprim17ROCPRIM_400000_NS6detail17trampoline_kernelINS0_14default_configENS1_35adjacent_difference_config_selectorILb1EfEEZNS1_24adjacent_difference_implIS3_Lb1ELb0EPfS7_N6thrust23THRUST_200600_302600_NS5minusIfEEEE10hipError_tPvRmT2_T3_mT4_P12ihipStream_tbEUlT_E_NS1_11comp_targetILNS1_3genE2ELNS1_11target_archE906ELNS1_3gpuE6ELNS1_3repE0EEENS1_30default_config_static_selectorELNS0_4arch9wavefront6targetE0EEEvT1_
    .private_segment_fixed_size: 0
    .sgpr_count:     0
    .sgpr_spill_count: 0
    .symbol:         _ZN7rocprim17ROCPRIM_400000_NS6detail17trampoline_kernelINS0_14default_configENS1_35adjacent_difference_config_selectorILb1EfEEZNS1_24adjacent_difference_implIS3_Lb1ELb0EPfS7_N6thrust23THRUST_200600_302600_NS5minusIfEEEE10hipError_tPvRmT2_T3_mT4_P12ihipStream_tbEUlT_E_NS1_11comp_targetILNS1_3genE2ELNS1_11target_archE906ELNS1_3gpuE6ELNS1_3repE0EEENS1_30default_config_static_selectorELNS0_4arch9wavefront6targetE0EEEvT1_.kd
    .uniform_work_group_size: 1
    .uses_dynamic_stack: false
    .vgpr_count:     0
    .vgpr_spill_count: 0
    .wavefront_size: 32
    .workgroup_processor_mode: 1
  - .args:
      - .offset:         0
        .size:           56
        .value_kind:     by_value
    .group_segment_fixed_size: 14848
    .kernarg_segment_align: 8
    .kernarg_segment_size: 56
    .language:       OpenCL C
    .language_version:
      - 2
      - 0
    .max_flat_workgroup_size: 128
    .name:           _ZN7rocprim17ROCPRIM_400000_NS6detail17trampoline_kernelINS0_14default_configENS1_35adjacent_difference_config_selectorILb1EfEEZNS1_24adjacent_difference_implIS3_Lb1ELb0EPfS7_N6thrust23THRUST_200600_302600_NS5minusIfEEEE10hipError_tPvRmT2_T3_mT4_P12ihipStream_tbEUlT_E_NS1_11comp_targetILNS1_3genE9ELNS1_11target_archE1100ELNS1_3gpuE3ELNS1_3repE0EEENS1_30default_config_static_selectorELNS0_4arch9wavefront6targetE0EEEvT1_
    .private_segment_fixed_size: 0
    .sgpr_count:     46
    .sgpr_spill_count: 0
    .symbol:         _ZN7rocprim17ROCPRIM_400000_NS6detail17trampoline_kernelINS0_14default_configENS1_35adjacent_difference_config_selectorILb1EfEEZNS1_24adjacent_difference_implIS3_Lb1ELb0EPfS7_N6thrust23THRUST_200600_302600_NS5minusIfEEEE10hipError_tPvRmT2_T3_mT4_P12ihipStream_tbEUlT_E_NS1_11comp_targetILNS1_3genE9ELNS1_11target_archE1100ELNS1_3gpuE3ELNS1_3repE0EEENS1_30default_config_static_selectorELNS0_4arch9wavefront6targetE0EEEvT1_.kd
    .uniform_work_group_size: 1
    .uses_dynamic_stack: false
    .vgpr_count:     64
    .vgpr_spill_count: 0
    .wavefront_size: 32
    .workgroup_processor_mode: 1
  - .args:
      - .offset:         0
        .size:           56
        .value_kind:     by_value
    .group_segment_fixed_size: 0
    .kernarg_segment_align: 8
    .kernarg_segment_size: 56
    .language:       OpenCL C
    .language_version:
      - 2
      - 0
    .max_flat_workgroup_size: 32
    .name:           _ZN7rocprim17ROCPRIM_400000_NS6detail17trampoline_kernelINS0_14default_configENS1_35adjacent_difference_config_selectorILb1EfEEZNS1_24adjacent_difference_implIS3_Lb1ELb0EPfS7_N6thrust23THRUST_200600_302600_NS5minusIfEEEE10hipError_tPvRmT2_T3_mT4_P12ihipStream_tbEUlT_E_NS1_11comp_targetILNS1_3genE8ELNS1_11target_archE1030ELNS1_3gpuE2ELNS1_3repE0EEENS1_30default_config_static_selectorELNS0_4arch9wavefront6targetE0EEEvT1_
    .private_segment_fixed_size: 0
    .sgpr_count:     0
    .sgpr_spill_count: 0
    .symbol:         _ZN7rocprim17ROCPRIM_400000_NS6detail17trampoline_kernelINS0_14default_configENS1_35adjacent_difference_config_selectorILb1EfEEZNS1_24adjacent_difference_implIS3_Lb1ELb0EPfS7_N6thrust23THRUST_200600_302600_NS5minusIfEEEE10hipError_tPvRmT2_T3_mT4_P12ihipStream_tbEUlT_E_NS1_11comp_targetILNS1_3genE8ELNS1_11target_archE1030ELNS1_3gpuE2ELNS1_3repE0EEENS1_30default_config_static_selectorELNS0_4arch9wavefront6targetE0EEEvT1_.kd
    .uniform_work_group_size: 1
    .uses_dynamic_stack: false
    .vgpr_count:     0
    .vgpr_spill_count: 0
    .wavefront_size: 32
    .workgroup_processor_mode: 1
  - .args:
      - .offset:         0
        .size:           56
        .value_kind:     by_value
    .group_segment_fixed_size: 0
    .kernarg_segment_align: 8
    .kernarg_segment_size: 56
    .language:       OpenCL C
    .language_version:
      - 2
      - 0
    .max_flat_workgroup_size: 128
    .name:           _ZN7rocprim17ROCPRIM_400000_NS6detail17trampoline_kernelINS0_14default_configENS1_35adjacent_difference_config_selectorILb0EfEEZNS1_24adjacent_difference_implIS3_Lb0ELb0EPfS7_N6thrust23THRUST_200600_302600_NS4plusIfEEEE10hipError_tPvRmT2_T3_mT4_P12ihipStream_tbEUlT_E_NS1_11comp_targetILNS1_3genE0ELNS1_11target_archE4294967295ELNS1_3gpuE0ELNS1_3repE0EEENS1_30default_config_static_selectorELNS0_4arch9wavefront6targetE0EEEvT1_
    .private_segment_fixed_size: 0
    .sgpr_count:     0
    .sgpr_spill_count: 0
    .symbol:         _ZN7rocprim17ROCPRIM_400000_NS6detail17trampoline_kernelINS0_14default_configENS1_35adjacent_difference_config_selectorILb0EfEEZNS1_24adjacent_difference_implIS3_Lb0ELb0EPfS7_N6thrust23THRUST_200600_302600_NS4plusIfEEEE10hipError_tPvRmT2_T3_mT4_P12ihipStream_tbEUlT_E_NS1_11comp_targetILNS1_3genE0ELNS1_11target_archE4294967295ELNS1_3gpuE0ELNS1_3repE0EEENS1_30default_config_static_selectorELNS0_4arch9wavefront6targetE0EEEvT1_.kd
    .uniform_work_group_size: 1
    .uses_dynamic_stack: false
    .vgpr_count:     0
    .vgpr_spill_count: 0
    .wavefront_size: 32
    .workgroup_processor_mode: 1
  - .args:
      - .offset:         0
        .size:           56
        .value_kind:     by_value
    .group_segment_fixed_size: 0
    .kernarg_segment_align: 8
    .kernarg_segment_size: 56
    .language:       OpenCL C
    .language_version:
      - 2
      - 0
    .max_flat_workgroup_size: 1024
    .name:           _ZN7rocprim17ROCPRIM_400000_NS6detail17trampoline_kernelINS0_14default_configENS1_35adjacent_difference_config_selectorILb0EfEEZNS1_24adjacent_difference_implIS3_Lb0ELb0EPfS7_N6thrust23THRUST_200600_302600_NS4plusIfEEEE10hipError_tPvRmT2_T3_mT4_P12ihipStream_tbEUlT_E_NS1_11comp_targetILNS1_3genE10ELNS1_11target_archE1201ELNS1_3gpuE5ELNS1_3repE0EEENS1_30default_config_static_selectorELNS0_4arch9wavefront6targetE0EEEvT1_
    .private_segment_fixed_size: 0
    .sgpr_count:     0
    .sgpr_spill_count: 0
    .symbol:         _ZN7rocprim17ROCPRIM_400000_NS6detail17trampoline_kernelINS0_14default_configENS1_35adjacent_difference_config_selectorILb0EfEEZNS1_24adjacent_difference_implIS3_Lb0ELb0EPfS7_N6thrust23THRUST_200600_302600_NS4plusIfEEEE10hipError_tPvRmT2_T3_mT4_P12ihipStream_tbEUlT_E_NS1_11comp_targetILNS1_3genE10ELNS1_11target_archE1201ELNS1_3gpuE5ELNS1_3repE0EEENS1_30default_config_static_selectorELNS0_4arch9wavefront6targetE0EEEvT1_.kd
    .uniform_work_group_size: 1
    .uses_dynamic_stack: false
    .vgpr_count:     0
    .vgpr_spill_count: 0
    .wavefront_size: 32
    .workgroup_processor_mode: 1
  - .args:
      - .offset:         0
        .size:           56
        .value_kind:     by_value
    .group_segment_fixed_size: 0
    .kernarg_segment_align: 8
    .kernarg_segment_size: 56
    .language:       OpenCL C
    .language_version:
      - 2
      - 0
    .max_flat_workgroup_size: 64
    .name:           _ZN7rocprim17ROCPRIM_400000_NS6detail17trampoline_kernelINS0_14default_configENS1_35adjacent_difference_config_selectorILb0EfEEZNS1_24adjacent_difference_implIS3_Lb0ELb0EPfS7_N6thrust23THRUST_200600_302600_NS4plusIfEEEE10hipError_tPvRmT2_T3_mT4_P12ihipStream_tbEUlT_E_NS1_11comp_targetILNS1_3genE5ELNS1_11target_archE942ELNS1_3gpuE9ELNS1_3repE0EEENS1_30default_config_static_selectorELNS0_4arch9wavefront6targetE0EEEvT1_
    .private_segment_fixed_size: 0
    .sgpr_count:     0
    .sgpr_spill_count: 0
    .symbol:         _ZN7rocprim17ROCPRIM_400000_NS6detail17trampoline_kernelINS0_14default_configENS1_35adjacent_difference_config_selectorILb0EfEEZNS1_24adjacent_difference_implIS3_Lb0ELb0EPfS7_N6thrust23THRUST_200600_302600_NS4plusIfEEEE10hipError_tPvRmT2_T3_mT4_P12ihipStream_tbEUlT_E_NS1_11comp_targetILNS1_3genE5ELNS1_11target_archE942ELNS1_3gpuE9ELNS1_3repE0EEENS1_30default_config_static_selectorELNS0_4arch9wavefront6targetE0EEEvT1_.kd
    .uniform_work_group_size: 1
    .uses_dynamic_stack: false
    .vgpr_count:     0
    .vgpr_spill_count: 0
    .wavefront_size: 32
    .workgroup_processor_mode: 1
  - .args:
      - .offset:         0
        .size:           56
        .value_kind:     by_value
    .group_segment_fixed_size: 0
    .kernarg_segment_align: 8
    .kernarg_segment_size: 56
    .language:       OpenCL C
    .language_version:
      - 2
      - 0
    .max_flat_workgroup_size: 512
    .name:           _ZN7rocprim17ROCPRIM_400000_NS6detail17trampoline_kernelINS0_14default_configENS1_35adjacent_difference_config_selectorILb0EfEEZNS1_24adjacent_difference_implIS3_Lb0ELb0EPfS7_N6thrust23THRUST_200600_302600_NS4plusIfEEEE10hipError_tPvRmT2_T3_mT4_P12ihipStream_tbEUlT_E_NS1_11comp_targetILNS1_3genE4ELNS1_11target_archE910ELNS1_3gpuE8ELNS1_3repE0EEENS1_30default_config_static_selectorELNS0_4arch9wavefront6targetE0EEEvT1_
    .private_segment_fixed_size: 0
    .sgpr_count:     0
    .sgpr_spill_count: 0
    .symbol:         _ZN7rocprim17ROCPRIM_400000_NS6detail17trampoline_kernelINS0_14default_configENS1_35adjacent_difference_config_selectorILb0EfEEZNS1_24adjacent_difference_implIS3_Lb0ELb0EPfS7_N6thrust23THRUST_200600_302600_NS4plusIfEEEE10hipError_tPvRmT2_T3_mT4_P12ihipStream_tbEUlT_E_NS1_11comp_targetILNS1_3genE4ELNS1_11target_archE910ELNS1_3gpuE8ELNS1_3repE0EEENS1_30default_config_static_selectorELNS0_4arch9wavefront6targetE0EEEvT1_.kd
    .uniform_work_group_size: 1
    .uses_dynamic_stack: false
    .vgpr_count:     0
    .vgpr_spill_count: 0
    .wavefront_size: 32
    .workgroup_processor_mode: 1
  - .args:
      - .offset:         0
        .size:           56
        .value_kind:     by_value
    .group_segment_fixed_size: 0
    .kernarg_segment_align: 8
    .kernarg_segment_size: 56
    .language:       OpenCL C
    .language_version:
      - 2
      - 0
    .max_flat_workgroup_size: 128
    .name:           _ZN7rocprim17ROCPRIM_400000_NS6detail17trampoline_kernelINS0_14default_configENS1_35adjacent_difference_config_selectorILb0EfEEZNS1_24adjacent_difference_implIS3_Lb0ELb0EPfS7_N6thrust23THRUST_200600_302600_NS4plusIfEEEE10hipError_tPvRmT2_T3_mT4_P12ihipStream_tbEUlT_E_NS1_11comp_targetILNS1_3genE3ELNS1_11target_archE908ELNS1_3gpuE7ELNS1_3repE0EEENS1_30default_config_static_selectorELNS0_4arch9wavefront6targetE0EEEvT1_
    .private_segment_fixed_size: 0
    .sgpr_count:     0
    .sgpr_spill_count: 0
    .symbol:         _ZN7rocprim17ROCPRIM_400000_NS6detail17trampoline_kernelINS0_14default_configENS1_35adjacent_difference_config_selectorILb0EfEEZNS1_24adjacent_difference_implIS3_Lb0ELb0EPfS7_N6thrust23THRUST_200600_302600_NS4plusIfEEEE10hipError_tPvRmT2_T3_mT4_P12ihipStream_tbEUlT_E_NS1_11comp_targetILNS1_3genE3ELNS1_11target_archE908ELNS1_3gpuE7ELNS1_3repE0EEENS1_30default_config_static_selectorELNS0_4arch9wavefront6targetE0EEEvT1_.kd
    .uniform_work_group_size: 1
    .uses_dynamic_stack: false
    .vgpr_count:     0
    .vgpr_spill_count: 0
    .wavefront_size: 32
    .workgroup_processor_mode: 1
  - .args:
      - .offset:         0
        .size:           56
        .value_kind:     by_value
    .group_segment_fixed_size: 0
    .kernarg_segment_align: 8
    .kernarg_segment_size: 56
    .language:       OpenCL C
    .language_version:
      - 2
      - 0
    .max_flat_workgroup_size: 1024
    .name:           _ZN7rocprim17ROCPRIM_400000_NS6detail17trampoline_kernelINS0_14default_configENS1_35adjacent_difference_config_selectorILb0EfEEZNS1_24adjacent_difference_implIS3_Lb0ELb0EPfS7_N6thrust23THRUST_200600_302600_NS4plusIfEEEE10hipError_tPvRmT2_T3_mT4_P12ihipStream_tbEUlT_E_NS1_11comp_targetILNS1_3genE2ELNS1_11target_archE906ELNS1_3gpuE6ELNS1_3repE0EEENS1_30default_config_static_selectorELNS0_4arch9wavefront6targetE0EEEvT1_
    .private_segment_fixed_size: 0
    .sgpr_count:     0
    .sgpr_spill_count: 0
    .symbol:         _ZN7rocprim17ROCPRIM_400000_NS6detail17trampoline_kernelINS0_14default_configENS1_35adjacent_difference_config_selectorILb0EfEEZNS1_24adjacent_difference_implIS3_Lb0ELb0EPfS7_N6thrust23THRUST_200600_302600_NS4plusIfEEEE10hipError_tPvRmT2_T3_mT4_P12ihipStream_tbEUlT_E_NS1_11comp_targetILNS1_3genE2ELNS1_11target_archE906ELNS1_3gpuE6ELNS1_3repE0EEENS1_30default_config_static_selectorELNS0_4arch9wavefront6targetE0EEEvT1_.kd
    .uniform_work_group_size: 1
    .uses_dynamic_stack: false
    .vgpr_count:     0
    .vgpr_spill_count: 0
    .wavefront_size: 32
    .workgroup_processor_mode: 1
  - .args:
      - .offset:         0
        .size:           56
        .value_kind:     by_value
    .group_segment_fixed_size: 20480
    .kernarg_segment_align: 8
    .kernarg_segment_size: 56
    .language:       OpenCL C
    .language_version:
      - 2
      - 0
    .max_flat_workgroup_size: 1024
    .name:           _ZN7rocprim17ROCPRIM_400000_NS6detail17trampoline_kernelINS0_14default_configENS1_35adjacent_difference_config_selectorILb0EfEEZNS1_24adjacent_difference_implIS3_Lb0ELb0EPfS7_N6thrust23THRUST_200600_302600_NS4plusIfEEEE10hipError_tPvRmT2_T3_mT4_P12ihipStream_tbEUlT_E_NS1_11comp_targetILNS1_3genE9ELNS1_11target_archE1100ELNS1_3gpuE3ELNS1_3repE0EEENS1_30default_config_static_selectorELNS0_4arch9wavefront6targetE0EEEvT1_
    .private_segment_fixed_size: 0
    .sgpr_count:     23
    .sgpr_spill_count: 0
    .symbol:         _ZN7rocprim17ROCPRIM_400000_NS6detail17trampoline_kernelINS0_14default_configENS1_35adjacent_difference_config_selectorILb0EfEEZNS1_24adjacent_difference_implIS3_Lb0ELb0EPfS7_N6thrust23THRUST_200600_302600_NS4plusIfEEEE10hipError_tPvRmT2_T3_mT4_P12ihipStream_tbEUlT_E_NS1_11comp_targetILNS1_3genE9ELNS1_11target_archE1100ELNS1_3gpuE3ELNS1_3repE0EEENS1_30default_config_static_selectorELNS0_4arch9wavefront6targetE0EEEvT1_.kd
    .uniform_work_group_size: 1
    .uses_dynamic_stack: false
    .vgpr_count:     17
    .vgpr_spill_count: 0
    .wavefront_size: 32
    .workgroup_processor_mode: 1
  - .args:
      - .offset:         0
        .size:           56
        .value_kind:     by_value
    .group_segment_fixed_size: 0
    .kernarg_segment_align: 8
    .kernarg_segment_size: 56
    .language:       OpenCL C
    .language_version:
      - 2
      - 0
    .max_flat_workgroup_size: 1024
    .name:           _ZN7rocprim17ROCPRIM_400000_NS6detail17trampoline_kernelINS0_14default_configENS1_35adjacent_difference_config_selectorILb0EfEEZNS1_24adjacent_difference_implIS3_Lb0ELb0EPfS7_N6thrust23THRUST_200600_302600_NS4plusIfEEEE10hipError_tPvRmT2_T3_mT4_P12ihipStream_tbEUlT_E_NS1_11comp_targetILNS1_3genE8ELNS1_11target_archE1030ELNS1_3gpuE2ELNS1_3repE0EEENS1_30default_config_static_selectorELNS0_4arch9wavefront6targetE0EEEvT1_
    .private_segment_fixed_size: 0
    .sgpr_count:     0
    .sgpr_spill_count: 0
    .symbol:         _ZN7rocprim17ROCPRIM_400000_NS6detail17trampoline_kernelINS0_14default_configENS1_35adjacent_difference_config_selectorILb0EfEEZNS1_24adjacent_difference_implIS3_Lb0ELb0EPfS7_N6thrust23THRUST_200600_302600_NS4plusIfEEEE10hipError_tPvRmT2_T3_mT4_P12ihipStream_tbEUlT_E_NS1_11comp_targetILNS1_3genE8ELNS1_11target_archE1030ELNS1_3gpuE2ELNS1_3repE0EEENS1_30default_config_static_selectorELNS0_4arch9wavefront6targetE0EEEvT1_.kd
    .uniform_work_group_size: 1
    .uses_dynamic_stack: false
    .vgpr_count:     0
    .vgpr_spill_count: 0
    .wavefront_size: 32
    .workgroup_processor_mode: 1
  - .args:
      - .offset:         0
        .size:           56
        .value_kind:     by_value
    .group_segment_fixed_size: 0
    .kernarg_segment_align: 8
    .kernarg_segment_size: 56
    .language:       OpenCL C
    .language_version:
      - 2
      - 0
    .max_flat_workgroup_size: 128
    .name:           _ZN7rocprim17ROCPRIM_400000_NS6detail17trampoline_kernelINS0_14default_configENS1_25transform_config_selectorIfLb0EEEZNS1_14transform_implILb0ES3_S5_NS0_18transform_iteratorINS0_17counting_iteratorImlEEZNS1_24adjacent_difference_implIS3_Lb1ELb0EPfSB_N6thrust23THRUST_200600_302600_NS4plusIfEEEE10hipError_tPvRmT2_T3_mT4_P12ihipStream_tbEUlmE_fEESB_NS0_8identityIvEEEESG_SJ_SK_mSL_SN_bEUlT_E_NS1_11comp_targetILNS1_3genE0ELNS1_11target_archE4294967295ELNS1_3gpuE0ELNS1_3repE0EEENS1_30default_config_static_selectorELNS0_4arch9wavefront6targetE0EEEvT1_
    .private_segment_fixed_size: 0
    .sgpr_count:     0
    .sgpr_spill_count: 0
    .symbol:         _ZN7rocprim17ROCPRIM_400000_NS6detail17trampoline_kernelINS0_14default_configENS1_25transform_config_selectorIfLb0EEEZNS1_14transform_implILb0ES3_S5_NS0_18transform_iteratorINS0_17counting_iteratorImlEEZNS1_24adjacent_difference_implIS3_Lb1ELb0EPfSB_N6thrust23THRUST_200600_302600_NS4plusIfEEEE10hipError_tPvRmT2_T3_mT4_P12ihipStream_tbEUlmE_fEESB_NS0_8identityIvEEEESG_SJ_SK_mSL_SN_bEUlT_E_NS1_11comp_targetILNS1_3genE0ELNS1_11target_archE4294967295ELNS1_3gpuE0ELNS1_3repE0EEENS1_30default_config_static_selectorELNS0_4arch9wavefront6targetE0EEEvT1_.kd
    .uniform_work_group_size: 1
    .uses_dynamic_stack: false
    .vgpr_count:     0
    .vgpr_spill_count: 0
    .wavefront_size: 32
    .workgroup_processor_mode: 1
  - .args:
      - .offset:         0
        .size:           56
        .value_kind:     by_value
    .group_segment_fixed_size: 0
    .kernarg_segment_align: 8
    .kernarg_segment_size: 56
    .language:       OpenCL C
    .language_version:
      - 2
      - 0
    .max_flat_workgroup_size: 256
    .name:           _ZN7rocprim17ROCPRIM_400000_NS6detail17trampoline_kernelINS0_14default_configENS1_25transform_config_selectorIfLb0EEEZNS1_14transform_implILb0ES3_S5_NS0_18transform_iteratorINS0_17counting_iteratorImlEEZNS1_24adjacent_difference_implIS3_Lb1ELb0EPfSB_N6thrust23THRUST_200600_302600_NS4plusIfEEEE10hipError_tPvRmT2_T3_mT4_P12ihipStream_tbEUlmE_fEESB_NS0_8identityIvEEEESG_SJ_SK_mSL_SN_bEUlT_E_NS1_11comp_targetILNS1_3genE5ELNS1_11target_archE942ELNS1_3gpuE9ELNS1_3repE0EEENS1_30default_config_static_selectorELNS0_4arch9wavefront6targetE0EEEvT1_
    .private_segment_fixed_size: 0
    .sgpr_count:     0
    .sgpr_spill_count: 0
    .symbol:         _ZN7rocprim17ROCPRIM_400000_NS6detail17trampoline_kernelINS0_14default_configENS1_25transform_config_selectorIfLb0EEEZNS1_14transform_implILb0ES3_S5_NS0_18transform_iteratorINS0_17counting_iteratorImlEEZNS1_24adjacent_difference_implIS3_Lb1ELb0EPfSB_N6thrust23THRUST_200600_302600_NS4plusIfEEEE10hipError_tPvRmT2_T3_mT4_P12ihipStream_tbEUlmE_fEESB_NS0_8identityIvEEEESG_SJ_SK_mSL_SN_bEUlT_E_NS1_11comp_targetILNS1_3genE5ELNS1_11target_archE942ELNS1_3gpuE9ELNS1_3repE0EEENS1_30default_config_static_selectorELNS0_4arch9wavefront6targetE0EEEvT1_.kd
    .uniform_work_group_size: 1
    .uses_dynamic_stack: false
    .vgpr_count:     0
    .vgpr_spill_count: 0
    .wavefront_size: 32
    .workgroup_processor_mode: 1
  - .args:
      - .offset:         0
        .size:           56
        .value_kind:     by_value
    .group_segment_fixed_size: 0
    .kernarg_segment_align: 8
    .kernarg_segment_size: 56
    .language:       OpenCL C
    .language_version:
      - 2
      - 0
    .max_flat_workgroup_size: 1024
    .name:           _ZN7rocprim17ROCPRIM_400000_NS6detail17trampoline_kernelINS0_14default_configENS1_25transform_config_selectorIfLb0EEEZNS1_14transform_implILb0ES3_S5_NS0_18transform_iteratorINS0_17counting_iteratorImlEEZNS1_24adjacent_difference_implIS3_Lb1ELb0EPfSB_N6thrust23THRUST_200600_302600_NS4plusIfEEEE10hipError_tPvRmT2_T3_mT4_P12ihipStream_tbEUlmE_fEESB_NS0_8identityIvEEEESG_SJ_SK_mSL_SN_bEUlT_E_NS1_11comp_targetILNS1_3genE4ELNS1_11target_archE910ELNS1_3gpuE8ELNS1_3repE0EEENS1_30default_config_static_selectorELNS0_4arch9wavefront6targetE0EEEvT1_
    .private_segment_fixed_size: 0
    .sgpr_count:     0
    .sgpr_spill_count: 0
    .symbol:         _ZN7rocprim17ROCPRIM_400000_NS6detail17trampoline_kernelINS0_14default_configENS1_25transform_config_selectorIfLb0EEEZNS1_14transform_implILb0ES3_S5_NS0_18transform_iteratorINS0_17counting_iteratorImlEEZNS1_24adjacent_difference_implIS3_Lb1ELb0EPfSB_N6thrust23THRUST_200600_302600_NS4plusIfEEEE10hipError_tPvRmT2_T3_mT4_P12ihipStream_tbEUlmE_fEESB_NS0_8identityIvEEEESG_SJ_SK_mSL_SN_bEUlT_E_NS1_11comp_targetILNS1_3genE4ELNS1_11target_archE910ELNS1_3gpuE8ELNS1_3repE0EEENS1_30default_config_static_selectorELNS0_4arch9wavefront6targetE0EEEvT1_.kd
    .uniform_work_group_size: 1
    .uses_dynamic_stack: false
    .vgpr_count:     0
    .vgpr_spill_count: 0
    .wavefront_size: 32
    .workgroup_processor_mode: 1
  - .args:
      - .offset:         0
        .size:           56
        .value_kind:     by_value
    .group_segment_fixed_size: 0
    .kernarg_segment_align: 8
    .kernarg_segment_size: 56
    .language:       OpenCL C
    .language_version:
      - 2
      - 0
    .max_flat_workgroup_size: 128
    .name:           _ZN7rocprim17ROCPRIM_400000_NS6detail17trampoline_kernelINS0_14default_configENS1_25transform_config_selectorIfLb0EEEZNS1_14transform_implILb0ES3_S5_NS0_18transform_iteratorINS0_17counting_iteratorImlEEZNS1_24adjacent_difference_implIS3_Lb1ELb0EPfSB_N6thrust23THRUST_200600_302600_NS4plusIfEEEE10hipError_tPvRmT2_T3_mT4_P12ihipStream_tbEUlmE_fEESB_NS0_8identityIvEEEESG_SJ_SK_mSL_SN_bEUlT_E_NS1_11comp_targetILNS1_3genE3ELNS1_11target_archE908ELNS1_3gpuE7ELNS1_3repE0EEENS1_30default_config_static_selectorELNS0_4arch9wavefront6targetE0EEEvT1_
    .private_segment_fixed_size: 0
    .sgpr_count:     0
    .sgpr_spill_count: 0
    .symbol:         _ZN7rocprim17ROCPRIM_400000_NS6detail17trampoline_kernelINS0_14default_configENS1_25transform_config_selectorIfLb0EEEZNS1_14transform_implILb0ES3_S5_NS0_18transform_iteratorINS0_17counting_iteratorImlEEZNS1_24adjacent_difference_implIS3_Lb1ELb0EPfSB_N6thrust23THRUST_200600_302600_NS4plusIfEEEE10hipError_tPvRmT2_T3_mT4_P12ihipStream_tbEUlmE_fEESB_NS0_8identityIvEEEESG_SJ_SK_mSL_SN_bEUlT_E_NS1_11comp_targetILNS1_3genE3ELNS1_11target_archE908ELNS1_3gpuE7ELNS1_3repE0EEENS1_30default_config_static_selectorELNS0_4arch9wavefront6targetE0EEEvT1_.kd
    .uniform_work_group_size: 1
    .uses_dynamic_stack: false
    .vgpr_count:     0
    .vgpr_spill_count: 0
    .wavefront_size: 32
    .workgroup_processor_mode: 1
  - .args:
      - .offset:         0
        .size:           56
        .value_kind:     by_value
    .group_segment_fixed_size: 0
    .kernarg_segment_align: 8
    .kernarg_segment_size: 56
    .language:       OpenCL C
    .language_version:
      - 2
      - 0
    .max_flat_workgroup_size: 1024
    .name:           _ZN7rocprim17ROCPRIM_400000_NS6detail17trampoline_kernelINS0_14default_configENS1_25transform_config_selectorIfLb0EEEZNS1_14transform_implILb0ES3_S5_NS0_18transform_iteratorINS0_17counting_iteratorImlEEZNS1_24adjacent_difference_implIS3_Lb1ELb0EPfSB_N6thrust23THRUST_200600_302600_NS4plusIfEEEE10hipError_tPvRmT2_T3_mT4_P12ihipStream_tbEUlmE_fEESB_NS0_8identityIvEEEESG_SJ_SK_mSL_SN_bEUlT_E_NS1_11comp_targetILNS1_3genE2ELNS1_11target_archE906ELNS1_3gpuE6ELNS1_3repE0EEENS1_30default_config_static_selectorELNS0_4arch9wavefront6targetE0EEEvT1_
    .private_segment_fixed_size: 0
    .sgpr_count:     0
    .sgpr_spill_count: 0
    .symbol:         _ZN7rocprim17ROCPRIM_400000_NS6detail17trampoline_kernelINS0_14default_configENS1_25transform_config_selectorIfLb0EEEZNS1_14transform_implILb0ES3_S5_NS0_18transform_iteratorINS0_17counting_iteratorImlEEZNS1_24adjacent_difference_implIS3_Lb1ELb0EPfSB_N6thrust23THRUST_200600_302600_NS4plusIfEEEE10hipError_tPvRmT2_T3_mT4_P12ihipStream_tbEUlmE_fEESB_NS0_8identityIvEEEESG_SJ_SK_mSL_SN_bEUlT_E_NS1_11comp_targetILNS1_3genE2ELNS1_11target_archE906ELNS1_3gpuE6ELNS1_3repE0EEENS1_30default_config_static_selectorELNS0_4arch9wavefront6targetE0EEEvT1_.kd
    .uniform_work_group_size: 1
    .uses_dynamic_stack: false
    .vgpr_count:     0
    .vgpr_spill_count: 0
    .wavefront_size: 32
    .workgroup_processor_mode: 1
  - .args:
      - .offset:         0
        .size:           56
        .value_kind:     by_value
    .group_segment_fixed_size: 0
    .kernarg_segment_align: 8
    .kernarg_segment_size: 56
    .language:       OpenCL C
    .language_version:
      - 2
      - 0
    .max_flat_workgroup_size: 512
    .name:           _ZN7rocprim17ROCPRIM_400000_NS6detail17trampoline_kernelINS0_14default_configENS1_25transform_config_selectorIfLb0EEEZNS1_14transform_implILb0ES3_S5_NS0_18transform_iteratorINS0_17counting_iteratorImlEEZNS1_24adjacent_difference_implIS3_Lb1ELb0EPfSB_N6thrust23THRUST_200600_302600_NS4plusIfEEEE10hipError_tPvRmT2_T3_mT4_P12ihipStream_tbEUlmE_fEESB_NS0_8identityIvEEEESG_SJ_SK_mSL_SN_bEUlT_E_NS1_11comp_targetILNS1_3genE10ELNS1_11target_archE1201ELNS1_3gpuE5ELNS1_3repE0EEENS1_30default_config_static_selectorELNS0_4arch9wavefront6targetE0EEEvT1_
    .private_segment_fixed_size: 0
    .sgpr_count:     0
    .sgpr_spill_count: 0
    .symbol:         _ZN7rocprim17ROCPRIM_400000_NS6detail17trampoline_kernelINS0_14default_configENS1_25transform_config_selectorIfLb0EEEZNS1_14transform_implILb0ES3_S5_NS0_18transform_iteratorINS0_17counting_iteratorImlEEZNS1_24adjacent_difference_implIS3_Lb1ELb0EPfSB_N6thrust23THRUST_200600_302600_NS4plusIfEEEE10hipError_tPvRmT2_T3_mT4_P12ihipStream_tbEUlmE_fEESB_NS0_8identityIvEEEESG_SJ_SK_mSL_SN_bEUlT_E_NS1_11comp_targetILNS1_3genE10ELNS1_11target_archE1201ELNS1_3gpuE5ELNS1_3repE0EEENS1_30default_config_static_selectorELNS0_4arch9wavefront6targetE0EEEvT1_.kd
    .uniform_work_group_size: 1
    .uses_dynamic_stack: false
    .vgpr_count:     0
    .vgpr_spill_count: 0
    .wavefront_size: 32
    .workgroup_processor_mode: 1
  - .args:
      - .offset:         0
        .size:           56
        .value_kind:     by_value
    .group_segment_fixed_size: 0
    .kernarg_segment_align: 8
    .kernarg_segment_size: 56
    .language:       OpenCL C
    .language_version:
      - 2
      - 0
    .max_flat_workgroup_size: 512
    .name:           _ZN7rocprim17ROCPRIM_400000_NS6detail17trampoline_kernelINS0_14default_configENS1_25transform_config_selectorIfLb0EEEZNS1_14transform_implILb0ES3_S5_NS0_18transform_iteratorINS0_17counting_iteratorImlEEZNS1_24adjacent_difference_implIS3_Lb1ELb0EPfSB_N6thrust23THRUST_200600_302600_NS4plusIfEEEE10hipError_tPvRmT2_T3_mT4_P12ihipStream_tbEUlmE_fEESB_NS0_8identityIvEEEESG_SJ_SK_mSL_SN_bEUlT_E_NS1_11comp_targetILNS1_3genE10ELNS1_11target_archE1200ELNS1_3gpuE4ELNS1_3repE0EEENS1_30default_config_static_selectorELNS0_4arch9wavefront6targetE0EEEvT1_
    .private_segment_fixed_size: 0
    .sgpr_count:     0
    .sgpr_spill_count: 0
    .symbol:         _ZN7rocprim17ROCPRIM_400000_NS6detail17trampoline_kernelINS0_14default_configENS1_25transform_config_selectorIfLb0EEEZNS1_14transform_implILb0ES3_S5_NS0_18transform_iteratorINS0_17counting_iteratorImlEEZNS1_24adjacent_difference_implIS3_Lb1ELb0EPfSB_N6thrust23THRUST_200600_302600_NS4plusIfEEEE10hipError_tPvRmT2_T3_mT4_P12ihipStream_tbEUlmE_fEESB_NS0_8identityIvEEEESG_SJ_SK_mSL_SN_bEUlT_E_NS1_11comp_targetILNS1_3genE10ELNS1_11target_archE1200ELNS1_3gpuE4ELNS1_3repE0EEENS1_30default_config_static_selectorELNS0_4arch9wavefront6targetE0EEEvT1_.kd
    .uniform_work_group_size: 1
    .uses_dynamic_stack: false
    .vgpr_count:     0
    .vgpr_spill_count: 0
    .wavefront_size: 32
    .workgroup_processor_mode: 1
  - .args:
      - .offset:         0
        .size:           56
        .value_kind:     by_value
      - .offset:         56
        .size:           4
        .value_kind:     hidden_block_count_x
      - .offset:         60
        .size:           4
        .value_kind:     hidden_block_count_y
      - .offset:         64
        .size:           4
        .value_kind:     hidden_block_count_z
      - .offset:         68
        .size:           2
        .value_kind:     hidden_group_size_x
      - .offset:         70
        .size:           2
        .value_kind:     hidden_group_size_y
      - .offset:         72
        .size:           2
        .value_kind:     hidden_group_size_z
      - .offset:         74
        .size:           2
        .value_kind:     hidden_remainder_x
      - .offset:         76
        .size:           2
        .value_kind:     hidden_remainder_y
      - .offset:         78
        .size:           2
        .value_kind:     hidden_remainder_z
      - .offset:         96
        .size:           8
        .value_kind:     hidden_global_offset_x
      - .offset:         104
        .size:           8
        .value_kind:     hidden_global_offset_y
      - .offset:         112
        .size:           8
        .value_kind:     hidden_global_offset_z
      - .offset:         120
        .size:           2
        .value_kind:     hidden_grid_dims
    .group_segment_fixed_size: 0
    .kernarg_segment_align: 8
    .kernarg_segment_size: 312
    .language:       OpenCL C
    .language_version:
      - 2
      - 0
    .max_flat_workgroup_size: 1024
    .name:           _ZN7rocprim17ROCPRIM_400000_NS6detail17trampoline_kernelINS0_14default_configENS1_25transform_config_selectorIfLb0EEEZNS1_14transform_implILb0ES3_S5_NS0_18transform_iteratorINS0_17counting_iteratorImlEEZNS1_24adjacent_difference_implIS3_Lb1ELb0EPfSB_N6thrust23THRUST_200600_302600_NS4plusIfEEEE10hipError_tPvRmT2_T3_mT4_P12ihipStream_tbEUlmE_fEESB_NS0_8identityIvEEEESG_SJ_SK_mSL_SN_bEUlT_E_NS1_11comp_targetILNS1_3genE9ELNS1_11target_archE1100ELNS1_3gpuE3ELNS1_3repE0EEENS1_30default_config_static_selectorELNS0_4arch9wavefront6targetE0EEEvT1_
    .private_segment_fixed_size: 0
    .sgpr_count:     18
    .sgpr_spill_count: 0
    .symbol:         _ZN7rocprim17ROCPRIM_400000_NS6detail17trampoline_kernelINS0_14default_configENS1_25transform_config_selectorIfLb0EEEZNS1_14transform_implILb0ES3_S5_NS0_18transform_iteratorINS0_17counting_iteratorImlEEZNS1_24adjacent_difference_implIS3_Lb1ELb0EPfSB_N6thrust23THRUST_200600_302600_NS4plusIfEEEE10hipError_tPvRmT2_T3_mT4_P12ihipStream_tbEUlmE_fEESB_NS0_8identityIvEEEESG_SJ_SK_mSL_SN_bEUlT_E_NS1_11comp_targetILNS1_3genE9ELNS1_11target_archE1100ELNS1_3gpuE3ELNS1_3repE0EEENS1_30default_config_static_selectorELNS0_4arch9wavefront6targetE0EEEvT1_.kd
    .uniform_work_group_size: 1
    .uses_dynamic_stack: false
    .vgpr_count:     6
    .vgpr_spill_count: 0
    .wavefront_size: 32
    .workgroup_processor_mode: 1
  - .args:
      - .offset:         0
        .size:           56
        .value_kind:     by_value
    .group_segment_fixed_size: 0
    .kernarg_segment_align: 8
    .kernarg_segment_size: 56
    .language:       OpenCL C
    .language_version:
      - 2
      - 0
    .max_flat_workgroup_size: 256
    .name:           _ZN7rocprim17ROCPRIM_400000_NS6detail17trampoline_kernelINS0_14default_configENS1_25transform_config_selectorIfLb0EEEZNS1_14transform_implILb0ES3_S5_NS0_18transform_iteratorINS0_17counting_iteratorImlEEZNS1_24adjacent_difference_implIS3_Lb1ELb0EPfSB_N6thrust23THRUST_200600_302600_NS4plusIfEEEE10hipError_tPvRmT2_T3_mT4_P12ihipStream_tbEUlmE_fEESB_NS0_8identityIvEEEESG_SJ_SK_mSL_SN_bEUlT_E_NS1_11comp_targetILNS1_3genE8ELNS1_11target_archE1030ELNS1_3gpuE2ELNS1_3repE0EEENS1_30default_config_static_selectorELNS0_4arch9wavefront6targetE0EEEvT1_
    .private_segment_fixed_size: 0
    .sgpr_count:     0
    .sgpr_spill_count: 0
    .symbol:         _ZN7rocprim17ROCPRIM_400000_NS6detail17trampoline_kernelINS0_14default_configENS1_25transform_config_selectorIfLb0EEEZNS1_14transform_implILb0ES3_S5_NS0_18transform_iteratorINS0_17counting_iteratorImlEEZNS1_24adjacent_difference_implIS3_Lb1ELb0EPfSB_N6thrust23THRUST_200600_302600_NS4plusIfEEEE10hipError_tPvRmT2_T3_mT4_P12ihipStream_tbEUlmE_fEESB_NS0_8identityIvEEEESG_SJ_SK_mSL_SN_bEUlT_E_NS1_11comp_targetILNS1_3genE8ELNS1_11target_archE1030ELNS1_3gpuE2ELNS1_3repE0EEENS1_30default_config_static_selectorELNS0_4arch9wavefront6targetE0EEEvT1_.kd
    .uniform_work_group_size: 1
    .uses_dynamic_stack: false
    .vgpr_count:     0
    .vgpr_spill_count: 0
    .wavefront_size: 32
    .workgroup_processor_mode: 1
  - .args:
      - .offset:         0
        .size:           56
        .value_kind:     by_value
    .group_segment_fixed_size: 0
    .kernarg_segment_align: 8
    .kernarg_segment_size: 56
    .language:       OpenCL C
    .language_version:
      - 2
      - 0
    .max_flat_workgroup_size: 1024
    .name:           _ZN7rocprim17ROCPRIM_400000_NS6detail17trampoline_kernelINS0_14default_configENS1_35adjacent_difference_config_selectorILb1EfEEZNS1_24adjacent_difference_implIS3_Lb1ELb0EPfS7_N6thrust23THRUST_200600_302600_NS4plusIfEEEE10hipError_tPvRmT2_T3_mT4_P12ihipStream_tbEUlT_E_NS1_11comp_targetILNS1_3genE0ELNS1_11target_archE4294967295ELNS1_3gpuE0ELNS1_3repE0EEENS1_30default_config_static_selectorELNS0_4arch9wavefront6targetE0EEEvT1_
    .private_segment_fixed_size: 0
    .sgpr_count:     0
    .sgpr_spill_count: 0
    .symbol:         _ZN7rocprim17ROCPRIM_400000_NS6detail17trampoline_kernelINS0_14default_configENS1_35adjacent_difference_config_selectorILb1EfEEZNS1_24adjacent_difference_implIS3_Lb1ELb0EPfS7_N6thrust23THRUST_200600_302600_NS4plusIfEEEE10hipError_tPvRmT2_T3_mT4_P12ihipStream_tbEUlT_E_NS1_11comp_targetILNS1_3genE0ELNS1_11target_archE4294967295ELNS1_3gpuE0ELNS1_3repE0EEENS1_30default_config_static_selectorELNS0_4arch9wavefront6targetE0EEEvT1_.kd
    .uniform_work_group_size: 1
    .uses_dynamic_stack: false
    .vgpr_count:     0
    .vgpr_spill_count: 0
    .wavefront_size: 32
    .workgroup_processor_mode: 1
  - .args:
      - .offset:         0
        .size:           56
        .value_kind:     by_value
    .group_segment_fixed_size: 0
    .kernarg_segment_align: 8
    .kernarg_segment_size: 56
    .language:       OpenCL C
    .language_version:
      - 2
      - 0
    .max_flat_workgroup_size: 128
    .name:           _ZN7rocprim17ROCPRIM_400000_NS6detail17trampoline_kernelINS0_14default_configENS1_35adjacent_difference_config_selectorILb1EfEEZNS1_24adjacent_difference_implIS3_Lb1ELb0EPfS7_N6thrust23THRUST_200600_302600_NS4plusIfEEEE10hipError_tPvRmT2_T3_mT4_P12ihipStream_tbEUlT_E_NS1_11comp_targetILNS1_3genE10ELNS1_11target_archE1201ELNS1_3gpuE5ELNS1_3repE0EEENS1_30default_config_static_selectorELNS0_4arch9wavefront6targetE0EEEvT1_
    .private_segment_fixed_size: 0
    .sgpr_count:     0
    .sgpr_spill_count: 0
    .symbol:         _ZN7rocprim17ROCPRIM_400000_NS6detail17trampoline_kernelINS0_14default_configENS1_35adjacent_difference_config_selectorILb1EfEEZNS1_24adjacent_difference_implIS3_Lb1ELb0EPfS7_N6thrust23THRUST_200600_302600_NS4plusIfEEEE10hipError_tPvRmT2_T3_mT4_P12ihipStream_tbEUlT_E_NS1_11comp_targetILNS1_3genE10ELNS1_11target_archE1201ELNS1_3gpuE5ELNS1_3repE0EEENS1_30default_config_static_selectorELNS0_4arch9wavefront6targetE0EEEvT1_.kd
    .uniform_work_group_size: 1
    .uses_dynamic_stack: false
    .vgpr_count:     0
    .vgpr_spill_count: 0
    .wavefront_size: 32
    .workgroup_processor_mode: 1
  - .args:
      - .offset:         0
        .size:           56
        .value_kind:     by_value
    .group_segment_fixed_size: 0
    .kernarg_segment_align: 8
    .kernarg_segment_size: 56
    .language:       OpenCL C
    .language_version:
      - 2
      - 0
    .max_flat_workgroup_size: 256
    .name:           _ZN7rocprim17ROCPRIM_400000_NS6detail17trampoline_kernelINS0_14default_configENS1_35adjacent_difference_config_selectorILb1EfEEZNS1_24adjacent_difference_implIS3_Lb1ELb0EPfS7_N6thrust23THRUST_200600_302600_NS4plusIfEEEE10hipError_tPvRmT2_T3_mT4_P12ihipStream_tbEUlT_E_NS1_11comp_targetILNS1_3genE5ELNS1_11target_archE942ELNS1_3gpuE9ELNS1_3repE0EEENS1_30default_config_static_selectorELNS0_4arch9wavefront6targetE0EEEvT1_
    .private_segment_fixed_size: 0
    .sgpr_count:     0
    .sgpr_spill_count: 0
    .symbol:         _ZN7rocprim17ROCPRIM_400000_NS6detail17trampoline_kernelINS0_14default_configENS1_35adjacent_difference_config_selectorILb1EfEEZNS1_24adjacent_difference_implIS3_Lb1ELb0EPfS7_N6thrust23THRUST_200600_302600_NS4plusIfEEEE10hipError_tPvRmT2_T3_mT4_P12ihipStream_tbEUlT_E_NS1_11comp_targetILNS1_3genE5ELNS1_11target_archE942ELNS1_3gpuE9ELNS1_3repE0EEENS1_30default_config_static_selectorELNS0_4arch9wavefront6targetE0EEEvT1_.kd
    .uniform_work_group_size: 1
    .uses_dynamic_stack: false
    .vgpr_count:     0
    .vgpr_spill_count: 0
    .wavefront_size: 32
    .workgroup_processor_mode: 1
  - .args:
      - .offset:         0
        .size:           56
        .value_kind:     by_value
    .group_segment_fixed_size: 0
    .kernarg_segment_align: 8
    .kernarg_segment_size: 56
    .language:       OpenCL C
    .language_version:
      - 2
      - 0
    .max_flat_workgroup_size: 512
    .name:           _ZN7rocprim17ROCPRIM_400000_NS6detail17trampoline_kernelINS0_14default_configENS1_35adjacent_difference_config_selectorILb1EfEEZNS1_24adjacent_difference_implIS3_Lb1ELb0EPfS7_N6thrust23THRUST_200600_302600_NS4plusIfEEEE10hipError_tPvRmT2_T3_mT4_P12ihipStream_tbEUlT_E_NS1_11comp_targetILNS1_3genE4ELNS1_11target_archE910ELNS1_3gpuE8ELNS1_3repE0EEENS1_30default_config_static_selectorELNS0_4arch9wavefront6targetE0EEEvT1_
    .private_segment_fixed_size: 0
    .sgpr_count:     0
    .sgpr_spill_count: 0
    .symbol:         _ZN7rocprim17ROCPRIM_400000_NS6detail17trampoline_kernelINS0_14default_configENS1_35adjacent_difference_config_selectorILb1EfEEZNS1_24adjacent_difference_implIS3_Lb1ELb0EPfS7_N6thrust23THRUST_200600_302600_NS4plusIfEEEE10hipError_tPvRmT2_T3_mT4_P12ihipStream_tbEUlT_E_NS1_11comp_targetILNS1_3genE4ELNS1_11target_archE910ELNS1_3gpuE8ELNS1_3repE0EEENS1_30default_config_static_selectorELNS0_4arch9wavefront6targetE0EEEvT1_.kd
    .uniform_work_group_size: 1
    .uses_dynamic_stack: false
    .vgpr_count:     0
    .vgpr_spill_count: 0
    .wavefront_size: 32
    .workgroup_processor_mode: 1
  - .args:
      - .offset:         0
        .size:           56
        .value_kind:     by_value
    .group_segment_fixed_size: 0
    .kernarg_segment_align: 8
    .kernarg_segment_size: 56
    .language:       OpenCL C
    .language_version:
      - 2
      - 0
    .max_flat_workgroup_size: 1024
    .name:           _ZN7rocprim17ROCPRIM_400000_NS6detail17trampoline_kernelINS0_14default_configENS1_35adjacent_difference_config_selectorILb1EfEEZNS1_24adjacent_difference_implIS3_Lb1ELb0EPfS7_N6thrust23THRUST_200600_302600_NS4plusIfEEEE10hipError_tPvRmT2_T3_mT4_P12ihipStream_tbEUlT_E_NS1_11comp_targetILNS1_3genE3ELNS1_11target_archE908ELNS1_3gpuE7ELNS1_3repE0EEENS1_30default_config_static_selectorELNS0_4arch9wavefront6targetE0EEEvT1_
    .private_segment_fixed_size: 0
    .sgpr_count:     0
    .sgpr_spill_count: 0
    .symbol:         _ZN7rocprim17ROCPRIM_400000_NS6detail17trampoline_kernelINS0_14default_configENS1_35adjacent_difference_config_selectorILb1EfEEZNS1_24adjacent_difference_implIS3_Lb1ELb0EPfS7_N6thrust23THRUST_200600_302600_NS4plusIfEEEE10hipError_tPvRmT2_T3_mT4_P12ihipStream_tbEUlT_E_NS1_11comp_targetILNS1_3genE3ELNS1_11target_archE908ELNS1_3gpuE7ELNS1_3repE0EEENS1_30default_config_static_selectorELNS0_4arch9wavefront6targetE0EEEvT1_.kd
    .uniform_work_group_size: 1
    .uses_dynamic_stack: false
    .vgpr_count:     0
    .vgpr_spill_count: 0
    .wavefront_size: 32
    .workgroup_processor_mode: 1
  - .args:
      - .offset:         0
        .size:           56
        .value_kind:     by_value
    .group_segment_fixed_size: 0
    .kernarg_segment_align: 8
    .kernarg_segment_size: 56
    .language:       OpenCL C
    .language_version:
      - 2
      - 0
    .max_flat_workgroup_size: 256
    .name:           _ZN7rocprim17ROCPRIM_400000_NS6detail17trampoline_kernelINS0_14default_configENS1_35adjacent_difference_config_selectorILb1EfEEZNS1_24adjacent_difference_implIS3_Lb1ELb0EPfS7_N6thrust23THRUST_200600_302600_NS4plusIfEEEE10hipError_tPvRmT2_T3_mT4_P12ihipStream_tbEUlT_E_NS1_11comp_targetILNS1_3genE2ELNS1_11target_archE906ELNS1_3gpuE6ELNS1_3repE0EEENS1_30default_config_static_selectorELNS0_4arch9wavefront6targetE0EEEvT1_
    .private_segment_fixed_size: 0
    .sgpr_count:     0
    .sgpr_spill_count: 0
    .symbol:         _ZN7rocprim17ROCPRIM_400000_NS6detail17trampoline_kernelINS0_14default_configENS1_35adjacent_difference_config_selectorILb1EfEEZNS1_24adjacent_difference_implIS3_Lb1ELb0EPfS7_N6thrust23THRUST_200600_302600_NS4plusIfEEEE10hipError_tPvRmT2_T3_mT4_P12ihipStream_tbEUlT_E_NS1_11comp_targetILNS1_3genE2ELNS1_11target_archE906ELNS1_3gpuE6ELNS1_3repE0EEENS1_30default_config_static_selectorELNS0_4arch9wavefront6targetE0EEEvT1_.kd
    .uniform_work_group_size: 1
    .uses_dynamic_stack: false
    .vgpr_count:     0
    .vgpr_spill_count: 0
    .wavefront_size: 32
    .workgroup_processor_mode: 1
  - .args:
      - .offset:         0
        .size:           56
        .value_kind:     by_value
    .group_segment_fixed_size: 14848
    .kernarg_segment_align: 8
    .kernarg_segment_size: 56
    .language:       OpenCL C
    .language_version:
      - 2
      - 0
    .max_flat_workgroup_size: 128
    .name:           _ZN7rocprim17ROCPRIM_400000_NS6detail17trampoline_kernelINS0_14default_configENS1_35adjacent_difference_config_selectorILb1EfEEZNS1_24adjacent_difference_implIS3_Lb1ELb0EPfS7_N6thrust23THRUST_200600_302600_NS4plusIfEEEE10hipError_tPvRmT2_T3_mT4_P12ihipStream_tbEUlT_E_NS1_11comp_targetILNS1_3genE9ELNS1_11target_archE1100ELNS1_3gpuE3ELNS1_3repE0EEENS1_30default_config_static_selectorELNS0_4arch9wavefront6targetE0EEEvT1_
    .private_segment_fixed_size: 0
    .sgpr_count:     46
    .sgpr_spill_count: 0
    .symbol:         _ZN7rocprim17ROCPRIM_400000_NS6detail17trampoline_kernelINS0_14default_configENS1_35adjacent_difference_config_selectorILb1EfEEZNS1_24adjacent_difference_implIS3_Lb1ELb0EPfS7_N6thrust23THRUST_200600_302600_NS4plusIfEEEE10hipError_tPvRmT2_T3_mT4_P12ihipStream_tbEUlT_E_NS1_11comp_targetILNS1_3genE9ELNS1_11target_archE1100ELNS1_3gpuE3ELNS1_3repE0EEENS1_30default_config_static_selectorELNS0_4arch9wavefront6targetE0EEEvT1_.kd
    .uniform_work_group_size: 1
    .uses_dynamic_stack: false
    .vgpr_count:     64
    .vgpr_spill_count: 0
    .wavefront_size: 32
    .workgroup_processor_mode: 1
  - .args:
      - .offset:         0
        .size:           56
        .value_kind:     by_value
    .group_segment_fixed_size: 0
    .kernarg_segment_align: 8
    .kernarg_segment_size: 56
    .language:       OpenCL C
    .language_version:
      - 2
      - 0
    .max_flat_workgroup_size: 32
    .name:           _ZN7rocprim17ROCPRIM_400000_NS6detail17trampoline_kernelINS0_14default_configENS1_35adjacent_difference_config_selectorILb1EfEEZNS1_24adjacent_difference_implIS3_Lb1ELb0EPfS7_N6thrust23THRUST_200600_302600_NS4plusIfEEEE10hipError_tPvRmT2_T3_mT4_P12ihipStream_tbEUlT_E_NS1_11comp_targetILNS1_3genE8ELNS1_11target_archE1030ELNS1_3gpuE2ELNS1_3repE0EEENS1_30default_config_static_selectorELNS0_4arch9wavefront6targetE0EEEvT1_
    .private_segment_fixed_size: 0
    .sgpr_count:     0
    .sgpr_spill_count: 0
    .symbol:         _ZN7rocprim17ROCPRIM_400000_NS6detail17trampoline_kernelINS0_14default_configENS1_35adjacent_difference_config_selectorILb1EfEEZNS1_24adjacent_difference_implIS3_Lb1ELb0EPfS7_N6thrust23THRUST_200600_302600_NS4plusIfEEEE10hipError_tPvRmT2_T3_mT4_P12ihipStream_tbEUlT_E_NS1_11comp_targetILNS1_3genE8ELNS1_11target_archE1030ELNS1_3gpuE2ELNS1_3repE0EEENS1_30default_config_static_selectorELNS0_4arch9wavefront6targetE0EEEvT1_.kd
    .uniform_work_group_size: 1
    .uses_dynamic_stack: false
    .vgpr_count:     0
    .vgpr_spill_count: 0
    .wavefront_size: 32
    .workgroup_processor_mode: 1
  - .args:
      - .offset:         0
        .size:           16
        .value_kind:     by_value
      - .offset:         16
        .size:           8
        .value_kind:     by_value
      - .offset:         24
        .size:           8
        .value_kind:     by_value
    .group_segment_fixed_size: 0
    .kernarg_segment_align: 8
    .kernarg_segment_size: 32
    .language:       OpenCL C
    .language_version:
      - 2
      - 0
    .max_flat_workgroup_size: 256
    .name:           _ZN6thrust23THRUST_200600_302600_NS11hip_rocprim14__parallel_for6kernelILj256ENS1_20__uninitialized_fill7functorINS0_10device_ptrIyEEyEEmLj1EEEvT0_T1_SA_
    .private_segment_fixed_size: 0
    .sgpr_count:     18
    .sgpr_spill_count: 0
    .symbol:         _ZN6thrust23THRUST_200600_302600_NS11hip_rocprim14__parallel_for6kernelILj256ENS1_20__uninitialized_fill7functorINS0_10device_ptrIyEEyEEmLj1EEEvT0_T1_SA_.kd
    .uniform_work_group_size: 1
    .uses_dynamic_stack: false
    .vgpr_count:     4
    .vgpr_spill_count: 0
    .wavefront_size: 32
    .workgroup_processor_mode: 1
  - .args:
      - .offset:         0
        .size:           56
        .value_kind:     by_value
    .group_segment_fixed_size: 0
    .kernarg_segment_align: 8
    .kernarg_segment_size: 56
    .language:       OpenCL C
    .language_version:
      - 2
      - 0
    .max_flat_workgroup_size: 128
    .name:           _ZN7rocprim17ROCPRIM_400000_NS6detail17trampoline_kernelINS0_14default_configENS1_35adjacent_difference_config_selectorILb0EyEEZNS1_24adjacent_difference_implIS3_Lb0ELb0EPyS7_N6thrust23THRUST_200600_302600_NS5minusIyEEEE10hipError_tPvRmT2_T3_mT4_P12ihipStream_tbEUlT_E_NS1_11comp_targetILNS1_3genE0ELNS1_11target_archE4294967295ELNS1_3gpuE0ELNS1_3repE0EEENS1_30default_config_static_selectorELNS0_4arch9wavefront6targetE0EEEvT1_
    .private_segment_fixed_size: 0
    .sgpr_count:     0
    .sgpr_spill_count: 0
    .symbol:         _ZN7rocprim17ROCPRIM_400000_NS6detail17trampoline_kernelINS0_14default_configENS1_35adjacent_difference_config_selectorILb0EyEEZNS1_24adjacent_difference_implIS3_Lb0ELb0EPyS7_N6thrust23THRUST_200600_302600_NS5minusIyEEEE10hipError_tPvRmT2_T3_mT4_P12ihipStream_tbEUlT_E_NS1_11comp_targetILNS1_3genE0ELNS1_11target_archE4294967295ELNS1_3gpuE0ELNS1_3repE0EEENS1_30default_config_static_selectorELNS0_4arch9wavefront6targetE0EEEvT1_.kd
    .uniform_work_group_size: 1
    .uses_dynamic_stack: false
    .vgpr_count:     0
    .vgpr_spill_count: 0
    .wavefront_size: 32
    .workgroup_processor_mode: 1
  - .args:
      - .offset:         0
        .size:           56
        .value_kind:     by_value
    .group_segment_fixed_size: 0
    .kernarg_segment_align: 8
    .kernarg_segment_size: 56
    .language:       OpenCL C
    .language_version:
      - 2
      - 0
    .max_flat_workgroup_size: 128
    .name:           _ZN7rocprim17ROCPRIM_400000_NS6detail17trampoline_kernelINS0_14default_configENS1_35adjacent_difference_config_selectorILb0EyEEZNS1_24adjacent_difference_implIS3_Lb0ELb0EPyS7_N6thrust23THRUST_200600_302600_NS5minusIyEEEE10hipError_tPvRmT2_T3_mT4_P12ihipStream_tbEUlT_E_NS1_11comp_targetILNS1_3genE10ELNS1_11target_archE1201ELNS1_3gpuE5ELNS1_3repE0EEENS1_30default_config_static_selectorELNS0_4arch9wavefront6targetE0EEEvT1_
    .private_segment_fixed_size: 0
    .sgpr_count:     0
    .sgpr_spill_count: 0
    .symbol:         _ZN7rocprim17ROCPRIM_400000_NS6detail17trampoline_kernelINS0_14default_configENS1_35adjacent_difference_config_selectorILb0EyEEZNS1_24adjacent_difference_implIS3_Lb0ELb0EPyS7_N6thrust23THRUST_200600_302600_NS5minusIyEEEE10hipError_tPvRmT2_T3_mT4_P12ihipStream_tbEUlT_E_NS1_11comp_targetILNS1_3genE10ELNS1_11target_archE1201ELNS1_3gpuE5ELNS1_3repE0EEENS1_30default_config_static_selectorELNS0_4arch9wavefront6targetE0EEEvT1_.kd
    .uniform_work_group_size: 1
    .uses_dynamic_stack: false
    .vgpr_count:     0
    .vgpr_spill_count: 0
    .wavefront_size: 32
    .workgroup_processor_mode: 1
  - .args:
      - .offset:         0
        .size:           56
        .value_kind:     by_value
    .group_segment_fixed_size: 0
    .kernarg_segment_align: 8
    .kernarg_segment_size: 56
    .language:       OpenCL C
    .language_version:
      - 2
      - 0
    .max_flat_workgroup_size: 64
    .name:           _ZN7rocprim17ROCPRIM_400000_NS6detail17trampoline_kernelINS0_14default_configENS1_35adjacent_difference_config_selectorILb0EyEEZNS1_24adjacent_difference_implIS3_Lb0ELb0EPyS7_N6thrust23THRUST_200600_302600_NS5minusIyEEEE10hipError_tPvRmT2_T3_mT4_P12ihipStream_tbEUlT_E_NS1_11comp_targetILNS1_3genE5ELNS1_11target_archE942ELNS1_3gpuE9ELNS1_3repE0EEENS1_30default_config_static_selectorELNS0_4arch9wavefront6targetE0EEEvT1_
    .private_segment_fixed_size: 0
    .sgpr_count:     0
    .sgpr_spill_count: 0
    .symbol:         _ZN7rocprim17ROCPRIM_400000_NS6detail17trampoline_kernelINS0_14default_configENS1_35adjacent_difference_config_selectorILb0EyEEZNS1_24adjacent_difference_implIS3_Lb0ELb0EPyS7_N6thrust23THRUST_200600_302600_NS5minusIyEEEE10hipError_tPvRmT2_T3_mT4_P12ihipStream_tbEUlT_E_NS1_11comp_targetILNS1_3genE5ELNS1_11target_archE942ELNS1_3gpuE9ELNS1_3repE0EEENS1_30default_config_static_selectorELNS0_4arch9wavefront6targetE0EEEvT1_.kd
    .uniform_work_group_size: 1
    .uses_dynamic_stack: false
    .vgpr_count:     0
    .vgpr_spill_count: 0
    .wavefront_size: 32
    .workgroup_processor_mode: 1
  - .args:
      - .offset:         0
        .size:           56
        .value_kind:     by_value
    .group_segment_fixed_size: 0
    .kernarg_segment_align: 8
    .kernarg_segment_size: 56
    .language:       OpenCL C
    .language_version:
      - 2
      - 0
    .max_flat_workgroup_size: 256
    .name:           _ZN7rocprim17ROCPRIM_400000_NS6detail17trampoline_kernelINS0_14default_configENS1_35adjacent_difference_config_selectorILb0EyEEZNS1_24adjacent_difference_implIS3_Lb0ELb0EPyS7_N6thrust23THRUST_200600_302600_NS5minusIyEEEE10hipError_tPvRmT2_T3_mT4_P12ihipStream_tbEUlT_E_NS1_11comp_targetILNS1_3genE4ELNS1_11target_archE910ELNS1_3gpuE8ELNS1_3repE0EEENS1_30default_config_static_selectorELNS0_4arch9wavefront6targetE0EEEvT1_
    .private_segment_fixed_size: 0
    .sgpr_count:     0
    .sgpr_spill_count: 0
    .symbol:         _ZN7rocprim17ROCPRIM_400000_NS6detail17trampoline_kernelINS0_14default_configENS1_35adjacent_difference_config_selectorILb0EyEEZNS1_24adjacent_difference_implIS3_Lb0ELb0EPyS7_N6thrust23THRUST_200600_302600_NS5minusIyEEEE10hipError_tPvRmT2_T3_mT4_P12ihipStream_tbEUlT_E_NS1_11comp_targetILNS1_3genE4ELNS1_11target_archE910ELNS1_3gpuE8ELNS1_3repE0EEENS1_30default_config_static_selectorELNS0_4arch9wavefront6targetE0EEEvT1_.kd
    .uniform_work_group_size: 1
    .uses_dynamic_stack: false
    .vgpr_count:     0
    .vgpr_spill_count: 0
    .wavefront_size: 32
    .workgroup_processor_mode: 1
  - .args:
      - .offset:         0
        .size:           56
        .value_kind:     by_value
    .group_segment_fixed_size: 0
    .kernarg_segment_align: 8
    .kernarg_segment_size: 56
    .language:       OpenCL C
    .language_version:
      - 2
      - 0
    .max_flat_workgroup_size: 128
    .name:           _ZN7rocprim17ROCPRIM_400000_NS6detail17trampoline_kernelINS0_14default_configENS1_35adjacent_difference_config_selectorILb0EyEEZNS1_24adjacent_difference_implIS3_Lb0ELb0EPyS7_N6thrust23THRUST_200600_302600_NS5minusIyEEEE10hipError_tPvRmT2_T3_mT4_P12ihipStream_tbEUlT_E_NS1_11comp_targetILNS1_3genE3ELNS1_11target_archE908ELNS1_3gpuE7ELNS1_3repE0EEENS1_30default_config_static_selectorELNS0_4arch9wavefront6targetE0EEEvT1_
    .private_segment_fixed_size: 0
    .sgpr_count:     0
    .sgpr_spill_count: 0
    .symbol:         _ZN7rocprim17ROCPRIM_400000_NS6detail17trampoline_kernelINS0_14default_configENS1_35adjacent_difference_config_selectorILb0EyEEZNS1_24adjacent_difference_implIS3_Lb0ELb0EPyS7_N6thrust23THRUST_200600_302600_NS5minusIyEEEE10hipError_tPvRmT2_T3_mT4_P12ihipStream_tbEUlT_E_NS1_11comp_targetILNS1_3genE3ELNS1_11target_archE908ELNS1_3gpuE7ELNS1_3repE0EEENS1_30default_config_static_selectorELNS0_4arch9wavefront6targetE0EEEvT1_.kd
    .uniform_work_group_size: 1
    .uses_dynamic_stack: false
    .vgpr_count:     0
    .vgpr_spill_count: 0
    .wavefront_size: 32
    .workgroup_processor_mode: 1
  - .args:
      - .offset:         0
        .size:           56
        .value_kind:     by_value
    .group_segment_fixed_size: 0
    .kernarg_segment_align: 8
    .kernarg_segment_size: 56
    .language:       OpenCL C
    .language_version:
      - 2
      - 0
    .max_flat_workgroup_size: 128
    .name:           _ZN7rocprim17ROCPRIM_400000_NS6detail17trampoline_kernelINS0_14default_configENS1_35adjacent_difference_config_selectorILb0EyEEZNS1_24adjacent_difference_implIS3_Lb0ELb0EPyS7_N6thrust23THRUST_200600_302600_NS5minusIyEEEE10hipError_tPvRmT2_T3_mT4_P12ihipStream_tbEUlT_E_NS1_11comp_targetILNS1_3genE2ELNS1_11target_archE906ELNS1_3gpuE6ELNS1_3repE0EEENS1_30default_config_static_selectorELNS0_4arch9wavefront6targetE0EEEvT1_
    .private_segment_fixed_size: 0
    .sgpr_count:     0
    .sgpr_spill_count: 0
    .symbol:         _ZN7rocprim17ROCPRIM_400000_NS6detail17trampoline_kernelINS0_14default_configENS1_35adjacent_difference_config_selectorILb0EyEEZNS1_24adjacent_difference_implIS3_Lb0ELb0EPyS7_N6thrust23THRUST_200600_302600_NS5minusIyEEEE10hipError_tPvRmT2_T3_mT4_P12ihipStream_tbEUlT_E_NS1_11comp_targetILNS1_3genE2ELNS1_11target_archE906ELNS1_3gpuE6ELNS1_3repE0EEENS1_30default_config_static_selectorELNS0_4arch9wavefront6targetE0EEEvT1_.kd
    .uniform_work_group_size: 1
    .uses_dynamic_stack: false
    .vgpr_count:     0
    .vgpr_spill_count: 0
    .wavefront_size: 32
    .workgroup_processor_mode: 1
  - .args:
      - .offset:         0
        .size:           56
        .value_kind:     by_value
    .group_segment_fixed_size: 8192
    .kernarg_segment_align: 8
    .kernarg_segment_size: 56
    .language:       OpenCL C
    .language_version:
      - 2
      - 0
    .max_flat_workgroup_size: 512
    .name:           _ZN7rocprim17ROCPRIM_400000_NS6detail17trampoline_kernelINS0_14default_configENS1_35adjacent_difference_config_selectorILb0EyEEZNS1_24adjacent_difference_implIS3_Lb0ELb0EPyS7_N6thrust23THRUST_200600_302600_NS5minusIyEEEE10hipError_tPvRmT2_T3_mT4_P12ihipStream_tbEUlT_E_NS1_11comp_targetILNS1_3genE9ELNS1_11target_archE1100ELNS1_3gpuE3ELNS1_3repE0EEENS1_30default_config_static_selectorELNS0_4arch9wavefront6targetE0EEEvT1_
    .private_segment_fixed_size: 0
    .sgpr_count:     22
    .sgpr_spill_count: 0
    .symbol:         _ZN7rocprim17ROCPRIM_400000_NS6detail17trampoline_kernelINS0_14default_configENS1_35adjacent_difference_config_selectorILb0EyEEZNS1_24adjacent_difference_implIS3_Lb0ELb0EPyS7_N6thrust23THRUST_200600_302600_NS5minusIyEEEE10hipError_tPvRmT2_T3_mT4_P12ihipStream_tbEUlT_E_NS1_11comp_targetILNS1_3genE9ELNS1_11target_archE1100ELNS1_3gpuE3ELNS1_3repE0EEENS1_30default_config_static_selectorELNS0_4arch9wavefront6targetE0EEEvT1_.kd
    .uniform_work_group_size: 1
    .uses_dynamic_stack: false
    .vgpr_count:     6
    .vgpr_spill_count: 0
    .wavefront_size: 32
    .workgroup_processor_mode: 1
  - .args:
      - .offset:         0
        .size:           56
        .value_kind:     by_value
    .group_segment_fixed_size: 0
    .kernarg_segment_align: 8
    .kernarg_segment_size: 56
    .language:       OpenCL C
    .language_version:
      - 2
      - 0
    .max_flat_workgroup_size: 1024
    .name:           _ZN7rocprim17ROCPRIM_400000_NS6detail17trampoline_kernelINS0_14default_configENS1_35adjacent_difference_config_selectorILb0EyEEZNS1_24adjacent_difference_implIS3_Lb0ELb0EPyS7_N6thrust23THRUST_200600_302600_NS5minusIyEEEE10hipError_tPvRmT2_T3_mT4_P12ihipStream_tbEUlT_E_NS1_11comp_targetILNS1_3genE8ELNS1_11target_archE1030ELNS1_3gpuE2ELNS1_3repE0EEENS1_30default_config_static_selectorELNS0_4arch9wavefront6targetE0EEEvT1_
    .private_segment_fixed_size: 0
    .sgpr_count:     0
    .sgpr_spill_count: 0
    .symbol:         _ZN7rocprim17ROCPRIM_400000_NS6detail17trampoline_kernelINS0_14default_configENS1_35adjacent_difference_config_selectorILb0EyEEZNS1_24adjacent_difference_implIS3_Lb0ELb0EPyS7_N6thrust23THRUST_200600_302600_NS5minusIyEEEE10hipError_tPvRmT2_T3_mT4_P12ihipStream_tbEUlT_E_NS1_11comp_targetILNS1_3genE8ELNS1_11target_archE1030ELNS1_3gpuE2ELNS1_3repE0EEENS1_30default_config_static_selectorELNS0_4arch9wavefront6targetE0EEEvT1_.kd
    .uniform_work_group_size: 1
    .uses_dynamic_stack: false
    .vgpr_count:     0
    .vgpr_spill_count: 0
    .wavefront_size: 32
    .workgroup_processor_mode: 1
  - .args:
      - .offset:         0
        .size:           56
        .value_kind:     by_value
    .group_segment_fixed_size: 0
    .kernarg_segment_align: 8
    .kernarg_segment_size: 56
    .language:       OpenCL C
    .language_version:
      - 2
      - 0
    .max_flat_workgroup_size: 128
    .name:           _ZN7rocprim17ROCPRIM_400000_NS6detail17trampoline_kernelINS0_14default_configENS1_25transform_config_selectorIyLb0EEEZNS1_14transform_implILb0ES3_S5_NS0_18transform_iteratorINS0_17counting_iteratorImlEEZNS1_24adjacent_difference_implIS3_Lb1ELb0EPySB_N6thrust23THRUST_200600_302600_NS5minusIyEEEE10hipError_tPvRmT2_T3_mT4_P12ihipStream_tbEUlmE_yEESB_NS0_8identityIvEEEESG_SJ_SK_mSL_SN_bEUlT_E_NS1_11comp_targetILNS1_3genE0ELNS1_11target_archE4294967295ELNS1_3gpuE0ELNS1_3repE0EEENS1_30default_config_static_selectorELNS0_4arch9wavefront6targetE0EEEvT1_
    .private_segment_fixed_size: 0
    .sgpr_count:     0
    .sgpr_spill_count: 0
    .symbol:         _ZN7rocprim17ROCPRIM_400000_NS6detail17trampoline_kernelINS0_14default_configENS1_25transform_config_selectorIyLb0EEEZNS1_14transform_implILb0ES3_S5_NS0_18transform_iteratorINS0_17counting_iteratorImlEEZNS1_24adjacent_difference_implIS3_Lb1ELb0EPySB_N6thrust23THRUST_200600_302600_NS5minusIyEEEE10hipError_tPvRmT2_T3_mT4_P12ihipStream_tbEUlmE_yEESB_NS0_8identityIvEEEESG_SJ_SK_mSL_SN_bEUlT_E_NS1_11comp_targetILNS1_3genE0ELNS1_11target_archE4294967295ELNS1_3gpuE0ELNS1_3repE0EEENS1_30default_config_static_selectorELNS0_4arch9wavefront6targetE0EEEvT1_.kd
    .uniform_work_group_size: 1
    .uses_dynamic_stack: false
    .vgpr_count:     0
    .vgpr_spill_count: 0
    .wavefront_size: 32
    .workgroup_processor_mode: 1
  - .args:
      - .offset:         0
        .size:           56
        .value_kind:     by_value
    .group_segment_fixed_size: 0
    .kernarg_segment_align: 8
    .kernarg_segment_size: 56
    .language:       OpenCL C
    .language_version:
      - 2
      - 0
    .max_flat_workgroup_size: 512
    .name:           _ZN7rocprim17ROCPRIM_400000_NS6detail17trampoline_kernelINS0_14default_configENS1_25transform_config_selectorIyLb0EEEZNS1_14transform_implILb0ES3_S5_NS0_18transform_iteratorINS0_17counting_iteratorImlEEZNS1_24adjacent_difference_implIS3_Lb1ELb0EPySB_N6thrust23THRUST_200600_302600_NS5minusIyEEEE10hipError_tPvRmT2_T3_mT4_P12ihipStream_tbEUlmE_yEESB_NS0_8identityIvEEEESG_SJ_SK_mSL_SN_bEUlT_E_NS1_11comp_targetILNS1_3genE5ELNS1_11target_archE942ELNS1_3gpuE9ELNS1_3repE0EEENS1_30default_config_static_selectorELNS0_4arch9wavefront6targetE0EEEvT1_
    .private_segment_fixed_size: 0
    .sgpr_count:     0
    .sgpr_spill_count: 0
    .symbol:         _ZN7rocprim17ROCPRIM_400000_NS6detail17trampoline_kernelINS0_14default_configENS1_25transform_config_selectorIyLb0EEEZNS1_14transform_implILb0ES3_S5_NS0_18transform_iteratorINS0_17counting_iteratorImlEEZNS1_24adjacent_difference_implIS3_Lb1ELb0EPySB_N6thrust23THRUST_200600_302600_NS5minusIyEEEE10hipError_tPvRmT2_T3_mT4_P12ihipStream_tbEUlmE_yEESB_NS0_8identityIvEEEESG_SJ_SK_mSL_SN_bEUlT_E_NS1_11comp_targetILNS1_3genE5ELNS1_11target_archE942ELNS1_3gpuE9ELNS1_3repE0EEENS1_30default_config_static_selectorELNS0_4arch9wavefront6targetE0EEEvT1_.kd
    .uniform_work_group_size: 1
    .uses_dynamic_stack: false
    .vgpr_count:     0
    .vgpr_spill_count: 0
    .wavefront_size: 32
    .workgroup_processor_mode: 1
  - .args:
      - .offset:         0
        .size:           56
        .value_kind:     by_value
    .group_segment_fixed_size: 0
    .kernarg_segment_align: 8
    .kernarg_segment_size: 56
    .language:       OpenCL C
    .language_version:
      - 2
      - 0
    .max_flat_workgroup_size: 256
    .name:           _ZN7rocprim17ROCPRIM_400000_NS6detail17trampoline_kernelINS0_14default_configENS1_25transform_config_selectorIyLb0EEEZNS1_14transform_implILb0ES3_S5_NS0_18transform_iteratorINS0_17counting_iteratorImlEEZNS1_24adjacent_difference_implIS3_Lb1ELb0EPySB_N6thrust23THRUST_200600_302600_NS5minusIyEEEE10hipError_tPvRmT2_T3_mT4_P12ihipStream_tbEUlmE_yEESB_NS0_8identityIvEEEESG_SJ_SK_mSL_SN_bEUlT_E_NS1_11comp_targetILNS1_3genE4ELNS1_11target_archE910ELNS1_3gpuE8ELNS1_3repE0EEENS1_30default_config_static_selectorELNS0_4arch9wavefront6targetE0EEEvT1_
    .private_segment_fixed_size: 0
    .sgpr_count:     0
    .sgpr_spill_count: 0
    .symbol:         _ZN7rocprim17ROCPRIM_400000_NS6detail17trampoline_kernelINS0_14default_configENS1_25transform_config_selectorIyLb0EEEZNS1_14transform_implILb0ES3_S5_NS0_18transform_iteratorINS0_17counting_iteratorImlEEZNS1_24adjacent_difference_implIS3_Lb1ELb0EPySB_N6thrust23THRUST_200600_302600_NS5minusIyEEEE10hipError_tPvRmT2_T3_mT4_P12ihipStream_tbEUlmE_yEESB_NS0_8identityIvEEEESG_SJ_SK_mSL_SN_bEUlT_E_NS1_11comp_targetILNS1_3genE4ELNS1_11target_archE910ELNS1_3gpuE8ELNS1_3repE0EEENS1_30default_config_static_selectorELNS0_4arch9wavefront6targetE0EEEvT1_.kd
    .uniform_work_group_size: 1
    .uses_dynamic_stack: false
    .vgpr_count:     0
    .vgpr_spill_count: 0
    .wavefront_size: 32
    .workgroup_processor_mode: 1
  - .args:
      - .offset:         0
        .size:           56
        .value_kind:     by_value
    .group_segment_fixed_size: 0
    .kernarg_segment_align: 8
    .kernarg_segment_size: 56
    .language:       OpenCL C
    .language_version:
      - 2
      - 0
    .max_flat_workgroup_size: 128
    .name:           _ZN7rocprim17ROCPRIM_400000_NS6detail17trampoline_kernelINS0_14default_configENS1_25transform_config_selectorIyLb0EEEZNS1_14transform_implILb0ES3_S5_NS0_18transform_iteratorINS0_17counting_iteratorImlEEZNS1_24adjacent_difference_implIS3_Lb1ELb0EPySB_N6thrust23THRUST_200600_302600_NS5minusIyEEEE10hipError_tPvRmT2_T3_mT4_P12ihipStream_tbEUlmE_yEESB_NS0_8identityIvEEEESG_SJ_SK_mSL_SN_bEUlT_E_NS1_11comp_targetILNS1_3genE3ELNS1_11target_archE908ELNS1_3gpuE7ELNS1_3repE0EEENS1_30default_config_static_selectorELNS0_4arch9wavefront6targetE0EEEvT1_
    .private_segment_fixed_size: 0
    .sgpr_count:     0
    .sgpr_spill_count: 0
    .symbol:         _ZN7rocprim17ROCPRIM_400000_NS6detail17trampoline_kernelINS0_14default_configENS1_25transform_config_selectorIyLb0EEEZNS1_14transform_implILb0ES3_S5_NS0_18transform_iteratorINS0_17counting_iteratorImlEEZNS1_24adjacent_difference_implIS3_Lb1ELb0EPySB_N6thrust23THRUST_200600_302600_NS5minusIyEEEE10hipError_tPvRmT2_T3_mT4_P12ihipStream_tbEUlmE_yEESB_NS0_8identityIvEEEESG_SJ_SK_mSL_SN_bEUlT_E_NS1_11comp_targetILNS1_3genE3ELNS1_11target_archE908ELNS1_3gpuE7ELNS1_3repE0EEENS1_30default_config_static_selectorELNS0_4arch9wavefront6targetE0EEEvT1_.kd
    .uniform_work_group_size: 1
    .uses_dynamic_stack: false
    .vgpr_count:     0
    .vgpr_spill_count: 0
    .wavefront_size: 32
    .workgroup_processor_mode: 1
  - .args:
      - .offset:         0
        .size:           56
        .value_kind:     by_value
    .group_segment_fixed_size: 0
    .kernarg_segment_align: 8
    .kernarg_segment_size: 56
    .language:       OpenCL C
    .language_version:
      - 2
      - 0
    .max_flat_workgroup_size: 512
    .name:           _ZN7rocprim17ROCPRIM_400000_NS6detail17trampoline_kernelINS0_14default_configENS1_25transform_config_selectorIyLb0EEEZNS1_14transform_implILb0ES3_S5_NS0_18transform_iteratorINS0_17counting_iteratorImlEEZNS1_24adjacent_difference_implIS3_Lb1ELb0EPySB_N6thrust23THRUST_200600_302600_NS5minusIyEEEE10hipError_tPvRmT2_T3_mT4_P12ihipStream_tbEUlmE_yEESB_NS0_8identityIvEEEESG_SJ_SK_mSL_SN_bEUlT_E_NS1_11comp_targetILNS1_3genE2ELNS1_11target_archE906ELNS1_3gpuE6ELNS1_3repE0EEENS1_30default_config_static_selectorELNS0_4arch9wavefront6targetE0EEEvT1_
    .private_segment_fixed_size: 0
    .sgpr_count:     0
    .sgpr_spill_count: 0
    .symbol:         _ZN7rocprim17ROCPRIM_400000_NS6detail17trampoline_kernelINS0_14default_configENS1_25transform_config_selectorIyLb0EEEZNS1_14transform_implILb0ES3_S5_NS0_18transform_iteratorINS0_17counting_iteratorImlEEZNS1_24adjacent_difference_implIS3_Lb1ELb0EPySB_N6thrust23THRUST_200600_302600_NS5minusIyEEEE10hipError_tPvRmT2_T3_mT4_P12ihipStream_tbEUlmE_yEESB_NS0_8identityIvEEEESG_SJ_SK_mSL_SN_bEUlT_E_NS1_11comp_targetILNS1_3genE2ELNS1_11target_archE906ELNS1_3gpuE6ELNS1_3repE0EEENS1_30default_config_static_selectorELNS0_4arch9wavefront6targetE0EEEvT1_.kd
    .uniform_work_group_size: 1
    .uses_dynamic_stack: false
    .vgpr_count:     0
    .vgpr_spill_count: 0
    .wavefront_size: 32
    .workgroup_processor_mode: 1
  - .args:
      - .offset:         0
        .size:           56
        .value_kind:     by_value
    .group_segment_fixed_size: 0
    .kernarg_segment_align: 8
    .kernarg_segment_size: 56
    .language:       OpenCL C
    .language_version:
      - 2
      - 0
    .max_flat_workgroup_size: 1024
    .name:           _ZN7rocprim17ROCPRIM_400000_NS6detail17trampoline_kernelINS0_14default_configENS1_25transform_config_selectorIyLb0EEEZNS1_14transform_implILb0ES3_S5_NS0_18transform_iteratorINS0_17counting_iteratorImlEEZNS1_24adjacent_difference_implIS3_Lb1ELb0EPySB_N6thrust23THRUST_200600_302600_NS5minusIyEEEE10hipError_tPvRmT2_T3_mT4_P12ihipStream_tbEUlmE_yEESB_NS0_8identityIvEEEESG_SJ_SK_mSL_SN_bEUlT_E_NS1_11comp_targetILNS1_3genE10ELNS1_11target_archE1201ELNS1_3gpuE5ELNS1_3repE0EEENS1_30default_config_static_selectorELNS0_4arch9wavefront6targetE0EEEvT1_
    .private_segment_fixed_size: 0
    .sgpr_count:     0
    .sgpr_spill_count: 0
    .symbol:         _ZN7rocprim17ROCPRIM_400000_NS6detail17trampoline_kernelINS0_14default_configENS1_25transform_config_selectorIyLb0EEEZNS1_14transform_implILb0ES3_S5_NS0_18transform_iteratorINS0_17counting_iteratorImlEEZNS1_24adjacent_difference_implIS3_Lb1ELb0EPySB_N6thrust23THRUST_200600_302600_NS5minusIyEEEE10hipError_tPvRmT2_T3_mT4_P12ihipStream_tbEUlmE_yEESB_NS0_8identityIvEEEESG_SJ_SK_mSL_SN_bEUlT_E_NS1_11comp_targetILNS1_3genE10ELNS1_11target_archE1201ELNS1_3gpuE5ELNS1_3repE0EEENS1_30default_config_static_selectorELNS0_4arch9wavefront6targetE0EEEvT1_.kd
    .uniform_work_group_size: 1
    .uses_dynamic_stack: false
    .vgpr_count:     0
    .vgpr_spill_count: 0
    .wavefront_size: 32
    .workgroup_processor_mode: 1
  - .args:
      - .offset:         0
        .size:           56
        .value_kind:     by_value
    .group_segment_fixed_size: 0
    .kernarg_segment_align: 8
    .kernarg_segment_size: 56
    .language:       OpenCL C
    .language_version:
      - 2
      - 0
    .max_flat_workgroup_size: 512
    .name:           _ZN7rocprim17ROCPRIM_400000_NS6detail17trampoline_kernelINS0_14default_configENS1_25transform_config_selectorIyLb0EEEZNS1_14transform_implILb0ES3_S5_NS0_18transform_iteratorINS0_17counting_iteratorImlEEZNS1_24adjacent_difference_implIS3_Lb1ELb0EPySB_N6thrust23THRUST_200600_302600_NS5minusIyEEEE10hipError_tPvRmT2_T3_mT4_P12ihipStream_tbEUlmE_yEESB_NS0_8identityIvEEEESG_SJ_SK_mSL_SN_bEUlT_E_NS1_11comp_targetILNS1_3genE10ELNS1_11target_archE1200ELNS1_3gpuE4ELNS1_3repE0EEENS1_30default_config_static_selectorELNS0_4arch9wavefront6targetE0EEEvT1_
    .private_segment_fixed_size: 0
    .sgpr_count:     0
    .sgpr_spill_count: 0
    .symbol:         _ZN7rocprim17ROCPRIM_400000_NS6detail17trampoline_kernelINS0_14default_configENS1_25transform_config_selectorIyLb0EEEZNS1_14transform_implILb0ES3_S5_NS0_18transform_iteratorINS0_17counting_iteratorImlEEZNS1_24adjacent_difference_implIS3_Lb1ELb0EPySB_N6thrust23THRUST_200600_302600_NS5minusIyEEEE10hipError_tPvRmT2_T3_mT4_P12ihipStream_tbEUlmE_yEESB_NS0_8identityIvEEEESG_SJ_SK_mSL_SN_bEUlT_E_NS1_11comp_targetILNS1_3genE10ELNS1_11target_archE1200ELNS1_3gpuE4ELNS1_3repE0EEENS1_30default_config_static_selectorELNS0_4arch9wavefront6targetE0EEEvT1_.kd
    .uniform_work_group_size: 1
    .uses_dynamic_stack: false
    .vgpr_count:     0
    .vgpr_spill_count: 0
    .wavefront_size: 32
    .workgroup_processor_mode: 1
  - .args:
      - .offset:         0
        .size:           56
        .value_kind:     by_value
      - .offset:         56
        .size:           4
        .value_kind:     hidden_block_count_x
      - .offset:         60
        .size:           4
        .value_kind:     hidden_block_count_y
      - .offset:         64
        .size:           4
        .value_kind:     hidden_block_count_z
      - .offset:         68
        .size:           2
        .value_kind:     hidden_group_size_x
      - .offset:         70
        .size:           2
        .value_kind:     hidden_group_size_y
      - .offset:         72
        .size:           2
        .value_kind:     hidden_group_size_z
      - .offset:         74
        .size:           2
        .value_kind:     hidden_remainder_x
      - .offset:         76
        .size:           2
        .value_kind:     hidden_remainder_y
      - .offset:         78
        .size:           2
        .value_kind:     hidden_remainder_z
      - .offset:         96
        .size:           8
        .value_kind:     hidden_global_offset_x
      - .offset:         104
        .size:           8
        .value_kind:     hidden_global_offset_y
      - .offset:         112
        .size:           8
        .value_kind:     hidden_global_offset_z
      - .offset:         120
        .size:           2
        .value_kind:     hidden_grid_dims
    .group_segment_fixed_size: 0
    .kernarg_segment_align: 8
    .kernarg_segment_size: 312
    .language:       OpenCL C
    .language_version:
      - 2
      - 0
    .max_flat_workgroup_size: 512
    .name:           _ZN7rocprim17ROCPRIM_400000_NS6detail17trampoline_kernelINS0_14default_configENS1_25transform_config_selectorIyLb0EEEZNS1_14transform_implILb0ES3_S5_NS0_18transform_iteratorINS0_17counting_iteratorImlEEZNS1_24adjacent_difference_implIS3_Lb1ELb0EPySB_N6thrust23THRUST_200600_302600_NS5minusIyEEEE10hipError_tPvRmT2_T3_mT4_P12ihipStream_tbEUlmE_yEESB_NS0_8identityIvEEEESG_SJ_SK_mSL_SN_bEUlT_E_NS1_11comp_targetILNS1_3genE9ELNS1_11target_archE1100ELNS1_3gpuE3ELNS1_3repE0EEENS1_30default_config_static_selectorELNS0_4arch9wavefront6targetE0EEEvT1_
    .private_segment_fixed_size: 0
    .sgpr_count:     18
    .sgpr_spill_count: 0
    .symbol:         _ZN7rocprim17ROCPRIM_400000_NS6detail17trampoline_kernelINS0_14default_configENS1_25transform_config_selectorIyLb0EEEZNS1_14transform_implILb0ES3_S5_NS0_18transform_iteratorINS0_17counting_iteratorImlEEZNS1_24adjacent_difference_implIS3_Lb1ELb0EPySB_N6thrust23THRUST_200600_302600_NS5minusIyEEEE10hipError_tPvRmT2_T3_mT4_P12ihipStream_tbEUlmE_yEESB_NS0_8identityIvEEEESG_SJ_SK_mSL_SN_bEUlT_E_NS1_11comp_targetILNS1_3genE9ELNS1_11target_archE1100ELNS1_3gpuE3ELNS1_3repE0EEENS1_30default_config_static_selectorELNS0_4arch9wavefront6targetE0EEEvT1_.kd
    .uniform_work_group_size: 1
    .uses_dynamic_stack: false
    .vgpr_count:     6
    .vgpr_spill_count: 0
    .wavefront_size: 32
    .workgroup_processor_mode: 1
  - .args:
      - .offset:         0
        .size:           56
        .value_kind:     by_value
    .group_segment_fixed_size: 0
    .kernarg_segment_align: 8
    .kernarg_segment_size: 56
    .language:       OpenCL C
    .language_version:
      - 2
      - 0
    .max_flat_workgroup_size: 512
    .name:           _ZN7rocprim17ROCPRIM_400000_NS6detail17trampoline_kernelINS0_14default_configENS1_25transform_config_selectorIyLb0EEEZNS1_14transform_implILb0ES3_S5_NS0_18transform_iteratorINS0_17counting_iteratorImlEEZNS1_24adjacent_difference_implIS3_Lb1ELb0EPySB_N6thrust23THRUST_200600_302600_NS5minusIyEEEE10hipError_tPvRmT2_T3_mT4_P12ihipStream_tbEUlmE_yEESB_NS0_8identityIvEEEESG_SJ_SK_mSL_SN_bEUlT_E_NS1_11comp_targetILNS1_3genE8ELNS1_11target_archE1030ELNS1_3gpuE2ELNS1_3repE0EEENS1_30default_config_static_selectorELNS0_4arch9wavefront6targetE0EEEvT1_
    .private_segment_fixed_size: 0
    .sgpr_count:     0
    .sgpr_spill_count: 0
    .symbol:         _ZN7rocprim17ROCPRIM_400000_NS6detail17trampoline_kernelINS0_14default_configENS1_25transform_config_selectorIyLb0EEEZNS1_14transform_implILb0ES3_S5_NS0_18transform_iteratorINS0_17counting_iteratorImlEEZNS1_24adjacent_difference_implIS3_Lb1ELb0EPySB_N6thrust23THRUST_200600_302600_NS5minusIyEEEE10hipError_tPvRmT2_T3_mT4_P12ihipStream_tbEUlmE_yEESB_NS0_8identityIvEEEESG_SJ_SK_mSL_SN_bEUlT_E_NS1_11comp_targetILNS1_3genE8ELNS1_11target_archE1030ELNS1_3gpuE2ELNS1_3repE0EEENS1_30default_config_static_selectorELNS0_4arch9wavefront6targetE0EEEvT1_.kd
    .uniform_work_group_size: 1
    .uses_dynamic_stack: false
    .vgpr_count:     0
    .vgpr_spill_count: 0
    .wavefront_size: 32
    .workgroup_processor_mode: 1
  - .args:
      - .offset:         0
        .size:           56
        .value_kind:     by_value
    .group_segment_fixed_size: 0
    .kernarg_segment_align: 8
    .kernarg_segment_size: 56
    .language:       OpenCL C
    .language_version:
      - 2
      - 0
    .max_flat_workgroup_size: 512
    .name:           _ZN7rocprim17ROCPRIM_400000_NS6detail17trampoline_kernelINS0_14default_configENS1_35adjacent_difference_config_selectorILb1EyEEZNS1_24adjacent_difference_implIS3_Lb1ELb0EPyS7_N6thrust23THRUST_200600_302600_NS5minusIyEEEE10hipError_tPvRmT2_T3_mT4_P12ihipStream_tbEUlT_E_NS1_11comp_targetILNS1_3genE0ELNS1_11target_archE4294967295ELNS1_3gpuE0ELNS1_3repE0EEENS1_30default_config_static_selectorELNS0_4arch9wavefront6targetE0EEEvT1_
    .private_segment_fixed_size: 0
    .sgpr_count:     0
    .sgpr_spill_count: 0
    .symbol:         _ZN7rocprim17ROCPRIM_400000_NS6detail17trampoline_kernelINS0_14default_configENS1_35adjacent_difference_config_selectorILb1EyEEZNS1_24adjacent_difference_implIS3_Lb1ELb0EPyS7_N6thrust23THRUST_200600_302600_NS5minusIyEEEE10hipError_tPvRmT2_T3_mT4_P12ihipStream_tbEUlT_E_NS1_11comp_targetILNS1_3genE0ELNS1_11target_archE4294967295ELNS1_3gpuE0ELNS1_3repE0EEENS1_30default_config_static_selectorELNS0_4arch9wavefront6targetE0EEEvT1_.kd
    .uniform_work_group_size: 1
    .uses_dynamic_stack: false
    .vgpr_count:     0
    .vgpr_spill_count: 0
    .wavefront_size: 32
    .workgroup_processor_mode: 1
  - .args:
      - .offset:         0
        .size:           56
        .value_kind:     by_value
    .group_segment_fixed_size: 0
    .kernarg_segment_align: 8
    .kernarg_segment_size: 56
    .language:       OpenCL C
    .language_version:
      - 2
      - 0
    .max_flat_workgroup_size: 32
    .name:           _ZN7rocprim17ROCPRIM_400000_NS6detail17trampoline_kernelINS0_14default_configENS1_35adjacent_difference_config_selectorILb1EyEEZNS1_24adjacent_difference_implIS3_Lb1ELb0EPyS7_N6thrust23THRUST_200600_302600_NS5minusIyEEEE10hipError_tPvRmT2_T3_mT4_P12ihipStream_tbEUlT_E_NS1_11comp_targetILNS1_3genE10ELNS1_11target_archE1201ELNS1_3gpuE5ELNS1_3repE0EEENS1_30default_config_static_selectorELNS0_4arch9wavefront6targetE0EEEvT1_
    .private_segment_fixed_size: 0
    .sgpr_count:     0
    .sgpr_spill_count: 0
    .symbol:         _ZN7rocprim17ROCPRIM_400000_NS6detail17trampoline_kernelINS0_14default_configENS1_35adjacent_difference_config_selectorILb1EyEEZNS1_24adjacent_difference_implIS3_Lb1ELb0EPyS7_N6thrust23THRUST_200600_302600_NS5minusIyEEEE10hipError_tPvRmT2_T3_mT4_P12ihipStream_tbEUlT_E_NS1_11comp_targetILNS1_3genE10ELNS1_11target_archE1201ELNS1_3gpuE5ELNS1_3repE0EEENS1_30default_config_static_selectorELNS0_4arch9wavefront6targetE0EEEvT1_.kd
    .uniform_work_group_size: 1
    .uses_dynamic_stack: false
    .vgpr_count:     0
    .vgpr_spill_count: 0
    .wavefront_size: 32
    .workgroup_processor_mode: 1
  - .args:
      - .offset:         0
        .size:           56
        .value_kind:     by_value
    .group_segment_fixed_size: 0
    .kernarg_segment_align: 8
    .kernarg_segment_size: 56
    .language:       OpenCL C
    .language_version:
      - 2
      - 0
    .max_flat_workgroup_size: 256
    .name:           _ZN7rocprim17ROCPRIM_400000_NS6detail17trampoline_kernelINS0_14default_configENS1_35adjacent_difference_config_selectorILb1EyEEZNS1_24adjacent_difference_implIS3_Lb1ELb0EPyS7_N6thrust23THRUST_200600_302600_NS5minusIyEEEE10hipError_tPvRmT2_T3_mT4_P12ihipStream_tbEUlT_E_NS1_11comp_targetILNS1_3genE5ELNS1_11target_archE942ELNS1_3gpuE9ELNS1_3repE0EEENS1_30default_config_static_selectorELNS0_4arch9wavefront6targetE0EEEvT1_
    .private_segment_fixed_size: 0
    .sgpr_count:     0
    .sgpr_spill_count: 0
    .symbol:         _ZN7rocprim17ROCPRIM_400000_NS6detail17trampoline_kernelINS0_14default_configENS1_35adjacent_difference_config_selectorILb1EyEEZNS1_24adjacent_difference_implIS3_Lb1ELb0EPyS7_N6thrust23THRUST_200600_302600_NS5minusIyEEEE10hipError_tPvRmT2_T3_mT4_P12ihipStream_tbEUlT_E_NS1_11comp_targetILNS1_3genE5ELNS1_11target_archE942ELNS1_3gpuE9ELNS1_3repE0EEENS1_30default_config_static_selectorELNS0_4arch9wavefront6targetE0EEEvT1_.kd
    .uniform_work_group_size: 1
    .uses_dynamic_stack: false
    .vgpr_count:     0
    .vgpr_spill_count: 0
    .wavefront_size: 32
    .workgroup_processor_mode: 1
  - .args:
      - .offset:         0
        .size:           56
        .value_kind:     by_value
    .group_segment_fixed_size: 0
    .kernarg_segment_align: 8
    .kernarg_segment_size: 56
    .language:       OpenCL C
    .language_version:
      - 2
      - 0
    .max_flat_workgroup_size: 512
    .name:           _ZN7rocprim17ROCPRIM_400000_NS6detail17trampoline_kernelINS0_14default_configENS1_35adjacent_difference_config_selectorILb1EyEEZNS1_24adjacent_difference_implIS3_Lb1ELb0EPyS7_N6thrust23THRUST_200600_302600_NS5minusIyEEEE10hipError_tPvRmT2_T3_mT4_P12ihipStream_tbEUlT_E_NS1_11comp_targetILNS1_3genE4ELNS1_11target_archE910ELNS1_3gpuE8ELNS1_3repE0EEENS1_30default_config_static_selectorELNS0_4arch9wavefront6targetE0EEEvT1_
    .private_segment_fixed_size: 0
    .sgpr_count:     0
    .sgpr_spill_count: 0
    .symbol:         _ZN7rocprim17ROCPRIM_400000_NS6detail17trampoline_kernelINS0_14default_configENS1_35adjacent_difference_config_selectorILb1EyEEZNS1_24adjacent_difference_implIS3_Lb1ELb0EPyS7_N6thrust23THRUST_200600_302600_NS5minusIyEEEE10hipError_tPvRmT2_T3_mT4_P12ihipStream_tbEUlT_E_NS1_11comp_targetILNS1_3genE4ELNS1_11target_archE910ELNS1_3gpuE8ELNS1_3repE0EEENS1_30default_config_static_selectorELNS0_4arch9wavefront6targetE0EEEvT1_.kd
    .uniform_work_group_size: 1
    .uses_dynamic_stack: false
    .vgpr_count:     0
    .vgpr_spill_count: 0
    .wavefront_size: 32
    .workgroup_processor_mode: 1
  - .args:
      - .offset:         0
        .size:           56
        .value_kind:     by_value
    .group_segment_fixed_size: 0
    .kernarg_segment_align: 8
    .kernarg_segment_size: 56
    .language:       OpenCL C
    .language_version:
      - 2
      - 0
    .max_flat_workgroup_size: 512
    .name:           _ZN7rocprim17ROCPRIM_400000_NS6detail17trampoline_kernelINS0_14default_configENS1_35adjacent_difference_config_selectorILb1EyEEZNS1_24adjacent_difference_implIS3_Lb1ELb0EPyS7_N6thrust23THRUST_200600_302600_NS5minusIyEEEE10hipError_tPvRmT2_T3_mT4_P12ihipStream_tbEUlT_E_NS1_11comp_targetILNS1_3genE3ELNS1_11target_archE908ELNS1_3gpuE7ELNS1_3repE0EEENS1_30default_config_static_selectorELNS0_4arch9wavefront6targetE0EEEvT1_
    .private_segment_fixed_size: 0
    .sgpr_count:     0
    .sgpr_spill_count: 0
    .symbol:         _ZN7rocprim17ROCPRIM_400000_NS6detail17trampoline_kernelINS0_14default_configENS1_35adjacent_difference_config_selectorILb1EyEEZNS1_24adjacent_difference_implIS3_Lb1ELb0EPyS7_N6thrust23THRUST_200600_302600_NS5minusIyEEEE10hipError_tPvRmT2_T3_mT4_P12ihipStream_tbEUlT_E_NS1_11comp_targetILNS1_3genE3ELNS1_11target_archE908ELNS1_3gpuE7ELNS1_3repE0EEENS1_30default_config_static_selectorELNS0_4arch9wavefront6targetE0EEEvT1_.kd
    .uniform_work_group_size: 1
    .uses_dynamic_stack: false
    .vgpr_count:     0
    .vgpr_spill_count: 0
    .wavefront_size: 32
    .workgroup_processor_mode: 1
  - .args:
      - .offset:         0
        .size:           56
        .value_kind:     by_value
    .group_segment_fixed_size: 0
    .kernarg_segment_align: 8
    .kernarg_segment_size: 56
    .language:       OpenCL C
    .language_version:
      - 2
      - 0
    .max_flat_workgroup_size: 128
    .name:           _ZN7rocprim17ROCPRIM_400000_NS6detail17trampoline_kernelINS0_14default_configENS1_35adjacent_difference_config_selectorILb1EyEEZNS1_24adjacent_difference_implIS3_Lb1ELb0EPyS7_N6thrust23THRUST_200600_302600_NS5minusIyEEEE10hipError_tPvRmT2_T3_mT4_P12ihipStream_tbEUlT_E_NS1_11comp_targetILNS1_3genE2ELNS1_11target_archE906ELNS1_3gpuE6ELNS1_3repE0EEENS1_30default_config_static_selectorELNS0_4arch9wavefront6targetE0EEEvT1_
    .private_segment_fixed_size: 0
    .sgpr_count:     0
    .sgpr_spill_count: 0
    .symbol:         _ZN7rocprim17ROCPRIM_400000_NS6detail17trampoline_kernelINS0_14default_configENS1_35adjacent_difference_config_selectorILb1EyEEZNS1_24adjacent_difference_implIS3_Lb1ELb0EPyS7_N6thrust23THRUST_200600_302600_NS5minusIyEEEE10hipError_tPvRmT2_T3_mT4_P12ihipStream_tbEUlT_E_NS1_11comp_targetILNS1_3genE2ELNS1_11target_archE906ELNS1_3gpuE6ELNS1_3repE0EEENS1_30default_config_static_selectorELNS0_4arch9wavefront6targetE0EEEvT1_.kd
    .uniform_work_group_size: 1
    .uses_dynamic_stack: false
    .vgpr_count:     0
    .vgpr_spill_count: 0
    .wavefront_size: 32
    .workgroup_processor_mode: 1
  - .args:
      - .offset:         0
        .size:           56
        .value_kind:     by_value
    .group_segment_fixed_size: 29696
    .kernarg_segment_align: 8
    .kernarg_segment_size: 56
    .language:       OpenCL C
    .language_version:
      - 2
      - 0
    .max_flat_workgroup_size: 128
    .name:           _ZN7rocprim17ROCPRIM_400000_NS6detail17trampoline_kernelINS0_14default_configENS1_35adjacent_difference_config_selectorILb1EyEEZNS1_24adjacent_difference_implIS3_Lb1ELb0EPyS7_N6thrust23THRUST_200600_302600_NS5minusIyEEEE10hipError_tPvRmT2_T3_mT4_P12ihipStream_tbEUlT_E_NS1_11comp_targetILNS1_3genE9ELNS1_11target_archE1100ELNS1_3gpuE3ELNS1_3repE0EEENS1_30default_config_static_selectorELNS0_4arch9wavefront6targetE0EEEvT1_
    .private_segment_fixed_size: 0
    .sgpr_count:     28
    .sgpr_spill_count: 0
    .symbol:         _ZN7rocprim17ROCPRIM_400000_NS6detail17trampoline_kernelINS0_14default_configENS1_35adjacent_difference_config_selectorILb1EyEEZNS1_24adjacent_difference_implIS3_Lb1ELb0EPyS7_N6thrust23THRUST_200600_302600_NS5minusIyEEEE10hipError_tPvRmT2_T3_mT4_P12ihipStream_tbEUlT_E_NS1_11comp_targetILNS1_3genE9ELNS1_11target_archE1100ELNS1_3gpuE3ELNS1_3repE0EEENS1_30default_config_static_selectorELNS0_4arch9wavefront6targetE0EEEvT1_.kd
    .uniform_work_group_size: 1
    .uses_dynamic_stack: false
    .vgpr_count:     122
    .vgpr_spill_count: 0
    .wavefront_size: 32
    .workgroup_processor_mode: 1
  - .args:
      - .offset:         0
        .size:           56
        .value_kind:     by_value
    .group_segment_fixed_size: 0
    .kernarg_segment_align: 8
    .kernarg_segment_size: 56
    .language:       OpenCL C
    .language_version:
      - 2
      - 0
    .max_flat_workgroup_size: 32
    .name:           _ZN7rocprim17ROCPRIM_400000_NS6detail17trampoline_kernelINS0_14default_configENS1_35adjacent_difference_config_selectorILb1EyEEZNS1_24adjacent_difference_implIS3_Lb1ELb0EPyS7_N6thrust23THRUST_200600_302600_NS5minusIyEEEE10hipError_tPvRmT2_T3_mT4_P12ihipStream_tbEUlT_E_NS1_11comp_targetILNS1_3genE8ELNS1_11target_archE1030ELNS1_3gpuE2ELNS1_3repE0EEENS1_30default_config_static_selectorELNS0_4arch9wavefront6targetE0EEEvT1_
    .private_segment_fixed_size: 0
    .sgpr_count:     0
    .sgpr_spill_count: 0
    .symbol:         _ZN7rocprim17ROCPRIM_400000_NS6detail17trampoline_kernelINS0_14default_configENS1_35adjacent_difference_config_selectorILb1EyEEZNS1_24adjacent_difference_implIS3_Lb1ELb0EPyS7_N6thrust23THRUST_200600_302600_NS5minusIyEEEE10hipError_tPvRmT2_T3_mT4_P12ihipStream_tbEUlT_E_NS1_11comp_targetILNS1_3genE8ELNS1_11target_archE1030ELNS1_3gpuE2ELNS1_3repE0EEENS1_30default_config_static_selectorELNS0_4arch9wavefront6targetE0EEEvT1_.kd
    .uniform_work_group_size: 1
    .uses_dynamic_stack: false
    .vgpr_count:     0
    .vgpr_spill_count: 0
    .wavefront_size: 32
    .workgroup_processor_mode: 1
  - .args:
      - .offset:         0
        .size:           56
        .value_kind:     by_value
    .group_segment_fixed_size: 0
    .kernarg_segment_align: 8
    .kernarg_segment_size: 56
    .language:       OpenCL C
    .language_version:
      - 2
      - 0
    .max_flat_workgroup_size: 128
    .name:           _ZN7rocprim17ROCPRIM_400000_NS6detail17trampoline_kernelINS0_14default_configENS1_35adjacent_difference_config_selectorILb0EyEEZNS1_24adjacent_difference_implIS3_Lb0ELb0EPyS7_N6thrust23THRUST_200600_302600_NS4plusIyEEEE10hipError_tPvRmT2_T3_mT4_P12ihipStream_tbEUlT_E_NS1_11comp_targetILNS1_3genE0ELNS1_11target_archE4294967295ELNS1_3gpuE0ELNS1_3repE0EEENS1_30default_config_static_selectorELNS0_4arch9wavefront6targetE0EEEvT1_
    .private_segment_fixed_size: 0
    .sgpr_count:     0
    .sgpr_spill_count: 0
    .symbol:         _ZN7rocprim17ROCPRIM_400000_NS6detail17trampoline_kernelINS0_14default_configENS1_35adjacent_difference_config_selectorILb0EyEEZNS1_24adjacent_difference_implIS3_Lb0ELb0EPyS7_N6thrust23THRUST_200600_302600_NS4plusIyEEEE10hipError_tPvRmT2_T3_mT4_P12ihipStream_tbEUlT_E_NS1_11comp_targetILNS1_3genE0ELNS1_11target_archE4294967295ELNS1_3gpuE0ELNS1_3repE0EEENS1_30default_config_static_selectorELNS0_4arch9wavefront6targetE0EEEvT1_.kd
    .uniform_work_group_size: 1
    .uses_dynamic_stack: false
    .vgpr_count:     0
    .vgpr_spill_count: 0
    .wavefront_size: 32
    .workgroup_processor_mode: 1
  - .args:
      - .offset:         0
        .size:           56
        .value_kind:     by_value
    .group_segment_fixed_size: 0
    .kernarg_segment_align: 8
    .kernarg_segment_size: 56
    .language:       OpenCL C
    .language_version:
      - 2
      - 0
    .max_flat_workgroup_size: 128
    .name:           _ZN7rocprim17ROCPRIM_400000_NS6detail17trampoline_kernelINS0_14default_configENS1_35adjacent_difference_config_selectorILb0EyEEZNS1_24adjacent_difference_implIS3_Lb0ELb0EPyS7_N6thrust23THRUST_200600_302600_NS4plusIyEEEE10hipError_tPvRmT2_T3_mT4_P12ihipStream_tbEUlT_E_NS1_11comp_targetILNS1_3genE10ELNS1_11target_archE1201ELNS1_3gpuE5ELNS1_3repE0EEENS1_30default_config_static_selectorELNS0_4arch9wavefront6targetE0EEEvT1_
    .private_segment_fixed_size: 0
    .sgpr_count:     0
    .sgpr_spill_count: 0
    .symbol:         _ZN7rocprim17ROCPRIM_400000_NS6detail17trampoline_kernelINS0_14default_configENS1_35adjacent_difference_config_selectorILb0EyEEZNS1_24adjacent_difference_implIS3_Lb0ELb0EPyS7_N6thrust23THRUST_200600_302600_NS4plusIyEEEE10hipError_tPvRmT2_T3_mT4_P12ihipStream_tbEUlT_E_NS1_11comp_targetILNS1_3genE10ELNS1_11target_archE1201ELNS1_3gpuE5ELNS1_3repE0EEENS1_30default_config_static_selectorELNS0_4arch9wavefront6targetE0EEEvT1_.kd
    .uniform_work_group_size: 1
    .uses_dynamic_stack: false
    .vgpr_count:     0
    .vgpr_spill_count: 0
    .wavefront_size: 32
    .workgroup_processor_mode: 1
  - .args:
      - .offset:         0
        .size:           56
        .value_kind:     by_value
    .group_segment_fixed_size: 0
    .kernarg_segment_align: 8
    .kernarg_segment_size: 56
    .language:       OpenCL C
    .language_version:
      - 2
      - 0
    .max_flat_workgroup_size: 64
    .name:           _ZN7rocprim17ROCPRIM_400000_NS6detail17trampoline_kernelINS0_14default_configENS1_35adjacent_difference_config_selectorILb0EyEEZNS1_24adjacent_difference_implIS3_Lb0ELb0EPyS7_N6thrust23THRUST_200600_302600_NS4plusIyEEEE10hipError_tPvRmT2_T3_mT4_P12ihipStream_tbEUlT_E_NS1_11comp_targetILNS1_3genE5ELNS1_11target_archE942ELNS1_3gpuE9ELNS1_3repE0EEENS1_30default_config_static_selectorELNS0_4arch9wavefront6targetE0EEEvT1_
    .private_segment_fixed_size: 0
    .sgpr_count:     0
    .sgpr_spill_count: 0
    .symbol:         _ZN7rocprim17ROCPRIM_400000_NS6detail17trampoline_kernelINS0_14default_configENS1_35adjacent_difference_config_selectorILb0EyEEZNS1_24adjacent_difference_implIS3_Lb0ELb0EPyS7_N6thrust23THRUST_200600_302600_NS4plusIyEEEE10hipError_tPvRmT2_T3_mT4_P12ihipStream_tbEUlT_E_NS1_11comp_targetILNS1_3genE5ELNS1_11target_archE942ELNS1_3gpuE9ELNS1_3repE0EEENS1_30default_config_static_selectorELNS0_4arch9wavefront6targetE0EEEvT1_.kd
    .uniform_work_group_size: 1
    .uses_dynamic_stack: false
    .vgpr_count:     0
    .vgpr_spill_count: 0
    .wavefront_size: 32
    .workgroup_processor_mode: 1
  - .args:
      - .offset:         0
        .size:           56
        .value_kind:     by_value
    .group_segment_fixed_size: 0
    .kernarg_segment_align: 8
    .kernarg_segment_size: 56
    .language:       OpenCL C
    .language_version:
      - 2
      - 0
    .max_flat_workgroup_size: 256
    .name:           _ZN7rocprim17ROCPRIM_400000_NS6detail17trampoline_kernelINS0_14default_configENS1_35adjacent_difference_config_selectorILb0EyEEZNS1_24adjacent_difference_implIS3_Lb0ELb0EPyS7_N6thrust23THRUST_200600_302600_NS4plusIyEEEE10hipError_tPvRmT2_T3_mT4_P12ihipStream_tbEUlT_E_NS1_11comp_targetILNS1_3genE4ELNS1_11target_archE910ELNS1_3gpuE8ELNS1_3repE0EEENS1_30default_config_static_selectorELNS0_4arch9wavefront6targetE0EEEvT1_
    .private_segment_fixed_size: 0
    .sgpr_count:     0
    .sgpr_spill_count: 0
    .symbol:         _ZN7rocprim17ROCPRIM_400000_NS6detail17trampoline_kernelINS0_14default_configENS1_35adjacent_difference_config_selectorILb0EyEEZNS1_24adjacent_difference_implIS3_Lb0ELb0EPyS7_N6thrust23THRUST_200600_302600_NS4plusIyEEEE10hipError_tPvRmT2_T3_mT4_P12ihipStream_tbEUlT_E_NS1_11comp_targetILNS1_3genE4ELNS1_11target_archE910ELNS1_3gpuE8ELNS1_3repE0EEENS1_30default_config_static_selectorELNS0_4arch9wavefront6targetE0EEEvT1_.kd
    .uniform_work_group_size: 1
    .uses_dynamic_stack: false
    .vgpr_count:     0
    .vgpr_spill_count: 0
    .wavefront_size: 32
    .workgroup_processor_mode: 1
  - .args:
      - .offset:         0
        .size:           56
        .value_kind:     by_value
    .group_segment_fixed_size: 0
    .kernarg_segment_align: 8
    .kernarg_segment_size: 56
    .language:       OpenCL C
    .language_version:
      - 2
      - 0
    .max_flat_workgroup_size: 128
    .name:           _ZN7rocprim17ROCPRIM_400000_NS6detail17trampoline_kernelINS0_14default_configENS1_35adjacent_difference_config_selectorILb0EyEEZNS1_24adjacent_difference_implIS3_Lb0ELb0EPyS7_N6thrust23THRUST_200600_302600_NS4plusIyEEEE10hipError_tPvRmT2_T3_mT4_P12ihipStream_tbEUlT_E_NS1_11comp_targetILNS1_3genE3ELNS1_11target_archE908ELNS1_3gpuE7ELNS1_3repE0EEENS1_30default_config_static_selectorELNS0_4arch9wavefront6targetE0EEEvT1_
    .private_segment_fixed_size: 0
    .sgpr_count:     0
    .sgpr_spill_count: 0
    .symbol:         _ZN7rocprim17ROCPRIM_400000_NS6detail17trampoline_kernelINS0_14default_configENS1_35adjacent_difference_config_selectorILb0EyEEZNS1_24adjacent_difference_implIS3_Lb0ELb0EPyS7_N6thrust23THRUST_200600_302600_NS4plusIyEEEE10hipError_tPvRmT2_T3_mT4_P12ihipStream_tbEUlT_E_NS1_11comp_targetILNS1_3genE3ELNS1_11target_archE908ELNS1_3gpuE7ELNS1_3repE0EEENS1_30default_config_static_selectorELNS0_4arch9wavefront6targetE0EEEvT1_.kd
    .uniform_work_group_size: 1
    .uses_dynamic_stack: false
    .vgpr_count:     0
    .vgpr_spill_count: 0
    .wavefront_size: 32
    .workgroup_processor_mode: 1
  - .args:
      - .offset:         0
        .size:           56
        .value_kind:     by_value
    .group_segment_fixed_size: 0
    .kernarg_segment_align: 8
    .kernarg_segment_size: 56
    .language:       OpenCL C
    .language_version:
      - 2
      - 0
    .max_flat_workgroup_size: 128
    .name:           _ZN7rocprim17ROCPRIM_400000_NS6detail17trampoline_kernelINS0_14default_configENS1_35adjacent_difference_config_selectorILb0EyEEZNS1_24adjacent_difference_implIS3_Lb0ELb0EPyS7_N6thrust23THRUST_200600_302600_NS4plusIyEEEE10hipError_tPvRmT2_T3_mT4_P12ihipStream_tbEUlT_E_NS1_11comp_targetILNS1_3genE2ELNS1_11target_archE906ELNS1_3gpuE6ELNS1_3repE0EEENS1_30default_config_static_selectorELNS0_4arch9wavefront6targetE0EEEvT1_
    .private_segment_fixed_size: 0
    .sgpr_count:     0
    .sgpr_spill_count: 0
    .symbol:         _ZN7rocprim17ROCPRIM_400000_NS6detail17trampoline_kernelINS0_14default_configENS1_35adjacent_difference_config_selectorILb0EyEEZNS1_24adjacent_difference_implIS3_Lb0ELb0EPyS7_N6thrust23THRUST_200600_302600_NS4plusIyEEEE10hipError_tPvRmT2_T3_mT4_P12ihipStream_tbEUlT_E_NS1_11comp_targetILNS1_3genE2ELNS1_11target_archE906ELNS1_3gpuE6ELNS1_3repE0EEENS1_30default_config_static_selectorELNS0_4arch9wavefront6targetE0EEEvT1_.kd
    .uniform_work_group_size: 1
    .uses_dynamic_stack: false
    .vgpr_count:     0
    .vgpr_spill_count: 0
    .wavefront_size: 32
    .workgroup_processor_mode: 1
  - .args:
      - .offset:         0
        .size:           56
        .value_kind:     by_value
    .group_segment_fixed_size: 8192
    .kernarg_segment_align: 8
    .kernarg_segment_size: 56
    .language:       OpenCL C
    .language_version:
      - 2
      - 0
    .max_flat_workgroup_size: 512
    .name:           _ZN7rocprim17ROCPRIM_400000_NS6detail17trampoline_kernelINS0_14default_configENS1_35adjacent_difference_config_selectorILb0EyEEZNS1_24adjacent_difference_implIS3_Lb0ELb0EPyS7_N6thrust23THRUST_200600_302600_NS4plusIyEEEE10hipError_tPvRmT2_T3_mT4_P12ihipStream_tbEUlT_E_NS1_11comp_targetILNS1_3genE9ELNS1_11target_archE1100ELNS1_3gpuE3ELNS1_3repE0EEENS1_30default_config_static_selectorELNS0_4arch9wavefront6targetE0EEEvT1_
    .private_segment_fixed_size: 0
    .sgpr_count:     22
    .sgpr_spill_count: 0
    .symbol:         _ZN7rocprim17ROCPRIM_400000_NS6detail17trampoline_kernelINS0_14default_configENS1_35adjacent_difference_config_selectorILb0EyEEZNS1_24adjacent_difference_implIS3_Lb0ELb0EPyS7_N6thrust23THRUST_200600_302600_NS4plusIyEEEE10hipError_tPvRmT2_T3_mT4_P12ihipStream_tbEUlT_E_NS1_11comp_targetILNS1_3genE9ELNS1_11target_archE1100ELNS1_3gpuE3ELNS1_3repE0EEENS1_30default_config_static_selectorELNS0_4arch9wavefront6targetE0EEEvT1_.kd
    .uniform_work_group_size: 1
    .uses_dynamic_stack: false
    .vgpr_count:     6
    .vgpr_spill_count: 0
    .wavefront_size: 32
    .workgroup_processor_mode: 1
  - .args:
      - .offset:         0
        .size:           56
        .value_kind:     by_value
    .group_segment_fixed_size: 0
    .kernarg_segment_align: 8
    .kernarg_segment_size: 56
    .language:       OpenCL C
    .language_version:
      - 2
      - 0
    .max_flat_workgroup_size: 1024
    .name:           _ZN7rocprim17ROCPRIM_400000_NS6detail17trampoline_kernelINS0_14default_configENS1_35adjacent_difference_config_selectorILb0EyEEZNS1_24adjacent_difference_implIS3_Lb0ELb0EPyS7_N6thrust23THRUST_200600_302600_NS4plusIyEEEE10hipError_tPvRmT2_T3_mT4_P12ihipStream_tbEUlT_E_NS1_11comp_targetILNS1_3genE8ELNS1_11target_archE1030ELNS1_3gpuE2ELNS1_3repE0EEENS1_30default_config_static_selectorELNS0_4arch9wavefront6targetE0EEEvT1_
    .private_segment_fixed_size: 0
    .sgpr_count:     0
    .sgpr_spill_count: 0
    .symbol:         _ZN7rocprim17ROCPRIM_400000_NS6detail17trampoline_kernelINS0_14default_configENS1_35adjacent_difference_config_selectorILb0EyEEZNS1_24adjacent_difference_implIS3_Lb0ELb0EPyS7_N6thrust23THRUST_200600_302600_NS4plusIyEEEE10hipError_tPvRmT2_T3_mT4_P12ihipStream_tbEUlT_E_NS1_11comp_targetILNS1_3genE8ELNS1_11target_archE1030ELNS1_3gpuE2ELNS1_3repE0EEENS1_30default_config_static_selectorELNS0_4arch9wavefront6targetE0EEEvT1_.kd
    .uniform_work_group_size: 1
    .uses_dynamic_stack: false
    .vgpr_count:     0
    .vgpr_spill_count: 0
    .wavefront_size: 32
    .workgroup_processor_mode: 1
  - .args:
      - .offset:         0
        .size:           56
        .value_kind:     by_value
    .group_segment_fixed_size: 0
    .kernarg_segment_align: 8
    .kernarg_segment_size: 56
    .language:       OpenCL C
    .language_version:
      - 2
      - 0
    .max_flat_workgroup_size: 128
    .name:           _ZN7rocprim17ROCPRIM_400000_NS6detail17trampoline_kernelINS0_14default_configENS1_25transform_config_selectorIyLb0EEEZNS1_14transform_implILb0ES3_S5_NS0_18transform_iteratorINS0_17counting_iteratorImlEEZNS1_24adjacent_difference_implIS3_Lb1ELb0EPySB_N6thrust23THRUST_200600_302600_NS4plusIyEEEE10hipError_tPvRmT2_T3_mT4_P12ihipStream_tbEUlmE_yEESB_NS0_8identityIvEEEESG_SJ_SK_mSL_SN_bEUlT_E_NS1_11comp_targetILNS1_3genE0ELNS1_11target_archE4294967295ELNS1_3gpuE0ELNS1_3repE0EEENS1_30default_config_static_selectorELNS0_4arch9wavefront6targetE0EEEvT1_
    .private_segment_fixed_size: 0
    .sgpr_count:     0
    .sgpr_spill_count: 0
    .symbol:         _ZN7rocprim17ROCPRIM_400000_NS6detail17trampoline_kernelINS0_14default_configENS1_25transform_config_selectorIyLb0EEEZNS1_14transform_implILb0ES3_S5_NS0_18transform_iteratorINS0_17counting_iteratorImlEEZNS1_24adjacent_difference_implIS3_Lb1ELb0EPySB_N6thrust23THRUST_200600_302600_NS4plusIyEEEE10hipError_tPvRmT2_T3_mT4_P12ihipStream_tbEUlmE_yEESB_NS0_8identityIvEEEESG_SJ_SK_mSL_SN_bEUlT_E_NS1_11comp_targetILNS1_3genE0ELNS1_11target_archE4294967295ELNS1_3gpuE0ELNS1_3repE0EEENS1_30default_config_static_selectorELNS0_4arch9wavefront6targetE0EEEvT1_.kd
    .uniform_work_group_size: 1
    .uses_dynamic_stack: false
    .vgpr_count:     0
    .vgpr_spill_count: 0
    .wavefront_size: 32
    .workgroup_processor_mode: 1
  - .args:
      - .offset:         0
        .size:           56
        .value_kind:     by_value
    .group_segment_fixed_size: 0
    .kernarg_segment_align: 8
    .kernarg_segment_size: 56
    .language:       OpenCL C
    .language_version:
      - 2
      - 0
    .max_flat_workgroup_size: 512
    .name:           _ZN7rocprim17ROCPRIM_400000_NS6detail17trampoline_kernelINS0_14default_configENS1_25transform_config_selectorIyLb0EEEZNS1_14transform_implILb0ES3_S5_NS0_18transform_iteratorINS0_17counting_iteratorImlEEZNS1_24adjacent_difference_implIS3_Lb1ELb0EPySB_N6thrust23THRUST_200600_302600_NS4plusIyEEEE10hipError_tPvRmT2_T3_mT4_P12ihipStream_tbEUlmE_yEESB_NS0_8identityIvEEEESG_SJ_SK_mSL_SN_bEUlT_E_NS1_11comp_targetILNS1_3genE5ELNS1_11target_archE942ELNS1_3gpuE9ELNS1_3repE0EEENS1_30default_config_static_selectorELNS0_4arch9wavefront6targetE0EEEvT1_
    .private_segment_fixed_size: 0
    .sgpr_count:     0
    .sgpr_spill_count: 0
    .symbol:         _ZN7rocprim17ROCPRIM_400000_NS6detail17trampoline_kernelINS0_14default_configENS1_25transform_config_selectorIyLb0EEEZNS1_14transform_implILb0ES3_S5_NS0_18transform_iteratorINS0_17counting_iteratorImlEEZNS1_24adjacent_difference_implIS3_Lb1ELb0EPySB_N6thrust23THRUST_200600_302600_NS4plusIyEEEE10hipError_tPvRmT2_T3_mT4_P12ihipStream_tbEUlmE_yEESB_NS0_8identityIvEEEESG_SJ_SK_mSL_SN_bEUlT_E_NS1_11comp_targetILNS1_3genE5ELNS1_11target_archE942ELNS1_3gpuE9ELNS1_3repE0EEENS1_30default_config_static_selectorELNS0_4arch9wavefront6targetE0EEEvT1_.kd
    .uniform_work_group_size: 1
    .uses_dynamic_stack: false
    .vgpr_count:     0
    .vgpr_spill_count: 0
    .wavefront_size: 32
    .workgroup_processor_mode: 1
  - .args:
      - .offset:         0
        .size:           56
        .value_kind:     by_value
    .group_segment_fixed_size: 0
    .kernarg_segment_align: 8
    .kernarg_segment_size: 56
    .language:       OpenCL C
    .language_version:
      - 2
      - 0
    .max_flat_workgroup_size: 256
    .name:           _ZN7rocprim17ROCPRIM_400000_NS6detail17trampoline_kernelINS0_14default_configENS1_25transform_config_selectorIyLb0EEEZNS1_14transform_implILb0ES3_S5_NS0_18transform_iteratorINS0_17counting_iteratorImlEEZNS1_24adjacent_difference_implIS3_Lb1ELb0EPySB_N6thrust23THRUST_200600_302600_NS4plusIyEEEE10hipError_tPvRmT2_T3_mT4_P12ihipStream_tbEUlmE_yEESB_NS0_8identityIvEEEESG_SJ_SK_mSL_SN_bEUlT_E_NS1_11comp_targetILNS1_3genE4ELNS1_11target_archE910ELNS1_3gpuE8ELNS1_3repE0EEENS1_30default_config_static_selectorELNS0_4arch9wavefront6targetE0EEEvT1_
    .private_segment_fixed_size: 0
    .sgpr_count:     0
    .sgpr_spill_count: 0
    .symbol:         _ZN7rocprim17ROCPRIM_400000_NS6detail17trampoline_kernelINS0_14default_configENS1_25transform_config_selectorIyLb0EEEZNS1_14transform_implILb0ES3_S5_NS0_18transform_iteratorINS0_17counting_iteratorImlEEZNS1_24adjacent_difference_implIS3_Lb1ELb0EPySB_N6thrust23THRUST_200600_302600_NS4plusIyEEEE10hipError_tPvRmT2_T3_mT4_P12ihipStream_tbEUlmE_yEESB_NS0_8identityIvEEEESG_SJ_SK_mSL_SN_bEUlT_E_NS1_11comp_targetILNS1_3genE4ELNS1_11target_archE910ELNS1_3gpuE8ELNS1_3repE0EEENS1_30default_config_static_selectorELNS0_4arch9wavefront6targetE0EEEvT1_.kd
    .uniform_work_group_size: 1
    .uses_dynamic_stack: false
    .vgpr_count:     0
    .vgpr_spill_count: 0
    .wavefront_size: 32
    .workgroup_processor_mode: 1
  - .args:
      - .offset:         0
        .size:           56
        .value_kind:     by_value
    .group_segment_fixed_size: 0
    .kernarg_segment_align: 8
    .kernarg_segment_size: 56
    .language:       OpenCL C
    .language_version:
      - 2
      - 0
    .max_flat_workgroup_size: 128
    .name:           _ZN7rocprim17ROCPRIM_400000_NS6detail17trampoline_kernelINS0_14default_configENS1_25transform_config_selectorIyLb0EEEZNS1_14transform_implILb0ES3_S5_NS0_18transform_iteratorINS0_17counting_iteratorImlEEZNS1_24adjacent_difference_implIS3_Lb1ELb0EPySB_N6thrust23THRUST_200600_302600_NS4plusIyEEEE10hipError_tPvRmT2_T3_mT4_P12ihipStream_tbEUlmE_yEESB_NS0_8identityIvEEEESG_SJ_SK_mSL_SN_bEUlT_E_NS1_11comp_targetILNS1_3genE3ELNS1_11target_archE908ELNS1_3gpuE7ELNS1_3repE0EEENS1_30default_config_static_selectorELNS0_4arch9wavefront6targetE0EEEvT1_
    .private_segment_fixed_size: 0
    .sgpr_count:     0
    .sgpr_spill_count: 0
    .symbol:         _ZN7rocprim17ROCPRIM_400000_NS6detail17trampoline_kernelINS0_14default_configENS1_25transform_config_selectorIyLb0EEEZNS1_14transform_implILb0ES3_S5_NS0_18transform_iteratorINS0_17counting_iteratorImlEEZNS1_24adjacent_difference_implIS3_Lb1ELb0EPySB_N6thrust23THRUST_200600_302600_NS4plusIyEEEE10hipError_tPvRmT2_T3_mT4_P12ihipStream_tbEUlmE_yEESB_NS0_8identityIvEEEESG_SJ_SK_mSL_SN_bEUlT_E_NS1_11comp_targetILNS1_3genE3ELNS1_11target_archE908ELNS1_3gpuE7ELNS1_3repE0EEENS1_30default_config_static_selectorELNS0_4arch9wavefront6targetE0EEEvT1_.kd
    .uniform_work_group_size: 1
    .uses_dynamic_stack: false
    .vgpr_count:     0
    .vgpr_spill_count: 0
    .wavefront_size: 32
    .workgroup_processor_mode: 1
  - .args:
      - .offset:         0
        .size:           56
        .value_kind:     by_value
    .group_segment_fixed_size: 0
    .kernarg_segment_align: 8
    .kernarg_segment_size: 56
    .language:       OpenCL C
    .language_version:
      - 2
      - 0
    .max_flat_workgroup_size: 512
    .name:           _ZN7rocprim17ROCPRIM_400000_NS6detail17trampoline_kernelINS0_14default_configENS1_25transform_config_selectorIyLb0EEEZNS1_14transform_implILb0ES3_S5_NS0_18transform_iteratorINS0_17counting_iteratorImlEEZNS1_24adjacent_difference_implIS3_Lb1ELb0EPySB_N6thrust23THRUST_200600_302600_NS4plusIyEEEE10hipError_tPvRmT2_T3_mT4_P12ihipStream_tbEUlmE_yEESB_NS0_8identityIvEEEESG_SJ_SK_mSL_SN_bEUlT_E_NS1_11comp_targetILNS1_3genE2ELNS1_11target_archE906ELNS1_3gpuE6ELNS1_3repE0EEENS1_30default_config_static_selectorELNS0_4arch9wavefront6targetE0EEEvT1_
    .private_segment_fixed_size: 0
    .sgpr_count:     0
    .sgpr_spill_count: 0
    .symbol:         _ZN7rocprim17ROCPRIM_400000_NS6detail17trampoline_kernelINS0_14default_configENS1_25transform_config_selectorIyLb0EEEZNS1_14transform_implILb0ES3_S5_NS0_18transform_iteratorINS0_17counting_iteratorImlEEZNS1_24adjacent_difference_implIS3_Lb1ELb0EPySB_N6thrust23THRUST_200600_302600_NS4plusIyEEEE10hipError_tPvRmT2_T3_mT4_P12ihipStream_tbEUlmE_yEESB_NS0_8identityIvEEEESG_SJ_SK_mSL_SN_bEUlT_E_NS1_11comp_targetILNS1_3genE2ELNS1_11target_archE906ELNS1_3gpuE6ELNS1_3repE0EEENS1_30default_config_static_selectorELNS0_4arch9wavefront6targetE0EEEvT1_.kd
    .uniform_work_group_size: 1
    .uses_dynamic_stack: false
    .vgpr_count:     0
    .vgpr_spill_count: 0
    .wavefront_size: 32
    .workgroup_processor_mode: 1
  - .args:
      - .offset:         0
        .size:           56
        .value_kind:     by_value
    .group_segment_fixed_size: 0
    .kernarg_segment_align: 8
    .kernarg_segment_size: 56
    .language:       OpenCL C
    .language_version:
      - 2
      - 0
    .max_flat_workgroup_size: 1024
    .name:           _ZN7rocprim17ROCPRIM_400000_NS6detail17trampoline_kernelINS0_14default_configENS1_25transform_config_selectorIyLb0EEEZNS1_14transform_implILb0ES3_S5_NS0_18transform_iteratorINS0_17counting_iteratorImlEEZNS1_24adjacent_difference_implIS3_Lb1ELb0EPySB_N6thrust23THRUST_200600_302600_NS4plusIyEEEE10hipError_tPvRmT2_T3_mT4_P12ihipStream_tbEUlmE_yEESB_NS0_8identityIvEEEESG_SJ_SK_mSL_SN_bEUlT_E_NS1_11comp_targetILNS1_3genE10ELNS1_11target_archE1201ELNS1_3gpuE5ELNS1_3repE0EEENS1_30default_config_static_selectorELNS0_4arch9wavefront6targetE0EEEvT1_
    .private_segment_fixed_size: 0
    .sgpr_count:     0
    .sgpr_spill_count: 0
    .symbol:         _ZN7rocprim17ROCPRIM_400000_NS6detail17trampoline_kernelINS0_14default_configENS1_25transform_config_selectorIyLb0EEEZNS1_14transform_implILb0ES3_S5_NS0_18transform_iteratorINS0_17counting_iteratorImlEEZNS1_24adjacent_difference_implIS3_Lb1ELb0EPySB_N6thrust23THRUST_200600_302600_NS4plusIyEEEE10hipError_tPvRmT2_T3_mT4_P12ihipStream_tbEUlmE_yEESB_NS0_8identityIvEEEESG_SJ_SK_mSL_SN_bEUlT_E_NS1_11comp_targetILNS1_3genE10ELNS1_11target_archE1201ELNS1_3gpuE5ELNS1_3repE0EEENS1_30default_config_static_selectorELNS0_4arch9wavefront6targetE0EEEvT1_.kd
    .uniform_work_group_size: 1
    .uses_dynamic_stack: false
    .vgpr_count:     0
    .vgpr_spill_count: 0
    .wavefront_size: 32
    .workgroup_processor_mode: 1
  - .args:
      - .offset:         0
        .size:           56
        .value_kind:     by_value
    .group_segment_fixed_size: 0
    .kernarg_segment_align: 8
    .kernarg_segment_size: 56
    .language:       OpenCL C
    .language_version:
      - 2
      - 0
    .max_flat_workgroup_size: 512
    .name:           _ZN7rocprim17ROCPRIM_400000_NS6detail17trampoline_kernelINS0_14default_configENS1_25transform_config_selectorIyLb0EEEZNS1_14transform_implILb0ES3_S5_NS0_18transform_iteratorINS0_17counting_iteratorImlEEZNS1_24adjacent_difference_implIS3_Lb1ELb0EPySB_N6thrust23THRUST_200600_302600_NS4plusIyEEEE10hipError_tPvRmT2_T3_mT4_P12ihipStream_tbEUlmE_yEESB_NS0_8identityIvEEEESG_SJ_SK_mSL_SN_bEUlT_E_NS1_11comp_targetILNS1_3genE10ELNS1_11target_archE1200ELNS1_3gpuE4ELNS1_3repE0EEENS1_30default_config_static_selectorELNS0_4arch9wavefront6targetE0EEEvT1_
    .private_segment_fixed_size: 0
    .sgpr_count:     0
    .sgpr_spill_count: 0
    .symbol:         _ZN7rocprim17ROCPRIM_400000_NS6detail17trampoline_kernelINS0_14default_configENS1_25transform_config_selectorIyLb0EEEZNS1_14transform_implILb0ES3_S5_NS0_18transform_iteratorINS0_17counting_iteratorImlEEZNS1_24adjacent_difference_implIS3_Lb1ELb0EPySB_N6thrust23THRUST_200600_302600_NS4plusIyEEEE10hipError_tPvRmT2_T3_mT4_P12ihipStream_tbEUlmE_yEESB_NS0_8identityIvEEEESG_SJ_SK_mSL_SN_bEUlT_E_NS1_11comp_targetILNS1_3genE10ELNS1_11target_archE1200ELNS1_3gpuE4ELNS1_3repE0EEENS1_30default_config_static_selectorELNS0_4arch9wavefront6targetE0EEEvT1_.kd
    .uniform_work_group_size: 1
    .uses_dynamic_stack: false
    .vgpr_count:     0
    .vgpr_spill_count: 0
    .wavefront_size: 32
    .workgroup_processor_mode: 1
  - .args:
      - .offset:         0
        .size:           56
        .value_kind:     by_value
      - .offset:         56
        .size:           4
        .value_kind:     hidden_block_count_x
      - .offset:         60
        .size:           4
        .value_kind:     hidden_block_count_y
      - .offset:         64
        .size:           4
        .value_kind:     hidden_block_count_z
      - .offset:         68
        .size:           2
        .value_kind:     hidden_group_size_x
      - .offset:         70
        .size:           2
        .value_kind:     hidden_group_size_y
      - .offset:         72
        .size:           2
        .value_kind:     hidden_group_size_z
      - .offset:         74
        .size:           2
        .value_kind:     hidden_remainder_x
      - .offset:         76
        .size:           2
        .value_kind:     hidden_remainder_y
      - .offset:         78
        .size:           2
        .value_kind:     hidden_remainder_z
      - .offset:         96
        .size:           8
        .value_kind:     hidden_global_offset_x
      - .offset:         104
        .size:           8
        .value_kind:     hidden_global_offset_y
      - .offset:         112
        .size:           8
        .value_kind:     hidden_global_offset_z
      - .offset:         120
        .size:           2
        .value_kind:     hidden_grid_dims
    .group_segment_fixed_size: 0
    .kernarg_segment_align: 8
    .kernarg_segment_size: 312
    .language:       OpenCL C
    .language_version:
      - 2
      - 0
    .max_flat_workgroup_size: 512
    .name:           _ZN7rocprim17ROCPRIM_400000_NS6detail17trampoline_kernelINS0_14default_configENS1_25transform_config_selectorIyLb0EEEZNS1_14transform_implILb0ES3_S5_NS0_18transform_iteratorINS0_17counting_iteratorImlEEZNS1_24adjacent_difference_implIS3_Lb1ELb0EPySB_N6thrust23THRUST_200600_302600_NS4plusIyEEEE10hipError_tPvRmT2_T3_mT4_P12ihipStream_tbEUlmE_yEESB_NS0_8identityIvEEEESG_SJ_SK_mSL_SN_bEUlT_E_NS1_11comp_targetILNS1_3genE9ELNS1_11target_archE1100ELNS1_3gpuE3ELNS1_3repE0EEENS1_30default_config_static_selectorELNS0_4arch9wavefront6targetE0EEEvT1_
    .private_segment_fixed_size: 0
    .sgpr_count:     18
    .sgpr_spill_count: 0
    .symbol:         _ZN7rocprim17ROCPRIM_400000_NS6detail17trampoline_kernelINS0_14default_configENS1_25transform_config_selectorIyLb0EEEZNS1_14transform_implILb0ES3_S5_NS0_18transform_iteratorINS0_17counting_iteratorImlEEZNS1_24adjacent_difference_implIS3_Lb1ELb0EPySB_N6thrust23THRUST_200600_302600_NS4plusIyEEEE10hipError_tPvRmT2_T3_mT4_P12ihipStream_tbEUlmE_yEESB_NS0_8identityIvEEEESG_SJ_SK_mSL_SN_bEUlT_E_NS1_11comp_targetILNS1_3genE9ELNS1_11target_archE1100ELNS1_3gpuE3ELNS1_3repE0EEENS1_30default_config_static_selectorELNS0_4arch9wavefront6targetE0EEEvT1_.kd
    .uniform_work_group_size: 1
    .uses_dynamic_stack: false
    .vgpr_count:     6
    .vgpr_spill_count: 0
    .wavefront_size: 32
    .workgroup_processor_mode: 1
  - .args:
      - .offset:         0
        .size:           56
        .value_kind:     by_value
    .group_segment_fixed_size: 0
    .kernarg_segment_align: 8
    .kernarg_segment_size: 56
    .language:       OpenCL C
    .language_version:
      - 2
      - 0
    .max_flat_workgroup_size: 512
    .name:           _ZN7rocprim17ROCPRIM_400000_NS6detail17trampoline_kernelINS0_14default_configENS1_25transform_config_selectorIyLb0EEEZNS1_14transform_implILb0ES3_S5_NS0_18transform_iteratorINS0_17counting_iteratorImlEEZNS1_24adjacent_difference_implIS3_Lb1ELb0EPySB_N6thrust23THRUST_200600_302600_NS4plusIyEEEE10hipError_tPvRmT2_T3_mT4_P12ihipStream_tbEUlmE_yEESB_NS0_8identityIvEEEESG_SJ_SK_mSL_SN_bEUlT_E_NS1_11comp_targetILNS1_3genE8ELNS1_11target_archE1030ELNS1_3gpuE2ELNS1_3repE0EEENS1_30default_config_static_selectorELNS0_4arch9wavefront6targetE0EEEvT1_
    .private_segment_fixed_size: 0
    .sgpr_count:     0
    .sgpr_spill_count: 0
    .symbol:         _ZN7rocprim17ROCPRIM_400000_NS6detail17trampoline_kernelINS0_14default_configENS1_25transform_config_selectorIyLb0EEEZNS1_14transform_implILb0ES3_S5_NS0_18transform_iteratorINS0_17counting_iteratorImlEEZNS1_24adjacent_difference_implIS3_Lb1ELb0EPySB_N6thrust23THRUST_200600_302600_NS4plusIyEEEE10hipError_tPvRmT2_T3_mT4_P12ihipStream_tbEUlmE_yEESB_NS0_8identityIvEEEESG_SJ_SK_mSL_SN_bEUlT_E_NS1_11comp_targetILNS1_3genE8ELNS1_11target_archE1030ELNS1_3gpuE2ELNS1_3repE0EEENS1_30default_config_static_selectorELNS0_4arch9wavefront6targetE0EEEvT1_.kd
    .uniform_work_group_size: 1
    .uses_dynamic_stack: false
    .vgpr_count:     0
    .vgpr_spill_count: 0
    .wavefront_size: 32
    .workgroup_processor_mode: 1
  - .args:
      - .offset:         0
        .size:           56
        .value_kind:     by_value
    .group_segment_fixed_size: 0
    .kernarg_segment_align: 8
    .kernarg_segment_size: 56
    .language:       OpenCL C
    .language_version:
      - 2
      - 0
    .max_flat_workgroup_size: 512
    .name:           _ZN7rocprim17ROCPRIM_400000_NS6detail17trampoline_kernelINS0_14default_configENS1_35adjacent_difference_config_selectorILb1EyEEZNS1_24adjacent_difference_implIS3_Lb1ELb0EPyS7_N6thrust23THRUST_200600_302600_NS4plusIyEEEE10hipError_tPvRmT2_T3_mT4_P12ihipStream_tbEUlT_E_NS1_11comp_targetILNS1_3genE0ELNS1_11target_archE4294967295ELNS1_3gpuE0ELNS1_3repE0EEENS1_30default_config_static_selectorELNS0_4arch9wavefront6targetE0EEEvT1_
    .private_segment_fixed_size: 0
    .sgpr_count:     0
    .sgpr_spill_count: 0
    .symbol:         _ZN7rocprim17ROCPRIM_400000_NS6detail17trampoline_kernelINS0_14default_configENS1_35adjacent_difference_config_selectorILb1EyEEZNS1_24adjacent_difference_implIS3_Lb1ELb0EPyS7_N6thrust23THRUST_200600_302600_NS4plusIyEEEE10hipError_tPvRmT2_T3_mT4_P12ihipStream_tbEUlT_E_NS1_11comp_targetILNS1_3genE0ELNS1_11target_archE4294967295ELNS1_3gpuE0ELNS1_3repE0EEENS1_30default_config_static_selectorELNS0_4arch9wavefront6targetE0EEEvT1_.kd
    .uniform_work_group_size: 1
    .uses_dynamic_stack: false
    .vgpr_count:     0
    .vgpr_spill_count: 0
    .wavefront_size: 32
    .workgroup_processor_mode: 1
  - .args:
      - .offset:         0
        .size:           56
        .value_kind:     by_value
    .group_segment_fixed_size: 0
    .kernarg_segment_align: 8
    .kernarg_segment_size: 56
    .language:       OpenCL C
    .language_version:
      - 2
      - 0
    .max_flat_workgroup_size: 32
    .name:           _ZN7rocprim17ROCPRIM_400000_NS6detail17trampoline_kernelINS0_14default_configENS1_35adjacent_difference_config_selectorILb1EyEEZNS1_24adjacent_difference_implIS3_Lb1ELb0EPyS7_N6thrust23THRUST_200600_302600_NS4plusIyEEEE10hipError_tPvRmT2_T3_mT4_P12ihipStream_tbEUlT_E_NS1_11comp_targetILNS1_3genE10ELNS1_11target_archE1201ELNS1_3gpuE5ELNS1_3repE0EEENS1_30default_config_static_selectorELNS0_4arch9wavefront6targetE0EEEvT1_
    .private_segment_fixed_size: 0
    .sgpr_count:     0
    .sgpr_spill_count: 0
    .symbol:         _ZN7rocprim17ROCPRIM_400000_NS6detail17trampoline_kernelINS0_14default_configENS1_35adjacent_difference_config_selectorILb1EyEEZNS1_24adjacent_difference_implIS3_Lb1ELb0EPyS7_N6thrust23THRUST_200600_302600_NS4plusIyEEEE10hipError_tPvRmT2_T3_mT4_P12ihipStream_tbEUlT_E_NS1_11comp_targetILNS1_3genE10ELNS1_11target_archE1201ELNS1_3gpuE5ELNS1_3repE0EEENS1_30default_config_static_selectorELNS0_4arch9wavefront6targetE0EEEvT1_.kd
    .uniform_work_group_size: 1
    .uses_dynamic_stack: false
    .vgpr_count:     0
    .vgpr_spill_count: 0
    .wavefront_size: 32
    .workgroup_processor_mode: 1
  - .args:
      - .offset:         0
        .size:           56
        .value_kind:     by_value
    .group_segment_fixed_size: 0
    .kernarg_segment_align: 8
    .kernarg_segment_size: 56
    .language:       OpenCL C
    .language_version:
      - 2
      - 0
    .max_flat_workgroup_size: 256
    .name:           _ZN7rocprim17ROCPRIM_400000_NS6detail17trampoline_kernelINS0_14default_configENS1_35adjacent_difference_config_selectorILb1EyEEZNS1_24adjacent_difference_implIS3_Lb1ELb0EPyS7_N6thrust23THRUST_200600_302600_NS4plusIyEEEE10hipError_tPvRmT2_T3_mT4_P12ihipStream_tbEUlT_E_NS1_11comp_targetILNS1_3genE5ELNS1_11target_archE942ELNS1_3gpuE9ELNS1_3repE0EEENS1_30default_config_static_selectorELNS0_4arch9wavefront6targetE0EEEvT1_
    .private_segment_fixed_size: 0
    .sgpr_count:     0
    .sgpr_spill_count: 0
    .symbol:         _ZN7rocprim17ROCPRIM_400000_NS6detail17trampoline_kernelINS0_14default_configENS1_35adjacent_difference_config_selectorILb1EyEEZNS1_24adjacent_difference_implIS3_Lb1ELb0EPyS7_N6thrust23THRUST_200600_302600_NS4plusIyEEEE10hipError_tPvRmT2_T3_mT4_P12ihipStream_tbEUlT_E_NS1_11comp_targetILNS1_3genE5ELNS1_11target_archE942ELNS1_3gpuE9ELNS1_3repE0EEENS1_30default_config_static_selectorELNS0_4arch9wavefront6targetE0EEEvT1_.kd
    .uniform_work_group_size: 1
    .uses_dynamic_stack: false
    .vgpr_count:     0
    .vgpr_spill_count: 0
    .wavefront_size: 32
    .workgroup_processor_mode: 1
  - .args:
      - .offset:         0
        .size:           56
        .value_kind:     by_value
    .group_segment_fixed_size: 0
    .kernarg_segment_align: 8
    .kernarg_segment_size: 56
    .language:       OpenCL C
    .language_version:
      - 2
      - 0
    .max_flat_workgroup_size: 512
    .name:           _ZN7rocprim17ROCPRIM_400000_NS6detail17trampoline_kernelINS0_14default_configENS1_35adjacent_difference_config_selectorILb1EyEEZNS1_24adjacent_difference_implIS3_Lb1ELb0EPyS7_N6thrust23THRUST_200600_302600_NS4plusIyEEEE10hipError_tPvRmT2_T3_mT4_P12ihipStream_tbEUlT_E_NS1_11comp_targetILNS1_3genE4ELNS1_11target_archE910ELNS1_3gpuE8ELNS1_3repE0EEENS1_30default_config_static_selectorELNS0_4arch9wavefront6targetE0EEEvT1_
    .private_segment_fixed_size: 0
    .sgpr_count:     0
    .sgpr_spill_count: 0
    .symbol:         _ZN7rocprim17ROCPRIM_400000_NS6detail17trampoline_kernelINS0_14default_configENS1_35adjacent_difference_config_selectorILb1EyEEZNS1_24adjacent_difference_implIS3_Lb1ELb0EPyS7_N6thrust23THRUST_200600_302600_NS4plusIyEEEE10hipError_tPvRmT2_T3_mT4_P12ihipStream_tbEUlT_E_NS1_11comp_targetILNS1_3genE4ELNS1_11target_archE910ELNS1_3gpuE8ELNS1_3repE0EEENS1_30default_config_static_selectorELNS0_4arch9wavefront6targetE0EEEvT1_.kd
    .uniform_work_group_size: 1
    .uses_dynamic_stack: false
    .vgpr_count:     0
    .vgpr_spill_count: 0
    .wavefront_size: 32
    .workgroup_processor_mode: 1
  - .args:
      - .offset:         0
        .size:           56
        .value_kind:     by_value
    .group_segment_fixed_size: 0
    .kernarg_segment_align: 8
    .kernarg_segment_size: 56
    .language:       OpenCL C
    .language_version:
      - 2
      - 0
    .max_flat_workgroup_size: 512
    .name:           _ZN7rocprim17ROCPRIM_400000_NS6detail17trampoline_kernelINS0_14default_configENS1_35adjacent_difference_config_selectorILb1EyEEZNS1_24adjacent_difference_implIS3_Lb1ELb0EPyS7_N6thrust23THRUST_200600_302600_NS4plusIyEEEE10hipError_tPvRmT2_T3_mT4_P12ihipStream_tbEUlT_E_NS1_11comp_targetILNS1_3genE3ELNS1_11target_archE908ELNS1_3gpuE7ELNS1_3repE0EEENS1_30default_config_static_selectorELNS0_4arch9wavefront6targetE0EEEvT1_
    .private_segment_fixed_size: 0
    .sgpr_count:     0
    .sgpr_spill_count: 0
    .symbol:         _ZN7rocprim17ROCPRIM_400000_NS6detail17trampoline_kernelINS0_14default_configENS1_35adjacent_difference_config_selectorILb1EyEEZNS1_24adjacent_difference_implIS3_Lb1ELb0EPyS7_N6thrust23THRUST_200600_302600_NS4plusIyEEEE10hipError_tPvRmT2_T3_mT4_P12ihipStream_tbEUlT_E_NS1_11comp_targetILNS1_3genE3ELNS1_11target_archE908ELNS1_3gpuE7ELNS1_3repE0EEENS1_30default_config_static_selectorELNS0_4arch9wavefront6targetE0EEEvT1_.kd
    .uniform_work_group_size: 1
    .uses_dynamic_stack: false
    .vgpr_count:     0
    .vgpr_spill_count: 0
    .wavefront_size: 32
    .workgroup_processor_mode: 1
  - .args:
      - .offset:         0
        .size:           56
        .value_kind:     by_value
    .group_segment_fixed_size: 0
    .kernarg_segment_align: 8
    .kernarg_segment_size: 56
    .language:       OpenCL C
    .language_version:
      - 2
      - 0
    .max_flat_workgroup_size: 128
    .name:           _ZN7rocprim17ROCPRIM_400000_NS6detail17trampoline_kernelINS0_14default_configENS1_35adjacent_difference_config_selectorILb1EyEEZNS1_24adjacent_difference_implIS3_Lb1ELb0EPyS7_N6thrust23THRUST_200600_302600_NS4plusIyEEEE10hipError_tPvRmT2_T3_mT4_P12ihipStream_tbEUlT_E_NS1_11comp_targetILNS1_3genE2ELNS1_11target_archE906ELNS1_3gpuE6ELNS1_3repE0EEENS1_30default_config_static_selectorELNS0_4arch9wavefront6targetE0EEEvT1_
    .private_segment_fixed_size: 0
    .sgpr_count:     0
    .sgpr_spill_count: 0
    .symbol:         _ZN7rocprim17ROCPRIM_400000_NS6detail17trampoline_kernelINS0_14default_configENS1_35adjacent_difference_config_selectorILb1EyEEZNS1_24adjacent_difference_implIS3_Lb1ELb0EPyS7_N6thrust23THRUST_200600_302600_NS4plusIyEEEE10hipError_tPvRmT2_T3_mT4_P12ihipStream_tbEUlT_E_NS1_11comp_targetILNS1_3genE2ELNS1_11target_archE906ELNS1_3gpuE6ELNS1_3repE0EEENS1_30default_config_static_selectorELNS0_4arch9wavefront6targetE0EEEvT1_.kd
    .uniform_work_group_size: 1
    .uses_dynamic_stack: false
    .vgpr_count:     0
    .vgpr_spill_count: 0
    .wavefront_size: 32
    .workgroup_processor_mode: 1
  - .args:
      - .offset:         0
        .size:           56
        .value_kind:     by_value
    .group_segment_fixed_size: 29696
    .kernarg_segment_align: 8
    .kernarg_segment_size: 56
    .language:       OpenCL C
    .language_version:
      - 2
      - 0
    .max_flat_workgroup_size: 128
    .name:           _ZN7rocprim17ROCPRIM_400000_NS6detail17trampoline_kernelINS0_14default_configENS1_35adjacent_difference_config_selectorILb1EyEEZNS1_24adjacent_difference_implIS3_Lb1ELb0EPyS7_N6thrust23THRUST_200600_302600_NS4plusIyEEEE10hipError_tPvRmT2_T3_mT4_P12ihipStream_tbEUlT_E_NS1_11comp_targetILNS1_3genE9ELNS1_11target_archE1100ELNS1_3gpuE3ELNS1_3repE0EEENS1_30default_config_static_selectorELNS0_4arch9wavefront6targetE0EEEvT1_
    .private_segment_fixed_size: 0
    .sgpr_count:     28
    .sgpr_spill_count: 0
    .symbol:         _ZN7rocprim17ROCPRIM_400000_NS6detail17trampoline_kernelINS0_14default_configENS1_35adjacent_difference_config_selectorILb1EyEEZNS1_24adjacent_difference_implIS3_Lb1ELb0EPyS7_N6thrust23THRUST_200600_302600_NS4plusIyEEEE10hipError_tPvRmT2_T3_mT4_P12ihipStream_tbEUlT_E_NS1_11comp_targetILNS1_3genE9ELNS1_11target_archE1100ELNS1_3gpuE3ELNS1_3repE0EEENS1_30default_config_static_selectorELNS0_4arch9wavefront6targetE0EEEvT1_.kd
    .uniform_work_group_size: 1
    .uses_dynamic_stack: false
    .vgpr_count:     122
    .vgpr_spill_count: 0
    .wavefront_size: 32
    .workgroup_processor_mode: 1
  - .args:
      - .offset:         0
        .size:           56
        .value_kind:     by_value
    .group_segment_fixed_size: 0
    .kernarg_segment_align: 8
    .kernarg_segment_size: 56
    .language:       OpenCL C
    .language_version:
      - 2
      - 0
    .max_flat_workgroup_size: 32
    .name:           _ZN7rocprim17ROCPRIM_400000_NS6detail17trampoline_kernelINS0_14default_configENS1_35adjacent_difference_config_selectorILb1EyEEZNS1_24adjacent_difference_implIS3_Lb1ELb0EPyS7_N6thrust23THRUST_200600_302600_NS4plusIyEEEE10hipError_tPvRmT2_T3_mT4_P12ihipStream_tbEUlT_E_NS1_11comp_targetILNS1_3genE8ELNS1_11target_archE1030ELNS1_3gpuE2ELNS1_3repE0EEENS1_30default_config_static_selectorELNS0_4arch9wavefront6targetE0EEEvT1_
    .private_segment_fixed_size: 0
    .sgpr_count:     0
    .sgpr_spill_count: 0
    .symbol:         _ZN7rocprim17ROCPRIM_400000_NS6detail17trampoline_kernelINS0_14default_configENS1_35adjacent_difference_config_selectorILb1EyEEZNS1_24adjacent_difference_implIS3_Lb1ELb0EPyS7_N6thrust23THRUST_200600_302600_NS4plusIyEEEE10hipError_tPvRmT2_T3_mT4_P12ihipStream_tbEUlT_E_NS1_11comp_targetILNS1_3genE8ELNS1_11target_archE1030ELNS1_3gpuE2ELNS1_3repE0EEENS1_30default_config_static_selectorELNS0_4arch9wavefront6targetE0EEEvT1_.kd
    .uniform_work_group_size: 1
    .uses_dynamic_stack: false
    .vgpr_count:     0
    .vgpr_spill_count: 0
    .wavefront_size: 32
    .workgroup_processor_mode: 1
  - .args:
      - .offset:         0
        .size:           16
        .value_kind:     by_value
      - .offset:         16
        .size:           8
        .value_kind:     by_value
      - .offset:         24
        .size:           8
        .value_kind:     by_value
    .group_segment_fixed_size: 0
    .kernarg_segment_align: 8
    .kernarg_segment_size: 32
    .language:       OpenCL C
    .language_version:
      - 2
      - 0
    .max_flat_workgroup_size: 256
    .name:           _ZN6thrust23THRUST_200600_302600_NS11hip_rocprim14__parallel_for6kernelILj256ENS1_20__uninitialized_fill7functorINS0_10device_ptrIjEEjEEmLj1EEEvT0_T1_SA_
    .private_segment_fixed_size: 0
    .sgpr_count:     18
    .sgpr_spill_count: 0
    .symbol:         _ZN6thrust23THRUST_200600_302600_NS11hip_rocprim14__parallel_for6kernelILj256ENS1_20__uninitialized_fill7functorINS0_10device_ptrIjEEjEEmLj1EEEvT0_T1_SA_.kd
    .uniform_work_group_size: 1
    .uses_dynamic_stack: false
    .vgpr_count:     3
    .vgpr_spill_count: 0
    .wavefront_size: 32
    .workgroup_processor_mode: 1
  - .args:
      - .offset:         0
        .size:           56
        .value_kind:     by_value
    .group_segment_fixed_size: 0
    .kernarg_segment_align: 8
    .kernarg_segment_size: 56
    .language:       OpenCL C
    .language_version:
      - 2
      - 0
    .max_flat_workgroup_size: 128
    .name:           _ZN7rocprim17ROCPRIM_400000_NS6detail17trampoline_kernelINS0_14default_configENS1_35adjacent_difference_config_selectorILb0EjEEZNS1_24adjacent_difference_implIS3_Lb0ELb0EPjS7_N6thrust23THRUST_200600_302600_NS5minusIjEEEE10hipError_tPvRmT2_T3_mT4_P12ihipStream_tbEUlT_E_NS1_11comp_targetILNS1_3genE0ELNS1_11target_archE4294967295ELNS1_3gpuE0ELNS1_3repE0EEENS1_30default_config_static_selectorELNS0_4arch9wavefront6targetE0EEEvT1_
    .private_segment_fixed_size: 0
    .sgpr_count:     0
    .sgpr_spill_count: 0
    .symbol:         _ZN7rocprim17ROCPRIM_400000_NS6detail17trampoline_kernelINS0_14default_configENS1_35adjacent_difference_config_selectorILb0EjEEZNS1_24adjacent_difference_implIS3_Lb0ELb0EPjS7_N6thrust23THRUST_200600_302600_NS5minusIjEEEE10hipError_tPvRmT2_T3_mT4_P12ihipStream_tbEUlT_E_NS1_11comp_targetILNS1_3genE0ELNS1_11target_archE4294967295ELNS1_3gpuE0ELNS1_3repE0EEENS1_30default_config_static_selectorELNS0_4arch9wavefront6targetE0EEEvT1_.kd
    .uniform_work_group_size: 1
    .uses_dynamic_stack: false
    .vgpr_count:     0
    .vgpr_spill_count: 0
    .wavefront_size: 32
    .workgroup_processor_mode: 1
  - .args:
      - .offset:         0
        .size:           56
        .value_kind:     by_value
    .group_segment_fixed_size: 0
    .kernarg_segment_align: 8
    .kernarg_segment_size: 56
    .language:       OpenCL C
    .language_version:
      - 2
      - 0
    .max_flat_workgroup_size: 128
    .name:           _ZN7rocprim17ROCPRIM_400000_NS6detail17trampoline_kernelINS0_14default_configENS1_35adjacent_difference_config_selectorILb0EjEEZNS1_24adjacent_difference_implIS3_Lb0ELb0EPjS7_N6thrust23THRUST_200600_302600_NS5minusIjEEEE10hipError_tPvRmT2_T3_mT4_P12ihipStream_tbEUlT_E_NS1_11comp_targetILNS1_3genE10ELNS1_11target_archE1201ELNS1_3gpuE5ELNS1_3repE0EEENS1_30default_config_static_selectorELNS0_4arch9wavefront6targetE0EEEvT1_
    .private_segment_fixed_size: 0
    .sgpr_count:     0
    .sgpr_spill_count: 0
    .symbol:         _ZN7rocprim17ROCPRIM_400000_NS6detail17trampoline_kernelINS0_14default_configENS1_35adjacent_difference_config_selectorILb0EjEEZNS1_24adjacent_difference_implIS3_Lb0ELb0EPjS7_N6thrust23THRUST_200600_302600_NS5minusIjEEEE10hipError_tPvRmT2_T3_mT4_P12ihipStream_tbEUlT_E_NS1_11comp_targetILNS1_3genE10ELNS1_11target_archE1201ELNS1_3gpuE5ELNS1_3repE0EEENS1_30default_config_static_selectorELNS0_4arch9wavefront6targetE0EEEvT1_.kd
    .uniform_work_group_size: 1
    .uses_dynamic_stack: false
    .vgpr_count:     0
    .vgpr_spill_count: 0
    .wavefront_size: 32
    .workgroup_processor_mode: 1
  - .args:
      - .offset:         0
        .size:           56
        .value_kind:     by_value
    .group_segment_fixed_size: 0
    .kernarg_segment_align: 8
    .kernarg_segment_size: 56
    .language:       OpenCL C
    .language_version:
      - 2
      - 0
    .max_flat_workgroup_size: 64
    .name:           _ZN7rocprim17ROCPRIM_400000_NS6detail17trampoline_kernelINS0_14default_configENS1_35adjacent_difference_config_selectorILb0EjEEZNS1_24adjacent_difference_implIS3_Lb0ELb0EPjS7_N6thrust23THRUST_200600_302600_NS5minusIjEEEE10hipError_tPvRmT2_T3_mT4_P12ihipStream_tbEUlT_E_NS1_11comp_targetILNS1_3genE5ELNS1_11target_archE942ELNS1_3gpuE9ELNS1_3repE0EEENS1_30default_config_static_selectorELNS0_4arch9wavefront6targetE0EEEvT1_
    .private_segment_fixed_size: 0
    .sgpr_count:     0
    .sgpr_spill_count: 0
    .symbol:         _ZN7rocprim17ROCPRIM_400000_NS6detail17trampoline_kernelINS0_14default_configENS1_35adjacent_difference_config_selectorILb0EjEEZNS1_24adjacent_difference_implIS3_Lb0ELb0EPjS7_N6thrust23THRUST_200600_302600_NS5minusIjEEEE10hipError_tPvRmT2_T3_mT4_P12ihipStream_tbEUlT_E_NS1_11comp_targetILNS1_3genE5ELNS1_11target_archE942ELNS1_3gpuE9ELNS1_3repE0EEENS1_30default_config_static_selectorELNS0_4arch9wavefront6targetE0EEEvT1_.kd
    .uniform_work_group_size: 1
    .uses_dynamic_stack: false
    .vgpr_count:     0
    .vgpr_spill_count: 0
    .wavefront_size: 32
    .workgroup_processor_mode: 1
  - .args:
      - .offset:         0
        .size:           56
        .value_kind:     by_value
    .group_segment_fixed_size: 0
    .kernarg_segment_align: 8
    .kernarg_segment_size: 56
    .language:       OpenCL C
    .language_version:
      - 2
      - 0
    .max_flat_workgroup_size: 512
    .name:           _ZN7rocprim17ROCPRIM_400000_NS6detail17trampoline_kernelINS0_14default_configENS1_35adjacent_difference_config_selectorILb0EjEEZNS1_24adjacent_difference_implIS3_Lb0ELb0EPjS7_N6thrust23THRUST_200600_302600_NS5minusIjEEEE10hipError_tPvRmT2_T3_mT4_P12ihipStream_tbEUlT_E_NS1_11comp_targetILNS1_3genE4ELNS1_11target_archE910ELNS1_3gpuE8ELNS1_3repE0EEENS1_30default_config_static_selectorELNS0_4arch9wavefront6targetE0EEEvT1_
    .private_segment_fixed_size: 0
    .sgpr_count:     0
    .sgpr_spill_count: 0
    .symbol:         _ZN7rocprim17ROCPRIM_400000_NS6detail17trampoline_kernelINS0_14default_configENS1_35adjacent_difference_config_selectorILb0EjEEZNS1_24adjacent_difference_implIS3_Lb0ELb0EPjS7_N6thrust23THRUST_200600_302600_NS5minusIjEEEE10hipError_tPvRmT2_T3_mT4_P12ihipStream_tbEUlT_E_NS1_11comp_targetILNS1_3genE4ELNS1_11target_archE910ELNS1_3gpuE8ELNS1_3repE0EEENS1_30default_config_static_selectorELNS0_4arch9wavefront6targetE0EEEvT1_.kd
    .uniform_work_group_size: 1
    .uses_dynamic_stack: false
    .vgpr_count:     0
    .vgpr_spill_count: 0
    .wavefront_size: 32
    .workgroup_processor_mode: 1
  - .args:
      - .offset:         0
        .size:           56
        .value_kind:     by_value
    .group_segment_fixed_size: 0
    .kernarg_segment_align: 8
    .kernarg_segment_size: 56
    .language:       OpenCL C
    .language_version:
      - 2
      - 0
    .max_flat_workgroup_size: 128
    .name:           _ZN7rocprim17ROCPRIM_400000_NS6detail17trampoline_kernelINS0_14default_configENS1_35adjacent_difference_config_selectorILb0EjEEZNS1_24adjacent_difference_implIS3_Lb0ELb0EPjS7_N6thrust23THRUST_200600_302600_NS5minusIjEEEE10hipError_tPvRmT2_T3_mT4_P12ihipStream_tbEUlT_E_NS1_11comp_targetILNS1_3genE3ELNS1_11target_archE908ELNS1_3gpuE7ELNS1_3repE0EEENS1_30default_config_static_selectorELNS0_4arch9wavefront6targetE0EEEvT1_
    .private_segment_fixed_size: 0
    .sgpr_count:     0
    .sgpr_spill_count: 0
    .symbol:         _ZN7rocprim17ROCPRIM_400000_NS6detail17trampoline_kernelINS0_14default_configENS1_35adjacent_difference_config_selectorILb0EjEEZNS1_24adjacent_difference_implIS3_Lb0ELb0EPjS7_N6thrust23THRUST_200600_302600_NS5minusIjEEEE10hipError_tPvRmT2_T3_mT4_P12ihipStream_tbEUlT_E_NS1_11comp_targetILNS1_3genE3ELNS1_11target_archE908ELNS1_3gpuE7ELNS1_3repE0EEENS1_30default_config_static_selectorELNS0_4arch9wavefront6targetE0EEEvT1_.kd
    .uniform_work_group_size: 1
    .uses_dynamic_stack: false
    .vgpr_count:     0
    .vgpr_spill_count: 0
    .wavefront_size: 32
    .workgroup_processor_mode: 1
  - .args:
      - .offset:         0
        .size:           56
        .value_kind:     by_value
    .group_segment_fixed_size: 0
    .kernarg_segment_align: 8
    .kernarg_segment_size: 56
    .language:       OpenCL C
    .language_version:
      - 2
      - 0
    .max_flat_workgroup_size: 1024
    .name:           _ZN7rocprim17ROCPRIM_400000_NS6detail17trampoline_kernelINS0_14default_configENS1_35adjacent_difference_config_selectorILb0EjEEZNS1_24adjacent_difference_implIS3_Lb0ELb0EPjS7_N6thrust23THRUST_200600_302600_NS5minusIjEEEE10hipError_tPvRmT2_T3_mT4_P12ihipStream_tbEUlT_E_NS1_11comp_targetILNS1_3genE2ELNS1_11target_archE906ELNS1_3gpuE6ELNS1_3repE0EEENS1_30default_config_static_selectorELNS0_4arch9wavefront6targetE0EEEvT1_
    .private_segment_fixed_size: 0
    .sgpr_count:     0
    .sgpr_spill_count: 0
    .symbol:         _ZN7rocprim17ROCPRIM_400000_NS6detail17trampoline_kernelINS0_14default_configENS1_35adjacent_difference_config_selectorILb0EjEEZNS1_24adjacent_difference_implIS3_Lb0ELb0EPjS7_N6thrust23THRUST_200600_302600_NS5minusIjEEEE10hipError_tPvRmT2_T3_mT4_P12ihipStream_tbEUlT_E_NS1_11comp_targetILNS1_3genE2ELNS1_11target_archE906ELNS1_3gpuE6ELNS1_3repE0EEENS1_30default_config_static_selectorELNS0_4arch9wavefront6targetE0EEEvT1_.kd
    .uniform_work_group_size: 1
    .uses_dynamic_stack: false
    .vgpr_count:     0
    .vgpr_spill_count: 0
    .wavefront_size: 32
    .workgroup_processor_mode: 1
  - .args:
      - .offset:         0
        .size:           56
        .value_kind:     by_value
    .group_segment_fixed_size: 20480
    .kernarg_segment_align: 8
    .kernarg_segment_size: 56
    .language:       OpenCL C
    .language_version:
      - 2
      - 0
    .max_flat_workgroup_size: 1024
    .name:           _ZN7rocprim17ROCPRIM_400000_NS6detail17trampoline_kernelINS0_14default_configENS1_35adjacent_difference_config_selectorILb0EjEEZNS1_24adjacent_difference_implIS3_Lb0ELb0EPjS7_N6thrust23THRUST_200600_302600_NS5minusIjEEEE10hipError_tPvRmT2_T3_mT4_P12ihipStream_tbEUlT_E_NS1_11comp_targetILNS1_3genE9ELNS1_11target_archE1100ELNS1_3gpuE3ELNS1_3repE0EEENS1_30default_config_static_selectorELNS0_4arch9wavefront6targetE0EEEvT1_
    .private_segment_fixed_size: 0
    .sgpr_count:     23
    .sgpr_spill_count: 0
    .symbol:         _ZN7rocprim17ROCPRIM_400000_NS6detail17trampoline_kernelINS0_14default_configENS1_35adjacent_difference_config_selectorILb0EjEEZNS1_24adjacent_difference_implIS3_Lb0ELb0EPjS7_N6thrust23THRUST_200600_302600_NS5minusIjEEEE10hipError_tPvRmT2_T3_mT4_P12ihipStream_tbEUlT_E_NS1_11comp_targetILNS1_3genE9ELNS1_11target_archE1100ELNS1_3gpuE3ELNS1_3repE0EEENS1_30default_config_static_selectorELNS0_4arch9wavefront6targetE0EEEvT1_.kd
    .uniform_work_group_size: 1
    .uses_dynamic_stack: false
    .vgpr_count:     17
    .vgpr_spill_count: 0
    .wavefront_size: 32
    .workgroup_processor_mode: 1
  - .args:
      - .offset:         0
        .size:           56
        .value_kind:     by_value
    .group_segment_fixed_size: 0
    .kernarg_segment_align: 8
    .kernarg_segment_size: 56
    .language:       OpenCL C
    .language_version:
      - 2
      - 0
    .max_flat_workgroup_size: 1024
    .name:           _ZN7rocprim17ROCPRIM_400000_NS6detail17trampoline_kernelINS0_14default_configENS1_35adjacent_difference_config_selectorILb0EjEEZNS1_24adjacent_difference_implIS3_Lb0ELb0EPjS7_N6thrust23THRUST_200600_302600_NS5minusIjEEEE10hipError_tPvRmT2_T3_mT4_P12ihipStream_tbEUlT_E_NS1_11comp_targetILNS1_3genE8ELNS1_11target_archE1030ELNS1_3gpuE2ELNS1_3repE0EEENS1_30default_config_static_selectorELNS0_4arch9wavefront6targetE0EEEvT1_
    .private_segment_fixed_size: 0
    .sgpr_count:     0
    .sgpr_spill_count: 0
    .symbol:         _ZN7rocprim17ROCPRIM_400000_NS6detail17trampoline_kernelINS0_14default_configENS1_35adjacent_difference_config_selectorILb0EjEEZNS1_24adjacent_difference_implIS3_Lb0ELb0EPjS7_N6thrust23THRUST_200600_302600_NS5minusIjEEEE10hipError_tPvRmT2_T3_mT4_P12ihipStream_tbEUlT_E_NS1_11comp_targetILNS1_3genE8ELNS1_11target_archE1030ELNS1_3gpuE2ELNS1_3repE0EEENS1_30default_config_static_selectorELNS0_4arch9wavefront6targetE0EEEvT1_.kd
    .uniform_work_group_size: 1
    .uses_dynamic_stack: false
    .vgpr_count:     0
    .vgpr_spill_count: 0
    .wavefront_size: 32
    .workgroup_processor_mode: 1
  - .args:
      - .offset:         0
        .size:           56
        .value_kind:     by_value
    .group_segment_fixed_size: 0
    .kernarg_segment_align: 8
    .kernarg_segment_size: 56
    .language:       OpenCL C
    .language_version:
      - 2
      - 0
    .max_flat_workgroup_size: 128
    .name:           _ZN7rocprim17ROCPRIM_400000_NS6detail17trampoline_kernelINS0_14default_configENS1_25transform_config_selectorIjLb0EEEZNS1_14transform_implILb0ES3_S5_NS0_18transform_iteratorINS0_17counting_iteratorImlEEZNS1_24adjacent_difference_implIS3_Lb1ELb0EPjSB_N6thrust23THRUST_200600_302600_NS5minusIjEEEE10hipError_tPvRmT2_T3_mT4_P12ihipStream_tbEUlmE_jEESB_NS0_8identityIvEEEESG_SJ_SK_mSL_SN_bEUlT_E_NS1_11comp_targetILNS1_3genE0ELNS1_11target_archE4294967295ELNS1_3gpuE0ELNS1_3repE0EEENS1_30default_config_static_selectorELNS0_4arch9wavefront6targetE0EEEvT1_
    .private_segment_fixed_size: 0
    .sgpr_count:     0
    .sgpr_spill_count: 0
    .symbol:         _ZN7rocprim17ROCPRIM_400000_NS6detail17trampoline_kernelINS0_14default_configENS1_25transform_config_selectorIjLb0EEEZNS1_14transform_implILb0ES3_S5_NS0_18transform_iteratorINS0_17counting_iteratorImlEEZNS1_24adjacent_difference_implIS3_Lb1ELb0EPjSB_N6thrust23THRUST_200600_302600_NS5minusIjEEEE10hipError_tPvRmT2_T3_mT4_P12ihipStream_tbEUlmE_jEESB_NS0_8identityIvEEEESG_SJ_SK_mSL_SN_bEUlT_E_NS1_11comp_targetILNS1_3genE0ELNS1_11target_archE4294967295ELNS1_3gpuE0ELNS1_3repE0EEENS1_30default_config_static_selectorELNS0_4arch9wavefront6targetE0EEEvT1_.kd
    .uniform_work_group_size: 1
    .uses_dynamic_stack: false
    .vgpr_count:     0
    .vgpr_spill_count: 0
    .wavefront_size: 32
    .workgroup_processor_mode: 1
  - .args:
      - .offset:         0
        .size:           56
        .value_kind:     by_value
    .group_segment_fixed_size: 0
    .kernarg_segment_align: 8
    .kernarg_segment_size: 56
    .language:       OpenCL C
    .language_version:
      - 2
      - 0
    .max_flat_workgroup_size: 512
    .name:           _ZN7rocprim17ROCPRIM_400000_NS6detail17trampoline_kernelINS0_14default_configENS1_25transform_config_selectorIjLb0EEEZNS1_14transform_implILb0ES3_S5_NS0_18transform_iteratorINS0_17counting_iteratorImlEEZNS1_24adjacent_difference_implIS3_Lb1ELb0EPjSB_N6thrust23THRUST_200600_302600_NS5minusIjEEEE10hipError_tPvRmT2_T3_mT4_P12ihipStream_tbEUlmE_jEESB_NS0_8identityIvEEEESG_SJ_SK_mSL_SN_bEUlT_E_NS1_11comp_targetILNS1_3genE5ELNS1_11target_archE942ELNS1_3gpuE9ELNS1_3repE0EEENS1_30default_config_static_selectorELNS0_4arch9wavefront6targetE0EEEvT1_
    .private_segment_fixed_size: 0
    .sgpr_count:     0
    .sgpr_spill_count: 0
    .symbol:         _ZN7rocprim17ROCPRIM_400000_NS6detail17trampoline_kernelINS0_14default_configENS1_25transform_config_selectorIjLb0EEEZNS1_14transform_implILb0ES3_S5_NS0_18transform_iteratorINS0_17counting_iteratorImlEEZNS1_24adjacent_difference_implIS3_Lb1ELb0EPjSB_N6thrust23THRUST_200600_302600_NS5minusIjEEEE10hipError_tPvRmT2_T3_mT4_P12ihipStream_tbEUlmE_jEESB_NS0_8identityIvEEEESG_SJ_SK_mSL_SN_bEUlT_E_NS1_11comp_targetILNS1_3genE5ELNS1_11target_archE942ELNS1_3gpuE9ELNS1_3repE0EEENS1_30default_config_static_selectorELNS0_4arch9wavefront6targetE0EEEvT1_.kd
    .uniform_work_group_size: 1
    .uses_dynamic_stack: false
    .vgpr_count:     0
    .vgpr_spill_count: 0
    .wavefront_size: 32
    .workgroup_processor_mode: 1
  - .args:
      - .offset:         0
        .size:           56
        .value_kind:     by_value
    .group_segment_fixed_size: 0
    .kernarg_segment_align: 8
    .kernarg_segment_size: 56
    .language:       OpenCL C
    .language_version:
      - 2
      - 0
    .max_flat_workgroup_size: 1024
    .name:           _ZN7rocprim17ROCPRIM_400000_NS6detail17trampoline_kernelINS0_14default_configENS1_25transform_config_selectorIjLb0EEEZNS1_14transform_implILb0ES3_S5_NS0_18transform_iteratorINS0_17counting_iteratorImlEEZNS1_24adjacent_difference_implIS3_Lb1ELb0EPjSB_N6thrust23THRUST_200600_302600_NS5minusIjEEEE10hipError_tPvRmT2_T3_mT4_P12ihipStream_tbEUlmE_jEESB_NS0_8identityIvEEEESG_SJ_SK_mSL_SN_bEUlT_E_NS1_11comp_targetILNS1_3genE4ELNS1_11target_archE910ELNS1_3gpuE8ELNS1_3repE0EEENS1_30default_config_static_selectorELNS0_4arch9wavefront6targetE0EEEvT1_
    .private_segment_fixed_size: 0
    .sgpr_count:     0
    .sgpr_spill_count: 0
    .symbol:         _ZN7rocprim17ROCPRIM_400000_NS6detail17trampoline_kernelINS0_14default_configENS1_25transform_config_selectorIjLb0EEEZNS1_14transform_implILb0ES3_S5_NS0_18transform_iteratorINS0_17counting_iteratorImlEEZNS1_24adjacent_difference_implIS3_Lb1ELb0EPjSB_N6thrust23THRUST_200600_302600_NS5minusIjEEEE10hipError_tPvRmT2_T3_mT4_P12ihipStream_tbEUlmE_jEESB_NS0_8identityIvEEEESG_SJ_SK_mSL_SN_bEUlT_E_NS1_11comp_targetILNS1_3genE4ELNS1_11target_archE910ELNS1_3gpuE8ELNS1_3repE0EEENS1_30default_config_static_selectorELNS0_4arch9wavefront6targetE0EEEvT1_.kd
    .uniform_work_group_size: 1
    .uses_dynamic_stack: false
    .vgpr_count:     0
    .vgpr_spill_count: 0
    .wavefront_size: 32
    .workgroup_processor_mode: 1
  - .args:
      - .offset:         0
        .size:           56
        .value_kind:     by_value
    .group_segment_fixed_size: 0
    .kernarg_segment_align: 8
    .kernarg_segment_size: 56
    .language:       OpenCL C
    .language_version:
      - 2
      - 0
    .max_flat_workgroup_size: 128
    .name:           _ZN7rocprim17ROCPRIM_400000_NS6detail17trampoline_kernelINS0_14default_configENS1_25transform_config_selectorIjLb0EEEZNS1_14transform_implILb0ES3_S5_NS0_18transform_iteratorINS0_17counting_iteratorImlEEZNS1_24adjacent_difference_implIS3_Lb1ELb0EPjSB_N6thrust23THRUST_200600_302600_NS5minusIjEEEE10hipError_tPvRmT2_T3_mT4_P12ihipStream_tbEUlmE_jEESB_NS0_8identityIvEEEESG_SJ_SK_mSL_SN_bEUlT_E_NS1_11comp_targetILNS1_3genE3ELNS1_11target_archE908ELNS1_3gpuE7ELNS1_3repE0EEENS1_30default_config_static_selectorELNS0_4arch9wavefront6targetE0EEEvT1_
    .private_segment_fixed_size: 0
    .sgpr_count:     0
    .sgpr_spill_count: 0
    .symbol:         _ZN7rocprim17ROCPRIM_400000_NS6detail17trampoline_kernelINS0_14default_configENS1_25transform_config_selectorIjLb0EEEZNS1_14transform_implILb0ES3_S5_NS0_18transform_iteratorINS0_17counting_iteratorImlEEZNS1_24adjacent_difference_implIS3_Lb1ELb0EPjSB_N6thrust23THRUST_200600_302600_NS5minusIjEEEE10hipError_tPvRmT2_T3_mT4_P12ihipStream_tbEUlmE_jEESB_NS0_8identityIvEEEESG_SJ_SK_mSL_SN_bEUlT_E_NS1_11comp_targetILNS1_3genE3ELNS1_11target_archE908ELNS1_3gpuE7ELNS1_3repE0EEENS1_30default_config_static_selectorELNS0_4arch9wavefront6targetE0EEEvT1_.kd
    .uniform_work_group_size: 1
    .uses_dynamic_stack: false
    .vgpr_count:     0
    .vgpr_spill_count: 0
    .wavefront_size: 32
    .workgroup_processor_mode: 1
  - .args:
      - .offset:         0
        .size:           56
        .value_kind:     by_value
    .group_segment_fixed_size: 0
    .kernarg_segment_align: 8
    .kernarg_segment_size: 56
    .language:       OpenCL C
    .language_version:
      - 2
      - 0
    .max_flat_workgroup_size: 1024
    .name:           _ZN7rocprim17ROCPRIM_400000_NS6detail17trampoline_kernelINS0_14default_configENS1_25transform_config_selectorIjLb0EEEZNS1_14transform_implILb0ES3_S5_NS0_18transform_iteratorINS0_17counting_iteratorImlEEZNS1_24adjacent_difference_implIS3_Lb1ELb0EPjSB_N6thrust23THRUST_200600_302600_NS5minusIjEEEE10hipError_tPvRmT2_T3_mT4_P12ihipStream_tbEUlmE_jEESB_NS0_8identityIvEEEESG_SJ_SK_mSL_SN_bEUlT_E_NS1_11comp_targetILNS1_3genE2ELNS1_11target_archE906ELNS1_3gpuE6ELNS1_3repE0EEENS1_30default_config_static_selectorELNS0_4arch9wavefront6targetE0EEEvT1_
    .private_segment_fixed_size: 0
    .sgpr_count:     0
    .sgpr_spill_count: 0
    .symbol:         _ZN7rocprim17ROCPRIM_400000_NS6detail17trampoline_kernelINS0_14default_configENS1_25transform_config_selectorIjLb0EEEZNS1_14transform_implILb0ES3_S5_NS0_18transform_iteratorINS0_17counting_iteratorImlEEZNS1_24adjacent_difference_implIS3_Lb1ELb0EPjSB_N6thrust23THRUST_200600_302600_NS5minusIjEEEE10hipError_tPvRmT2_T3_mT4_P12ihipStream_tbEUlmE_jEESB_NS0_8identityIvEEEESG_SJ_SK_mSL_SN_bEUlT_E_NS1_11comp_targetILNS1_3genE2ELNS1_11target_archE906ELNS1_3gpuE6ELNS1_3repE0EEENS1_30default_config_static_selectorELNS0_4arch9wavefront6targetE0EEEvT1_.kd
    .uniform_work_group_size: 1
    .uses_dynamic_stack: false
    .vgpr_count:     0
    .vgpr_spill_count: 0
    .wavefront_size: 32
    .workgroup_processor_mode: 1
  - .args:
      - .offset:         0
        .size:           56
        .value_kind:     by_value
    .group_segment_fixed_size: 0
    .kernarg_segment_align: 8
    .kernarg_segment_size: 56
    .language:       OpenCL C
    .language_version:
      - 2
      - 0
    .max_flat_workgroup_size: 1024
    .name:           _ZN7rocprim17ROCPRIM_400000_NS6detail17trampoline_kernelINS0_14default_configENS1_25transform_config_selectorIjLb0EEEZNS1_14transform_implILb0ES3_S5_NS0_18transform_iteratorINS0_17counting_iteratorImlEEZNS1_24adjacent_difference_implIS3_Lb1ELb0EPjSB_N6thrust23THRUST_200600_302600_NS5minusIjEEEE10hipError_tPvRmT2_T3_mT4_P12ihipStream_tbEUlmE_jEESB_NS0_8identityIvEEEESG_SJ_SK_mSL_SN_bEUlT_E_NS1_11comp_targetILNS1_3genE10ELNS1_11target_archE1201ELNS1_3gpuE5ELNS1_3repE0EEENS1_30default_config_static_selectorELNS0_4arch9wavefront6targetE0EEEvT1_
    .private_segment_fixed_size: 0
    .sgpr_count:     0
    .sgpr_spill_count: 0
    .symbol:         _ZN7rocprim17ROCPRIM_400000_NS6detail17trampoline_kernelINS0_14default_configENS1_25transform_config_selectorIjLb0EEEZNS1_14transform_implILb0ES3_S5_NS0_18transform_iteratorINS0_17counting_iteratorImlEEZNS1_24adjacent_difference_implIS3_Lb1ELb0EPjSB_N6thrust23THRUST_200600_302600_NS5minusIjEEEE10hipError_tPvRmT2_T3_mT4_P12ihipStream_tbEUlmE_jEESB_NS0_8identityIvEEEESG_SJ_SK_mSL_SN_bEUlT_E_NS1_11comp_targetILNS1_3genE10ELNS1_11target_archE1201ELNS1_3gpuE5ELNS1_3repE0EEENS1_30default_config_static_selectorELNS0_4arch9wavefront6targetE0EEEvT1_.kd
    .uniform_work_group_size: 1
    .uses_dynamic_stack: false
    .vgpr_count:     0
    .vgpr_spill_count: 0
    .wavefront_size: 32
    .workgroup_processor_mode: 1
  - .args:
      - .offset:         0
        .size:           56
        .value_kind:     by_value
    .group_segment_fixed_size: 0
    .kernarg_segment_align: 8
    .kernarg_segment_size: 56
    .language:       OpenCL C
    .language_version:
      - 2
      - 0
    .max_flat_workgroup_size: 512
    .name:           _ZN7rocprim17ROCPRIM_400000_NS6detail17trampoline_kernelINS0_14default_configENS1_25transform_config_selectorIjLb0EEEZNS1_14transform_implILb0ES3_S5_NS0_18transform_iteratorINS0_17counting_iteratorImlEEZNS1_24adjacent_difference_implIS3_Lb1ELb0EPjSB_N6thrust23THRUST_200600_302600_NS5minusIjEEEE10hipError_tPvRmT2_T3_mT4_P12ihipStream_tbEUlmE_jEESB_NS0_8identityIvEEEESG_SJ_SK_mSL_SN_bEUlT_E_NS1_11comp_targetILNS1_3genE10ELNS1_11target_archE1200ELNS1_3gpuE4ELNS1_3repE0EEENS1_30default_config_static_selectorELNS0_4arch9wavefront6targetE0EEEvT1_
    .private_segment_fixed_size: 0
    .sgpr_count:     0
    .sgpr_spill_count: 0
    .symbol:         _ZN7rocprim17ROCPRIM_400000_NS6detail17trampoline_kernelINS0_14default_configENS1_25transform_config_selectorIjLb0EEEZNS1_14transform_implILb0ES3_S5_NS0_18transform_iteratorINS0_17counting_iteratorImlEEZNS1_24adjacent_difference_implIS3_Lb1ELb0EPjSB_N6thrust23THRUST_200600_302600_NS5minusIjEEEE10hipError_tPvRmT2_T3_mT4_P12ihipStream_tbEUlmE_jEESB_NS0_8identityIvEEEESG_SJ_SK_mSL_SN_bEUlT_E_NS1_11comp_targetILNS1_3genE10ELNS1_11target_archE1200ELNS1_3gpuE4ELNS1_3repE0EEENS1_30default_config_static_selectorELNS0_4arch9wavefront6targetE0EEEvT1_.kd
    .uniform_work_group_size: 1
    .uses_dynamic_stack: false
    .vgpr_count:     0
    .vgpr_spill_count: 0
    .wavefront_size: 32
    .workgroup_processor_mode: 1
  - .args:
      - .offset:         0
        .size:           56
        .value_kind:     by_value
      - .offset:         56
        .size:           4
        .value_kind:     hidden_block_count_x
      - .offset:         60
        .size:           4
        .value_kind:     hidden_block_count_y
      - .offset:         64
        .size:           4
        .value_kind:     hidden_block_count_z
      - .offset:         68
        .size:           2
        .value_kind:     hidden_group_size_x
      - .offset:         70
        .size:           2
        .value_kind:     hidden_group_size_y
      - .offset:         72
        .size:           2
        .value_kind:     hidden_group_size_z
      - .offset:         74
        .size:           2
        .value_kind:     hidden_remainder_x
      - .offset:         76
        .size:           2
        .value_kind:     hidden_remainder_y
      - .offset:         78
        .size:           2
        .value_kind:     hidden_remainder_z
      - .offset:         96
        .size:           8
        .value_kind:     hidden_global_offset_x
      - .offset:         104
        .size:           8
        .value_kind:     hidden_global_offset_y
      - .offset:         112
        .size:           8
        .value_kind:     hidden_global_offset_z
      - .offset:         120
        .size:           2
        .value_kind:     hidden_grid_dims
    .group_segment_fixed_size: 0
    .kernarg_segment_align: 8
    .kernarg_segment_size: 312
    .language:       OpenCL C
    .language_version:
      - 2
      - 0
    .max_flat_workgroup_size: 64
    .name:           _ZN7rocprim17ROCPRIM_400000_NS6detail17trampoline_kernelINS0_14default_configENS1_25transform_config_selectorIjLb0EEEZNS1_14transform_implILb0ES3_S5_NS0_18transform_iteratorINS0_17counting_iteratorImlEEZNS1_24adjacent_difference_implIS3_Lb1ELb0EPjSB_N6thrust23THRUST_200600_302600_NS5minusIjEEEE10hipError_tPvRmT2_T3_mT4_P12ihipStream_tbEUlmE_jEESB_NS0_8identityIvEEEESG_SJ_SK_mSL_SN_bEUlT_E_NS1_11comp_targetILNS1_3genE9ELNS1_11target_archE1100ELNS1_3gpuE3ELNS1_3repE0EEENS1_30default_config_static_selectorELNS0_4arch9wavefront6targetE0EEEvT1_
    .private_segment_fixed_size: 0
    .sgpr_count:     18
    .sgpr_spill_count: 0
    .symbol:         _ZN7rocprim17ROCPRIM_400000_NS6detail17trampoline_kernelINS0_14default_configENS1_25transform_config_selectorIjLb0EEEZNS1_14transform_implILb0ES3_S5_NS0_18transform_iteratorINS0_17counting_iteratorImlEEZNS1_24adjacent_difference_implIS3_Lb1ELb0EPjSB_N6thrust23THRUST_200600_302600_NS5minusIjEEEE10hipError_tPvRmT2_T3_mT4_P12ihipStream_tbEUlmE_jEESB_NS0_8identityIvEEEESG_SJ_SK_mSL_SN_bEUlT_E_NS1_11comp_targetILNS1_3genE9ELNS1_11target_archE1100ELNS1_3gpuE3ELNS1_3repE0EEENS1_30default_config_static_selectorELNS0_4arch9wavefront6targetE0EEEvT1_.kd
    .uniform_work_group_size: 1
    .uses_dynamic_stack: false
    .vgpr_count:     6
    .vgpr_spill_count: 0
    .wavefront_size: 32
    .workgroup_processor_mode: 1
  - .args:
      - .offset:         0
        .size:           56
        .value_kind:     by_value
    .group_segment_fixed_size: 0
    .kernarg_segment_align: 8
    .kernarg_segment_size: 56
    .language:       OpenCL C
    .language_version:
      - 2
      - 0
    .max_flat_workgroup_size: 256
    .name:           _ZN7rocprim17ROCPRIM_400000_NS6detail17trampoline_kernelINS0_14default_configENS1_25transform_config_selectorIjLb0EEEZNS1_14transform_implILb0ES3_S5_NS0_18transform_iteratorINS0_17counting_iteratorImlEEZNS1_24adjacent_difference_implIS3_Lb1ELb0EPjSB_N6thrust23THRUST_200600_302600_NS5minusIjEEEE10hipError_tPvRmT2_T3_mT4_P12ihipStream_tbEUlmE_jEESB_NS0_8identityIvEEEESG_SJ_SK_mSL_SN_bEUlT_E_NS1_11comp_targetILNS1_3genE8ELNS1_11target_archE1030ELNS1_3gpuE2ELNS1_3repE0EEENS1_30default_config_static_selectorELNS0_4arch9wavefront6targetE0EEEvT1_
    .private_segment_fixed_size: 0
    .sgpr_count:     0
    .sgpr_spill_count: 0
    .symbol:         _ZN7rocprim17ROCPRIM_400000_NS6detail17trampoline_kernelINS0_14default_configENS1_25transform_config_selectorIjLb0EEEZNS1_14transform_implILb0ES3_S5_NS0_18transform_iteratorINS0_17counting_iteratorImlEEZNS1_24adjacent_difference_implIS3_Lb1ELb0EPjSB_N6thrust23THRUST_200600_302600_NS5minusIjEEEE10hipError_tPvRmT2_T3_mT4_P12ihipStream_tbEUlmE_jEESB_NS0_8identityIvEEEESG_SJ_SK_mSL_SN_bEUlT_E_NS1_11comp_targetILNS1_3genE8ELNS1_11target_archE1030ELNS1_3gpuE2ELNS1_3repE0EEENS1_30default_config_static_selectorELNS0_4arch9wavefront6targetE0EEEvT1_.kd
    .uniform_work_group_size: 1
    .uses_dynamic_stack: false
    .vgpr_count:     0
    .vgpr_spill_count: 0
    .wavefront_size: 32
    .workgroup_processor_mode: 1
  - .args:
      - .offset:         0
        .size:           56
        .value_kind:     by_value
    .group_segment_fixed_size: 0
    .kernarg_segment_align: 8
    .kernarg_segment_size: 56
    .language:       OpenCL C
    .language_version:
      - 2
      - 0
    .max_flat_workgroup_size: 1024
    .name:           _ZN7rocprim17ROCPRIM_400000_NS6detail17trampoline_kernelINS0_14default_configENS1_35adjacent_difference_config_selectorILb1EjEEZNS1_24adjacent_difference_implIS3_Lb1ELb0EPjS7_N6thrust23THRUST_200600_302600_NS5minusIjEEEE10hipError_tPvRmT2_T3_mT4_P12ihipStream_tbEUlT_E_NS1_11comp_targetILNS1_3genE0ELNS1_11target_archE4294967295ELNS1_3gpuE0ELNS1_3repE0EEENS1_30default_config_static_selectorELNS0_4arch9wavefront6targetE0EEEvT1_
    .private_segment_fixed_size: 0
    .sgpr_count:     0
    .sgpr_spill_count: 0
    .symbol:         _ZN7rocprim17ROCPRIM_400000_NS6detail17trampoline_kernelINS0_14default_configENS1_35adjacent_difference_config_selectorILb1EjEEZNS1_24adjacent_difference_implIS3_Lb1ELb0EPjS7_N6thrust23THRUST_200600_302600_NS5minusIjEEEE10hipError_tPvRmT2_T3_mT4_P12ihipStream_tbEUlT_E_NS1_11comp_targetILNS1_3genE0ELNS1_11target_archE4294967295ELNS1_3gpuE0ELNS1_3repE0EEENS1_30default_config_static_selectorELNS0_4arch9wavefront6targetE0EEEvT1_.kd
    .uniform_work_group_size: 1
    .uses_dynamic_stack: false
    .vgpr_count:     0
    .vgpr_spill_count: 0
    .wavefront_size: 32
    .workgroup_processor_mode: 1
  - .args:
      - .offset:         0
        .size:           56
        .value_kind:     by_value
    .group_segment_fixed_size: 0
    .kernarg_segment_align: 8
    .kernarg_segment_size: 56
    .language:       OpenCL C
    .language_version:
      - 2
      - 0
    .max_flat_workgroup_size: 32
    .name:           _ZN7rocprim17ROCPRIM_400000_NS6detail17trampoline_kernelINS0_14default_configENS1_35adjacent_difference_config_selectorILb1EjEEZNS1_24adjacent_difference_implIS3_Lb1ELb0EPjS7_N6thrust23THRUST_200600_302600_NS5minusIjEEEE10hipError_tPvRmT2_T3_mT4_P12ihipStream_tbEUlT_E_NS1_11comp_targetILNS1_3genE10ELNS1_11target_archE1201ELNS1_3gpuE5ELNS1_3repE0EEENS1_30default_config_static_selectorELNS0_4arch9wavefront6targetE0EEEvT1_
    .private_segment_fixed_size: 0
    .sgpr_count:     0
    .sgpr_spill_count: 0
    .symbol:         _ZN7rocprim17ROCPRIM_400000_NS6detail17trampoline_kernelINS0_14default_configENS1_35adjacent_difference_config_selectorILb1EjEEZNS1_24adjacent_difference_implIS3_Lb1ELb0EPjS7_N6thrust23THRUST_200600_302600_NS5minusIjEEEE10hipError_tPvRmT2_T3_mT4_P12ihipStream_tbEUlT_E_NS1_11comp_targetILNS1_3genE10ELNS1_11target_archE1201ELNS1_3gpuE5ELNS1_3repE0EEENS1_30default_config_static_selectorELNS0_4arch9wavefront6targetE0EEEvT1_.kd
    .uniform_work_group_size: 1
    .uses_dynamic_stack: false
    .vgpr_count:     0
    .vgpr_spill_count: 0
    .wavefront_size: 32
    .workgroup_processor_mode: 1
  - .args:
      - .offset:         0
        .size:           56
        .value_kind:     by_value
    .group_segment_fixed_size: 0
    .kernarg_segment_align: 8
    .kernarg_segment_size: 56
    .language:       OpenCL C
    .language_version:
      - 2
      - 0
    .max_flat_workgroup_size: 512
    .name:           _ZN7rocprim17ROCPRIM_400000_NS6detail17trampoline_kernelINS0_14default_configENS1_35adjacent_difference_config_selectorILb1EjEEZNS1_24adjacent_difference_implIS3_Lb1ELb0EPjS7_N6thrust23THRUST_200600_302600_NS5minusIjEEEE10hipError_tPvRmT2_T3_mT4_P12ihipStream_tbEUlT_E_NS1_11comp_targetILNS1_3genE5ELNS1_11target_archE942ELNS1_3gpuE9ELNS1_3repE0EEENS1_30default_config_static_selectorELNS0_4arch9wavefront6targetE0EEEvT1_
    .private_segment_fixed_size: 0
    .sgpr_count:     0
    .sgpr_spill_count: 0
    .symbol:         _ZN7rocprim17ROCPRIM_400000_NS6detail17trampoline_kernelINS0_14default_configENS1_35adjacent_difference_config_selectorILb1EjEEZNS1_24adjacent_difference_implIS3_Lb1ELb0EPjS7_N6thrust23THRUST_200600_302600_NS5minusIjEEEE10hipError_tPvRmT2_T3_mT4_P12ihipStream_tbEUlT_E_NS1_11comp_targetILNS1_3genE5ELNS1_11target_archE942ELNS1_3gpuE9ELNS1_3repE0EEENS1_30default_config_static_selectorELNS0_4arch9wavefront6targetE0EEEvT1_.kd
    .uniform_work_group_size: 1
    .uses_dynamic_stack: false
    .vgpr_count:     0
    .vgpr_spill_count: 0
    .wavefront_size: 32
    .workgroup_processor_mode: 1
  - .args:
      - .offset:         0
        .size:           56
        .value_kind:     by_value
    .group_segment_fixed_size: 0
    .kernarg_segment_align: 8
    .kernarg_segment_size: 56
    .language:       OpenCL C
    .language_version:
      - 2
      - 0
    .max_flat_workgroup_size: 512
    .name:           _ZN7rocprim17ROCPRIM_400000_NS6detail17trampoline_kernelINS0_14default_configENS1_35adjacent_difference_config_selectorILb1EjEEZNS1_24adjacent_difference_implIS3_Lb1ELb0EPjS7_N6thrust23THRUST_200600_302600_NS5minusIjEEEE10hipError_tPvRmT2_T3_mT4_P12ihipStream_tbEUlT_E_NS1_11comp_targetILNS1_3genE4ELNS1_11target_archE910ELNS1_3gpuE8ELNS1_3repE0EEENS1_30default_config_static_selectorELNS0_4arch9wavefront6targetE0EEEvT1_
    .private_segment_fixed_size: 0
    .sgpr_count:     0
    .sgpr_spill_count: 0
    .symbol:         _ZN7rocprim17ROCPRIM_400000_NS6detail17trampoline_kernelINS0_14default_configENS1_35adjacent_difference_config_selectorILb1EjEEZNS1_24adjacent_difference_implIS3_Lb1ELb0EPjS7_N6thrust23THRUST_200600_302600_NS5minusIjEEEE10hipError_tPvRmT2_T3_mT4_P12ihipStream_tbEUlT_E_NS1_11comp_targetILNS1_3genE4ELNS1_11target_archE910ELNS1_3gpuE8ELNS1_3repE0EEENS1_30default_config_static_selectorELNS0_4arch9wavefront6targetE0EEEvT1_.kd
    .uniform_work_group_size: 1
    .uses_dynamic_stack: false
    .vgpr_count:     0
    .vgpr_spill_count: 0
    .wavefront_size: 32
    .workgroup_processor_mode: 1
  - .args:
      - .offset:         0
        .size:           56
        .value_kind:     by_value
    .group_segment_fixed_size: 0
    .kernarg_segment_align: 8
    .kernarg_segment_size: 56
    .language:       OpenCL C
    .language_version:
      - 2
      - 0
    .max_flat_workgroup_size: 1024
    .name:           _ZN7rocprim17ROCPRIM_400000_NS6detail17trampoline_kernelINS0_14default_configENS1_35adjacent_difference_config_selectorILb1EjEEZNS1_24adjacent_difference_implIS3_Lb1ELb0EPjS7_N6thrust23THRUST_200600_302600_NS5minusIjEEEE10hipError_tPvRmT2_T3_mT4_P12ihipStream_tbEUlT_E_NS1_11comp_targetILNS1_3genE3ELNS1_11target_archE908ELNS1_3gpuE7ELNS1_3repE0EEENS1_30default_config_static_selectorELNS0_4arch9wavefront6targetE0EEEvT1_
    .private_segment_fixed_size: 0
    .sgpr_count:     0
    .sgpr_spill_count: 0
    .symbol:         _ZN7rocprim17ROCPRIM_400000_NS6detail17trampoline_kernelINS0_14default_configENS1_35adjacent_difference_config_selectorILb1EjEEZNS1_24adjacent_difference_implIS3_Lb1ELb0EPjS7_N6thrust23THRUST_200600_302600_NS5minusIjEEEE10hipError_tPvRmT2_T3_mT4_P12ihipStream_tbEUlT_E_NS1_11comp_targetILNS1_3genE3ELNS1_11target_archE908ELNS1_3gpuE7ELNS1_3repE0EEENS1_30default_config_static_selectorELNS0_4arch9wavefront6targetE0EEEvT1_.kd
    .uniform_work_group_size: 1
    .uses_dynamic_stack: false
    .vgpr_count:     0
    .vgpr_spill_count: 0
    .wavefront_size: 32
    .workgroup_processor_mode: 1
  - .args:
      - .offset:         0
        .size:           56
        .value_kind:     by_value
    .group_segment_fixed_size: 0
    .kernarg_segment_align: 8
    .kernarg_segment_size: 56
    .language:       OpenCL C
    .language_version:
      - 2
      - 0
    .max_flat_workgroup_size: 256
    .name:           _ZN7rocprim17ROCPRIM_400000_NS6detail17trampoline_kernelINS0_14default_configENS1_35adjacent_difference_config_selectorILb1EjEEZNS1_24adjacent_difference_implIS3_Lb1ELb0EPjS7_N6thrust23THRUST_200600_302600_NS5minusIjEEEE10hipError_tPvRmT2_T3_mT4_P12ihipStream_tbEUlT_E_NS1_11comp_targetILNS1_3genE2ELNS1_11target_archE906ELNS1_3gpuE6ELNS1_3repE0EEENS1_30default_config_static_selectorELNS0_4arch9wavefront6targetE0EEEvT1_
    .private_segment_fixed_size: 0
    .sgpr_count:     0
    .sgpr_spill_count: 0
    .symbol:         _ZN7rocprim17ROCPRIM_400000_NS6detail17trampoline_kernelINS0_14default_configENS1_35adjacent_difference_config_selectorILb1EjEEZNS1_24adjacent_difference_implIS3_Lb1ELb0EPjS7_N6thrust23THRUST_200600_302600_NS5minusIjEEEE10hipError_tPvRmT2_T3_mT4_P12ihipStream_tbEUlT_E_NS1_11comp_targetILNS1_3genE2ELNS1_11target_archE906ELNS1_3gpuE6ELNS1_3repE0EEENS1_30default_config_static_selectorELNS0_4arch9wavefront6targetE0EEEvT1_.kd
    .uniform_work_group_size: 1
    .uses_dynamic_stack: false
    .vgpr_count:     0
    .vgpr_spill_count: 0
    .wavefront_size: 32
    .workgroup_processor_mode: 1
  - .args:
      - .offset:         0
        .size:           56
        .value_kind:     by_value
    .group_segment_fixed_size: 14848
    .kernarg_segment_align: 8
    .kernarg_segment_size: 56
    .language:       OpenCL C
    .language_version:
      - 2
      - 0
    .max_flat_workgroup_size: 128
    .name:           _ZN7rocprim17ROCPRIM_400000_NS6detail17trampoline_kernelINS0_14default_configENS1_35adjacent_difference_config_selectorILb1EjEEZNS1_24adjacent_difference_implIS3_Lb1ELb0EPjS7_N6thrust23THRUST_200600_302600_NS5minusIjEEEE10hipError_tPvRmT2_T3_mT4_P12ihipStream_tbEUlT_E_NS1_11comp_targetILNS1_3genE9ELNS1_11target_archE1100ELNS1_3gpuE3ELNS1_3repE0EEENS1_30default_config_static_selectorELNS0_4arch9wavefront6targetE0EEEvT1_
    .private_segment_fixed_size: 0
    .sgpr_count:     46
    .sgpr_spill_count: 0
    .symbol:         _ZN7rocprim17ROCPRIM_400000_NS6detail17trampoline_kernelINS0_14default_configENS1_35adjacent_difference_config_selectorILb1EjEEZNS1_24adjacent_difference_implIS3_Lb1ELb0EPjS7_N6thrust23THRUST_200600_302600_NS5minusIjEEEE10hipError_tPvRmT2_T3_mT4_P12ihipStream_tbEUlT_E_NS1_11comp_targetILNS1_3genE9ELNS1_11target_archE1100ELNS1_3gpuE3ELNS1_3repE0EEENS1_30default_config_static_selectorELNS0_4arch9wavefront6targetE0EEEvT1_.kd
    .uniform_work_group_size: 1
    .uses_dynamic_stack: false
    .vgpr_count:     64
    .vgpr_spill_count: 0
    .wavefront_size: 32
    .workgroup_processor_mode: 1
  - .args:
      - .offset:         0
        .size:           56
        .value_kind:     by_value
    .group_segment_fixed_size: 0
    .kernarg_segment_align: 8
    .kernarg_segment_size: 56
    .language:       OpenCL C
    .language_version:
      - 2
      - 0
    .max_flat_workgroup_size: 32
    .name:           _ZN7rocprim17ROCPRIM_400000_NS6detail17trampoline_kernelINS0_14default_configENS1_35adjacent_difference_config_selectorILb1EjEEZNS1_24adjacent_difference_implIS3_Lb1ELb0EPjS7_N6thrust23THRUST_200600_302600_NS5minusIjEEEE10hipError_tPvRmT2_T3_mT4_P12ihipStream_tbEUlT_E_NS1_11comp_targetILNS1_3genE8ELNS1_11target_archE1030ELNS1_3gpuE2ELNS1_3repE0EEENS1_30default_config_static_selectorELNS0_4arch9wavefront6targetE0EEEvT1_
    .private_segment_fixed_size: 0
    .sgpr_count:     0
    .sgpr_spill_count: 0
    .symbol:         _ZN7rocprim17ROCPRIM_400000_NS6detail17trampoline_kernelINS0_14default_configENS1_35adjacent_difference_config_selectorILb1EjEEZNS1_24adjacent_difference_implIS3_Lb1ELb0EPjS7_N6thrust23THRUST_200600_302600_NS5minusIjEEEE10hipError_tPvRmT2_T3_mT4_P12ihipStream_tbEUlT_E_NS1_11comp_targetILNS1_3genE8ELNS1_11target_archE1030ELNS1_3gpuE2ELNS1_3repE0EEENS1_30default_config_static_selectorELNS0_4arch9wavefront6targetE0EEEvT1_.kd
    .uniform_work_group_size: 1
    .uses_dynamic_stack: false
    .vgpr_count:     0
    .vgpr_spill_count: 0
    .wavefront_size: 32
    .workgroup_processor_mode: 1
  - .args:
      - .offset:         0
        .size:           56
        .value_kind:     by_value
    .group_segment_fixed_size: 0
    .kernarg_segment_align: 8
    .kernarg_segment_size: 56
    .language:       OpenCL C
    .language_version:
      - 2
      - 0
    .max_flat_workgroup_size: 128
    .name:           _ZN7rocprim17ROCPRIM_400000_NS6detail17trampoline_kernelINS0_14default_configENS1_35adjacent_difference_config_selectorILb0EjEEZNS1_24adjacent_difference_implIS3_Lb0ELb0EPjS7_N6thrust23THRUST_200600_302600_NS4plusIjEEEE10hipError_tPvRmT2_T3_mT4_P12ihipStream_tbEUlT_E_NS1_11comp_targetILNS1_3genE0ELNS1_11target_archE4294967295ELNS1_3gpuE0ELNS1_3repE0EEENS1_30default_config_static_selectorELNS0_4arch9wavefront6targetE0EEEvT1_
    .private_segment_fixed_size: 0
    .sgpr_count:     0
    .sgpr_spill_count: 0
    .symbol:         _ZN7rocprim17ROCPRIM_400000_NS6detail17trampoline_kernelINS0_14default_configENS1_35adjacent_difference_config_selectorILb0EjEEZNS1_24adjacent_difference_implIS3_Lb0ELb0EPjS7_N6thrust23THRUST_200600_302600_NS4plusIjEEEE10hipError_tPvRmT2_T3_mT4_P12ihipStream_tbEUlT_E_NS1_11comp_targetILNS1_3genE0ELNS1_11target_archE4294967295ELNS1_3gpuE0ELNS1_3repE0EEENS1_30default_config_static_selectorELNS0_4arch9wavefront6targetE0EEEvT1_.kd
    .uniform_work_group_size: 1
    .uses_dynamic_stack: false
    .vgpr_count:     0
    .vgpr_spill_count: 0
    .wavefront_size: 32
    .workgroup_processor_mode: 1
  - .args:
      - .offset:         0
        .size:           56
        .value_kind:     by_value
    .group_segment_fixed_size: 0
    .kernarg_segment_align: 8
    .kernarg_segment_size: 56
    .language:       OpenCL C
    .language_version:
      - 2
      - 0
    .max_flat_workgroup_size: 128
    .name:           _ZN7rocprim17ROCPRIM_400000_NS6detail17trampoline_kernelINS0_14default_configENS1_35adjacent_difference_config_selectorILb0EjEEZNS1_24adjacent_difference_implIS3_Lb0ELb0EPjS7_N6thrust23THRUST_200600_302600_NS4plusIjEEEE10hipError_tPvRmT2_T3_mT4_P12ihipStream_tbEUlT_E_NS1_11comp_targetILNS1_3genE10ELNS1_11target_archE1201ELNS1_3gpuE5ELNS1_3repE0EEENS1_30default_config_static_selectorELNS0_4arch9wavefront6targetE0EEEvT1_
    .private_segment_fixed_size: 0
    .sgpr_count:     0
    .sgpr_spill_count: 0
    .symbol:         _ZN7rocprim17ROCPRIM_400000_NS6detail17trampoline_kernelINS0_14default_configENS1_35adjacent_difference_config_selectorILb0EjEEZNS1_24adjacent_difference_implIS3_Lb0ELb0EPjS7_N6thrust23THRUST_200600_302600_NS4plusIjEEEE10hipError_tPvRmT2_T3_mT4_P12ihipStream_tbEUlT_E_NS1_11comp_targetILNS1_3genE10ELNS1_11target_archE1201ELNS1_3gpuE5ELNS1_3repE0EEENS1_30default_config_static_selectorELNS0_4arch9wavefront6targetE0EEEvT1_.kd
    .uniform_work_group_size: 1
    .uses_dynamic_stack: false
    .vgpr_count:     0
    .vgpr_spill_count: 0
    .wavefront_size: 32
    .workgroup_processor_mode: 1
  - .args:
      - .offset:         0
        .size:           56
        .value_kind:     by_value
    .group_segment_fixed_size: 0
    .kernarg_segment_align: 8
    .kernarg_segment_size: 56
    .language:       OpenCL C
    .language_version:
      - 2
      - 0
    .max_flat_workgroup_size: 64
    .name:           _ZN7rocprim17ROCPRIM_400000_NS6detail17trampoline_kernelINS0_14default_configENS1_35adjacent_difference_config_selectorILb0EjEEZNS1_24adjacent_difference_implIS3_Lb0ELb0EPjS7_N6thrust23THRUST_200600_302600_NS4plusIjEEEE10hipError_tPvRmT2_T3_mT4_P12ihipStream_tbEUlT_E_NS1_11comp_targetILNS1_3genE5ELNS1_11target_archE942ELNS1_3gpuE9ELNS1_3repE0EEENS1_30default_config_static_selectorELNS0_4arch9wavefront6targetE0EEEvT1_
    .private_segment_fixed_size: 0
    .sgpr_count:     0
    .sgpr_spill_count: 0
    .symbol:         _ZN7rocprim17ROCPRIM_400000_NS6detail17trampoline_kernelINS0_14default_configENS1_35adjacent_difference_config_selectorILb0EjEEZNS1_24adjacent_difference_implIS3_Lb0ELb0EPjS7_N6thrust23THRUST_200600_302600_NS4plusIjEEEE10hipError_tPvRmT2_T3_mT4_P12ihipStream_tbEUlT_E_NS1_11comp_targetILNS1_3genE5ELNS1_11target_archE942ELNS1_3gpuE9ELNS1_3repE0EEENS1_30default_config_static_selectorELNS0_4arch9wavefront6targetE0EEEvT1_.kd
    .uniform_work_group_size: 1
    .uses_dynamic_stack: false
    .vgpr_count:     0
    .vgpr_spill_count: 0
    .wavefront_size: 32
    .workgroup_processor_mode: 1
  - .args:
      - .offset:         0
        .size:           56
        .value_kind:     by_value
    .group_segment_fixed_size: 0
    .kernarg_segment_align: 8
    .kernarg_segment_size: 56
    .language:       OpenCL C
    .language_version:
      - 2
      - 0
    .max_flat_workgroup_size: 512
    .name:           _ZN7rocprim17ROCPRIM_400000_NS6detail17trampoline_kernelINS0_14default_configENS1_35adjacent_difference_config_selectorILb0EjEEZNS1_24adjacent_difference_implIS3_Lb0ELb0EPjS7_N6thrust23THRUST_200600_302600_NS4plusIjEEEE10hipError_tPvRmT2_T3_mT4_P12ihipStream_tbEUlT_E_NS1_11comp_targetILNS1_3genE4ELNS1_11target_archE910ELNS1_3gpuE8ELNS1_3repE0EEENS1_30default_config_static_selectorELNS0_4arch9wavefront6targetE0EEEvT1_
    .private_segment_fixed_size: 0
    .sgpr_count:     0
    .sgpr_spill_count: 0
    .symbol:         _ZN7rocprim17ROCPRIM_400000_NS6detail17trampoline_kernelINS0_14default_configENS1_35adjacent_difference_config_selectorILb0EjEEZNS1_24adjacent_difference_implIS3_Lb0ELb0EPjS7_N6thrust23THRUST_200600_302600_NS4plusIjEEEE10hipError_tPvRmT2_T3_mT4_P12ihipStream_tbEUlT_E_NS1_11comp_targetILNS1_3genE4ELNS1_11target_archE910ELNS1_3gpuE8ELNS1_3repE0EEENS1_30default_config_static_selectorELNS0_4arch9wavefront6targetE0EEEvT1_.kd
    .uniform_work_group_size: 1
    .uses_dynamic_stack: false
    .vgpr_count:     0
    .vgpr_spill_count: 0
    .wavefront_size: 32
    .workgroup_processor_mode: 1
  - .args:
      - .offset:         0
        .size:           56
        .value_kind:     by_value
    .group_segment_fixed_size: 0
    .kernarg_segment_align: 8
    .kernarg_segment_size: 56
    .language:       OpenCL C
    .language_version:
      - 2
      - 0
    .max_flat_workgroup_size: 128
    .name:           _ZN7rocprim17ROCPRIM_400000_NS6detail17trampoline_kernelINS0_14default_configENS1_35adjacent_difference_config_selectorILb0EjEEZNS1_24adjacent_difference_implIS3_Lb0ELb0EPjS7_N6thrust23THRUST_200600_302600_NS4plusIjEEEE10hipError_tPvRmT2_T3_mT4_P12ihipStream_tbEUlT_E_NS1_11comp_targetILNS1_3genE3ELNS1_11target_archE908ELNS1_3gpuE7ELNS1_3repE0EEENS1_30default_config_static_selectorELNS0_4arch9wavefront6targetE0EEEvT1_
    .private_segment_fixed_size: 0
    .sgpr_count:     0
    .sgpr_spill_count: 0
    .symbol:         _ZN7rocprim17ROCPRIM_400000_NS6detail17trampoline_kernelINS0_14default_configENS1_35adjacent_difference_config_selectorILb0EjEEZNS1_24adjacent_difference_implIS3_Lb0ELb0EPjS7_N6thrust23THRUST_200600_302600_NS4plusIjEEEE10hipError_tPvRmT2_T3_mT4_P12ihipStream_tbEUlT_E_NS1_11comp_targetILNS1_3genE3ELNS1_11target_archE908ELNS1_3gpuE7ELNS1_3repE0EEENS1_30default_config_static_selectorELNS0_4arch9wavefront6targetE0EEEvT1_.kd
    .uniform_work_group_size: 1
    .uses_dynamic_stack: false
    .vgpr_count:     0
    .vgpr_spill_count: 0
    .wavefront_size: 32
    .workgroup_processor_mode: 1
  - .args:
      - .offset:         0
        .size:           56
        .value_kind:     by_value
    .group_segment_fixed_size: 0
    .kernarg_segment_align: 8
    .kernarg_segment_size: 56
    .language:       OpenCL C
    .language_version:
      - 2
      - 0
    .max_flat_workgroup_size: 1024
    .name:           _ZN7rocprim17ROCPRIM_400000_NS6detail17trampoline_kernelINS0_14default_configENS1_35adjacent_difference_config_selectorILb0EjEEZNS1_24adjacent_difference_implIS3_Lb0ELb0EPjS7_N6thrust23THRUST_200600_302600_NS4plusIjEEEE10hipError_tPvRmT2_T3_mT4_P12ihipStream_tbEUlT_E_NS1_11comp_targetILNS1_3genE2ELNS1_11target_archE906ELNS1_3gpuE6ELNS1_3repE0EEENS1_30default_config_static_selectorELNS0_4arch9wavefront6targetE0EEEvT1_
    .private_segment_fixed_size: 0
    .sgpr_count:     0
    .sgpr_spill_count: 0
    .symbol:         _ZN7rocprim17ROCPRIM_400000_NS6detail17trampoline_kernelINS0_14default_configENS1_35adjacent_difference_config_selectorILb0EjEEZNS1_24adjacent_difference_implIS3_Lb0ELb0EPjS7_N6thrust23THRUST_200600_302600_NS4plusIjEEEE10hipError_tPvRmT2_T3_mT4_P12ihipStream_tbEUlT_E_NS1_11comp_targetILNS1_3genE2ELNS1_11target_archE906ELNS1_3gpuE6ELNS1_3repE0EEENS1_30default_config_static_selectorELNS0_4arch9wavefront6targetE0EEEvT1_.kd
    .uniform_work_group_size: 1
    .uses_dynamic_stack: false
    .vgpr_count:     0
    .vgpr_spill_count: 0
    .wavefront_size: 32
    .workgroup_processor_mode: 1
  - .args:
      - .offset:         0
        .size:           56
        .value_kind:     by_value
    .group_segment_fixed_size: 20480
    .kernarg_segment_align: 8
    .kernarg_segment_size: 56
    .language:       OpenCL C
    .language_version:
      - 2
      - 0
    .max_flat_workgroup_size: 1024
    .name:           _ZN7rocprim17ROCPRIM_400000_NS6detail17trampoline_kernelINS0_14default_configENS1_35adjacent_difference_config_selectorILb0EjEEZNS1_24adjacent_difference_implIS3_Lb0ELb0EPjS7_N6thrust23THRUST_200600_302600_NS4plusIjEEEE10hipError_tPvRmT2_T3_mT4_P12ihipStream_tbEUlT_E_NS1_11comp_targetILNS1_3genE9ELNS1_11target_archE1100ELNS1_3gpuE3ELNS1_3repE0EEENS1_30default_config_static_selectorELNS0_4arch9wavefront6targetE0EEEvT1_
    .private_segment_fixed_size: 0
    .sgpr_count:     23
    .sgpr_spill_count: 0
    .symbol:         _ZN7rocprim17ROCPRIM_400000_NS6detail17trampoline_kernelINS0_14default_configENS1_35adjacent_difference_config_selectorILb0EjEEZNS1_24adjacent_difference_implIS3_Lb0ELb0EPjS7_N6thrust23THRUST_200600_302600_NS4plusIjEEEE10hipError_tPvRmT2_T3_mT4_P12ihipStream_tbEUlT_E_NS1_11comp_targetILNS1_3genE9ELNS1_11target_archE1100ELNS1_3gpuE3ELNS1_3repE0EEENS1_30default_config_static_selectorELNS0_4arch9wavefront6targetE0EEEvT1_.kd
    .uniform_work_group_size: 1
    .uses_dynamic_stack: false
    .vgpr_count:     17
    .vgpr_spill_count: 0
    .wavefront_size: 32
    .workgroup_processor_mode: 1
  - .args:
      - .offset:         0
        .size:           56
        .value_kind:     by_value
    .group_segment_fixed_size: 0
    .kernarg_segment_align: 8
    .kernarg_segment_size: 56
    .language:       OpenCL C
    .language_version:
      - 2
      - 0
    .max_flat_workgroup_size: 1024
    .name:           _ZN7rocprim17ROCPRIM_400000_NS6detail17trampoline_kernelINS0_14default_configENS1_35adjacent_difference_config_selectorILb0EjEEZNS1_24adjacent_difference_implIS3_Lb0ELb0EPjS7_N6thrust23THRUST_200600_302600_NS4plusIjEEEE10hipError_tPvRmT2_T3_mT4_P12ihipStream_tbEUlT_E_NS1_11comp_targetILNS1_3genE8ELNS1_11target_archE1030ELNS1_3gpuE2ELNS1_3repE0EEENS1_30default_config_static_selectorELNS0_4arch9wavefront6targetE0EEEvT1_
    .private_segment_fixed_size: 0
    .sgpr_count:     0
    .sgpr_spill_count: 0
    .symbol:         _ZN7rocprim17ROCPRIM_400000_NS6detail17trampoline_kernelINS0_14default_configENS1_35adjacent_difference_config_selectorILb0EjEEZNS1_24adjacent_difference_implIS3_Lb0ELb0EPjS7_N6thrust23THRUST_200600_302600_NS4plusIjEEEE10hipError_tPvRmT2_T3_mT4_P12ihipStream_tbEUlT_E_NS1_11comp_targetILNS1_3genE8ELNS1_11target_archE1030ELNS1_3gpuE2ELNS1_3repE0EEENS1_30default_config_static_selectorELNS0_4arch9wavefront6targetE0EEEvT1_.kd
    .uniform_work_group_size: 1
    .uses_dynamic_stack: false
    .vgpr_count:     0
    .vgpr_spill_count: 0
    .wavefront_size: 32
    .workgroup_processor_mode: 1
  - .args:
      - .offset:         0
        .size:           56
        .value_kind:     by_value
    .group_segment_fixed_size: 0
    .kernarg_segment_align: 8
    .kernarg_segment_size: 56
    .language:       OpenCL C
    .language_version:
      - 2
      - 0
    .max_flat_workgroup_size: 128
    .name:           _ZN7rocprim17ROCPRIM_400000_NS6detail17trampoline_kernelINS0_14default_configENS1_25transform_config_selectorIjLb0EEEZNS1_14transform_implILb0ES3_S5_NS0_18transform_iteratorINS0_17counting_iteratorImlEEZNS1_24adjacent_difference_implIS3_Lb1ELb0EPjSB_N6thrust23THRUST_200600_302600_NS4plusIjEEEE10hipError_tPvRmT2_T3_mT4_P12ihipStream_tbEUlmE_jEESB_NS0_8identityIvEEEESG_SJ_SK_mSL_SN_bEUlT_E_NS1_11comp_targetILNS1_3genE0ELNS1_11target_archE4294967295ELNS1_3gpuE0ELNS1_3repE0EEENS1_30default_config_static_selectorELNS0_4arch9wavefront6targetE0EEEvT1_
    .private_segment_fixed_size: 0
    .sgpr_count:     0
    .sgpr_spill_count: 0
    .symbol:         _ZN7rocprim17ROCPRIM_400000_NS6detail17trampoline_kernelINS0_14default_configENS1_25transform_config_selectorIjLb0EEEZNS1_14transform_implILb0ES3_S5_NS0_18transform_iteratorINS0_17counting_iteratorImlEEZNS1_24adjacent_difference_implIS3_Lb1ELb0EPjSB_N6thrust23THRUST_200600_302600_NS4plusIjEEEE10hipError_tPvRmT2_T3_mT4_P12ihipStream_tbEUlmE_jEESB_NS0_8identityIvEEEESG_SJ_SK_mSL_SN_bEUlT_E_NS1_11comp_targetILNS1_3genE0ELNS1_11target_archE4294967295ELNS1_3gpuE0ELNS1_3repE0EEENS1_30default_config_static_selectorELNS0_4arch9wavefront6targetE0EEEvT1_.kd
    .uniform_work_group_size: 1
    .uses_dynamic_stack: false
    .vgpr_count:     0
    .vgpr_spill_count: 0
    .wavefront_size: 32
    .workgroup_processor_mode: 1
  - .args:
      - .offset:         0
        .size:           56
        .value_kind:     by_value
    .group_segment_fixed_size: 0
    .kernarg_segment_align: 8
    .kernarg_segment_size: 56
    .language:       OpenCL C
    .language_version:
      - 2
      - 0
    .max_flat_workgroup_size: 512
    .name:           _ZN7rocprim17ROCPRIM_400000_NS6detail17trampoline_kernelINS0_14default_configENS1_25transform_config_selectorIjLb0EEEZNS1_14transform_implILb0ES3_S5_NS0_18transform_iteratorINS0_17counting_iteratorImlEEZNS1_24adjacent_difference_implIS3_Lb1ELb0EPjSB_N6thrust23THRUST_200600_302600_NS4plusIjEEEE10hipError_tPvRmT2_T3_mT4_P12ihipStream_tbEUlmE_jEESB_NS0_8identityIvEEEESG_SJ_SK_mSL_SN_bEUlT_E_NS1_11comp_targetILNS1_3genE5ELNS1_11target_archE942ELNS1_3gpuE9ELNS1_3repE0EEENS1_30default_config_static_selectorELNS0_4arch9wavefront6targetE0EEEvT1_
    .private_segment_fixed_size: 0
    .sgpr_count:     0
    .sgpr_spill_count: 0
    .symbol:         _ZN7rocprim17ROCPRIM_400000_NS6detail17trampoline_kernelINS0_14default_configENS1_25transform_config_selectorIjLb0EEEZNS1_14transform_implILb0ES3_S5_NS0_18transform_iteratorINS0_17counting_iteratorImlEEZNS1_24adjacent_difference_implIS3_Lb1ELb0EPjSB_N6thrust23THRUST_200600_302600_NS4plusIjEEEE10hipError_tPvRmT2_T3_mT4_P12ihipStream_tbEUlmE_jEESB_NS0_8identityIvEEEESG_SJ_SK_mSL_SN_bEUlT_E_NS1_11comp_targetILNS1_3genE5ELNS1_11target_archE942ELNS1_3gpuE9ELNS1_3repE0EEENS1_30default_config_static_selectorELNS0_4arch9wavefront6targetE0EEEvT1_.kd
    .uniform_work_group_size: 1
    .uses_dynamic_stack: false
    .vgpr_count:     0
    .vgpr_spill_count: 0
    .wavefront_size: 32
    .workgroup_processor_mode: 1
  - .args:
      - .offset:         0
        .size:           56
        .value_kind:     by_value
    .group_segment_fixed_size: 0
    .kernarg_segment_align: 8
    .kernarg_segment_size: 56
    .language:       OpenCL C
    .language_version:
      - 2
      - 0
    .max_flat_workgroup_size: 1024
    .name:           _ZN7rocprim17ROCPRIM_400000_NS6detail17trampoline_kernelINS0_14default_configENS1_25transform_config_selectorIjLb0EEEZNS1_14transform_implILb0ES3_S5_NS0_18transform_iteratorINS0_17counting_iteratorImlEEZNS1_24adjacent_difference_implIS3_Lb1ELb0EPjSB_N6thrust23THRUST_200600_302600_NS4plusIjEEEE10hipError_tPvRmT2_T3_mT4_P12ihipStream_tbEUlmE_jEESB_NS0_8identityIvEEEESG_SJ_SK_mSL_SN_bEUlT_E_NS1_11comp_targetILNS1_3genE4ELNS1_11target_archE910ELNS1_3gpuE8ELNS1_3repE0EEENS1_30default_config_static_selectorELNS0_4arch9wavefront6targetE0EEEvT1_
    .private_segment_fixed_size: 0
    .sgpr_count:     0
    .sgpr_spill_count: 0
    .symbol:         _ZN7rocprim17ROCPRIM_400000_NS6detail17trampoline_kernelINS0_14default_configENS1_25transform_config_selectorIjLb0EEEZNS1_14transform_implILb0ES3_S5_NS0_18transform_iteratorINS0_17counting_iteratorImlEEZNS1_24adjacent_difference_implIS3_Lb1ELb0EPjSB_N6thrust23THRUST_200600_302600_NS4plusIjEEEE10hipError_tPvRmT2_T3_mT4_P12ihipStream_tbEUlmE_jEESB_NS0_8identityIvEEEESG_SJ_SK_mSL_SN_bEUlT_E_NS1_11comp_targetILNS1_3genE4ELNS1_11target_archE910ELNS1_3gpuE8ELNS1_3repE0EEENS1_30default_config_static_selectorELNS0_4arch9wavefront6targetE0EEEvT1_.kd
    .uniform_work_group_size: 1
    .uses_dynamic_stack: false
    .vgpr_count:     0
    .vgpr_spill_count: 0
    .wavefront_size: 32
    .workgroup_processor_mode: 1
  - .args:
      - .offset:         0
        .size:           56
        .value_kind:     by_value
    .group_segment_fixed_size: 0
    .kernarg_segment_align: 8
    .kernarg_segment_size: 56
    .language:       OpenCL C
    .language_version:
      - 2
      - 0
    .max_flat_workgroup_size: 128
    .name:           _ZN7rocprim17ROCPRIM_400000_NS6detail17trampoline_kernelINS0_14default_configENS1_25transform_config_selectorIjLb0EEEZNS1_14transform_implILb0ES3_S5_NS0_18transform_iteratorINS0_17counting_iteratorImlEEZNS1_24adjacent_difference_implIS3_Lb1ELb0EPjSB_N6thrust23THRUST_200600_302600_NS4plusIjEEEE10hipError_tPvRmT2_T3_mT4_P12ihipStream_tbEUlmE_jEESB_NS0_8identityIvEEEESG_SJ_SK_mSL_SN_bEUlT_E_NS1_11comp_targetILNS1_3genE3ELNS1_11target_archE908ELNS1_3gpuE7ELNS1_3repE0EEENS1_30default_config_static_selectorELNS0_4arch9wavefront6targetE0EEEvT1_
    .private_segment_fixed_size: 0
    .sgpr_count:     0
    .sgpr_spill_count: 0
    .symbol:         _ZN7rocprim17ROCPRIM_400000_NS6detail17trampoline_kernelINS0_14default_configENS1_25transform_config_selectorIjLb0EEEZNS1_14transform_implILb0ES3_S5_NS0_18transform_iteratorINS0_17counting_iteratorImlEEZNS1_24adjacent_difference_implIS3_Lb1ELb0EPjSB_N6thrust23THRUST_200600_302600_NS4plusIjEEEE10hipError_tPvRmT2_T3_mT4_P12ihipStream_tbEUlmE_jEESB_NS0_8identityIvEEEESG_SJ_SK_mSL_SN_bEUlT_E_NS1_11comp_targetILNS1_3genE3ELNS1_11target_archE908ELNS1_3gpuE7ELNS1_3repE0EEENS1_30default_config_static_selectorELNS0_4arch9wavefront6targetE0EEEvT1_.kd
    .uniform_work_group_size: 1
    .uses_dynamic_stack: false
    .vgpr_count:     0
    .vgpr_spill_count: 0
    .wavefront_size: 32
    .workgroup_processor_mode: 1
  - .args:
      - .offset:         0
        .size:           56
        .value_kind:     by_value
    .group_segment_fixed_size: 0
    .kernarg_segment_align: 8
    .kernarg_segment_size: 56
    .language:       OpenCL C
    .language_version:
      - 2
      - 0
    .max_flat_workgroup_size: 1024
    .name:           _ZN7rocprim17ROCPRIM_400000_NS6detail17trampoline_kernelINS0_14default_configENS1_25transform_config_selectorIjLb0EEEZNS1_14transform_implILb0ES3_S5_NS0_18transform_iteratorINS0_17counting_iteratorImlEEZNS1_24adjacent_difference_implIS3_Lb1ELb0EPjSB_N6thrust23THRUST_200600_302600_NS4plusIjEEEE10hipError_tPvRmT2_T3_mT4_P12ihipStream_tbEUlmE_jEESB_NS0_8identityIvEEEESG_SJ_SK_mSL_SN_bEUlT_E_NS1_11comp_targetILNS1_3genE2ELNS1_11target_archE906ELNS1_3gpuE6ELNS1_3repE0EEENS1_30default_config_static_selectorELNS0_4arch9wavefront6targetE0EEEvT1_
    .private_segment_fixed_size: 0
    .sgpr_count:     0
    .sgpr_spill_count: 0
    .symbol:         _ZN7rocprim17ROCPRIM_400000_NS6detail17trampoline_kernelINS0_14default_configENS1_25transform_config_selectorIjLb0EEEZNS1_14transform_implILb0ES3_S5_NS0_18transform_iteratorINS0_17counting_iteratorImlEEZNS1_24adjacent_difference_implIS3_Lb1ELb0EPjSB_N6thrust23THRUST_200600_302600_NS4plusIjEEEE10hipError_tPvRmT2_T3_mT4_P12ihipStream_tbEUlmE_jEESB_NS0_8identityIvEEEESG_SJ_SK_mSL_SN_bEUlT_E_NS1_11comp_targetILNS1_3genE2ELNS1_11target_archE906ELNS1_3gpuE6ELNS1_3repE0EEENS1_30default_config_static_selectorELNS0_4arch9wavefront6targetE0EEEvT1_.kd
    .uniform_work_group_size: 1
    .uses_dynamic_stack: false
    .vgpr_count:     0
    .vgpr_spill_count: 0
    .wavefront_size: 32
    .workgroup_processor_mode: 1
  - .args:
      - .offset:         0
        .size:           56
        .value_kind:     by_value
    .group_segment_fixed_size: 0
    .kernarg_segment_align: 8
    .kernarg_segment_size: 56
    .language:       OpenCL C
    .language_version:
      - 2
      - 0
    .max_flat_workgroup_size: 1024
    .name:           _ZN7rocprim17ROCPRIM_400000_NS6detail17trampoline_kernelINS0_14default_configENS1_25transform_config_selectorIjLb0EEEZNS1_14transform_implILb0ES3_S5_NS0_18transform_iteratorINS0_17counting_iteratorImlEEZNS1_24adjacent_difference_implIS3_Lb1ELb0EPjSB_N6thrust23THRUST_200600_302600_NS4plusIjEEEE10hipError_tPvRmT2_T3_mT4_P12ihipStream_tbEUlmE_jEESB_NS0_8identityIvEEEESG_SJ_SK_mSL_SN_bEUlT_E_NS1_11comp_targetILNS1_3genE10ELNS1_11target_archE1201ELNS1_3gpuE5ELNS1_3repE0EEENS1_30default_config_static_selectorELNS0_4arch9wavefront6targetE0EEEvT1_
    .private_segment_fixed_size: 0
    .sgpr_count:     0
    .sgpr_spill_count: 0
    .symbol:         _ZN7rocprim17ROCPRIM_400000_NS6detail17trampoline_kernelINS0_14default_configENS1_25transform_config_selectorIjLb0EEEZNS1_14transform_implILb0ES3_S5_NS0_18transform_iteratorINS0_17counting_iteratorImlEEZNS1_24adjacent_difference_implIS3_Lb1ELb0EPjSB_N6thrust23THRUST_200600_302600_NS4plusIjEEEE10hipError_tPvRmT2_T3_mT4_P12ihipStream_tbEUlmE_jEESB_NS0_8identityIvEEEESG_SJ_SK_mSL_SN_bEUlT_E_NS1_11comp_targetILNS1_3genE10ELNS1_11target_archE1201ELNS1_3gpuE5ELNS1_3repE0EEENS1_30default_config_static_selectorELNS0_4arch9wavefront6targetE0EEEvT1_.kd
    .uniform_work_group_size: 1
    .uses_dynamic_stack: false
    .vgpr_count:     0
    .vgpr_spill_count: 0
    .wavefront_size: 32
    .workgroup_processor_mode: 1
  - .args:
      - .offset:         0
        .size:           56
        .value_kind:     by_value
    .group_segment_fixed_size: 0
    .kernarg_segment_align: 8
    .kernarg_segment_size: 56
    .language:       OpenCL C
    .language_version:
      - 2
      - 0
    .max_flat_workgroup_size: 512
    .name:           _ZN7rocprim17ROCPRIM_400000_NS6detail17trampoline_kernelINS0_14default_configENS1_25transform_config_selectorIjLb0EEEZNS1_14transform_implILb0ES3_S5_NS0_18transform_iteratorINS0_17counting_iteratorImlEEZNS1_24adjacent_difference_implIS3_Lb1ELb0EPjSB_N6thrust23THRUST_200600_302600_NS4plusIjEEEE10hipError_tPvRmT2_T3_mT4_P12ihipStream_tbEUlmE_jEESB_NS0_8identityIvEEEESG_SJ_SK_mSL_SN_bEUlT_E_NS1_11comp_targetILNS1_3genE10ELNS1_11target_archE1200ELNS1_3gpuE4ELNS1_3repE0EEENS1_30default_config_static_selectorELNS0_4arch9wavefront6targetE0EEEvT1_
    .private_segment_fixed_size: 0
    .sgpr_count:     0
    .sgpr_spill_count: 0
    .symbol:         _ZN7rocprim17ROCPRIM_400000_NS6detail17trampoline_kernelINS0_14default_configENS1_25transform_config_selectorIjLb0EEEZNS1_14transform_implILb0ES3_S5_NS0_18transform_iteratorINS0_17counting_iteratorImlEEZNS1_24adjacent_difference_implIS3_Lb1ELb0EPjSB_N6thrust23THRUST_200600_302600_NS4plusIjEEEE10hipError_tPvRmT2_T3_mT4_P12ihipStream_tbEUlmE_jEESB_NS0_8identityIvEEEESG_SJ_SK_mSL_SN_bEUlT_E_NS1_11comp_targetILNS1_3genE10ELNS1_11target_archE1200ELNS1_3gpuE4ELNS1_3repE0EEENS1_30default_config_static_selectorELNS0_4arch9wavefront6targetE0EEEvT1_.kd
    .uniform_work_group_size: 1
    .uses_dynamic_stack: false
    .vgpr_count:     0
    .vgpr_spill_count: 0
    .wavefront_size: 32
    .workgroup_processor_mode: 1
  - .args:
      - .offset:         0
        .size:           56
        .value_kind:     by_value
      - .offset:         56
        .size:           4
        .value_kind:     hidden_block_count_x
      - .offset:         60
        .size:           4
        .value_kind:     hidden_block_count_y
      - .offset:         64
        .size:           4
        .value_kind:     hidden_block_count_z
      - .offset:         68
        .size:           2
        .value_kind:     hidden_group_size_x
      - .offset:         70
        .size:           2
        .value_kind:     hidden_group_size_y
      - .offset:         72
        .size:           2
        .value_kind:     hidden_group_size_z
      - .offset:         74
        .size:           2
        .value_kind:     hidden_remainder_x
      - .offset:         76
        .size:           2
        .value_kind:     hidden_remainder_y
      - .offset:         78
        .size:           2
        .value_kind:     hidden_remainder_z
      - .offset:         96
        .size:           8
        .value_kind:     hidden_global_offset_x
      - .offset:         104
        .size:           8
        .value_kind:     hidden_global_offset_y
      - .offset:         112
        .size:           8
        .value_kind:     hidden_global_offset_z
      - .offset:         120
        .size:           2
        .value_kind:     hidden_grid_dims
    .group_segment_fixed_size: 0
    .kernarg_segment_align: 8
    .kernarg_segment_size: 312
    .language:       OpenCL C
    .language_version:
      - 2
      - 0
    .max_flat_workgroup_size: 64
    .name:           _ZN7rocprim17ROCPRIM_400000_NS6detail17trampoline_kernelINS0_14default_configENS1_25transform_config_selectorIjLb0EEEZNS1_14transform_implILb0ES3_S5_NS0_18transform_iteratorINS0_17counting_iteratorImlEEZNS1_24adjacent_difference_implIS3_Lb1ELb0EPjSB_N6thrust23THRUST_200600_302600_NS4plusIjEEEE10hipError_tPvRmT2_T3_mT4_P12ihipStream_tbEUlmE_jEESB_NS0_8identityIvEEEESG_SJ_SK_mSL_SN_bEUlT_E_NS1_11comp_targetILNS1_3genE9ELNS1_11target_archE1100ELNS1_3gpuE3ELNS1_3repE0EEENS1_30default_config_static_selectorELNS0_4arch9wavefront6targetE0EEEvT1_
    .private_segment_fixed_size: 0
    .sgpr_count:     18
    .sgpr_spill_count: 0
    .symbol:         _ZN7rocprim17ROCPRIM_400000_NS6detail17trampoline_kernelINS0_14default_configENS1_25transform_config_selectorIjLb0EEEZNS1_14transform_implILb0ES3_S5_NS0_18transform_iteratorINS0_17counting_iteratorImlEEZNS1_24adjacent_difference_implIS3_Lb1ELb0EPjSB_N6thrust23THRUST_200600_302600_NS4plusIjEEEE10hipError_tPvRmT2_T3_mT4_P12ihipStream_tbEUlmE_jEESB_NS0_8identityIvEEEESG_SJ_SK_mSL_SN_bEUlT_E_NS1_11comp_targetILNS1_3genE9ELNS1_11target_archE1100ELNS1_3gpuE3ELNS1_3repE0EEENS1_30default_config_static_selectorELNS0_4arch9wavefront6targetE0EEEvT1_.kd
    .uniform_work_group_size: 1
    .uses_dynamic_stack: false
    .vgpr_count:     6
    .vgpr_spill_count: 0
    .wavefront_size: 32
    .workgroup_processor_mode: 1
  - .args:
      - .offset:         0
        .size:           56
        .value_kind:     by_value
    .group_segment_fixed_size: 0
    .kernarg_segment_align: 8
    .kernarg_segment_size: 56
    .language:       OpenCL C
    .language_version:
      - 2
      - 0
    .max_flat_workgroup_size: 256
    .name:           _ZN7rocprim17ROCPRIM_400000_NS6detail17trampoline_kernelINS0_14default_configENS1_25transform_config_selectorIjLb0EEEZNS1_14transform_implILb0ES3_S5_NS0_18transform_iteratorINS0_17counting_iteratorImlEEZNS1_24adjacent_difference_implIS3_Lb1ELb0EPjSB_N6thrust23THRUST_200600_302600_NS4plusIjEEEE10hipError_tPvRmT2_T3_mT4_P12ihipStream_tbEUlmE_jEESB_NS0_8identityIvEEEESG_SJ_SK_mSL_SN_bEUlT_E_NS1_11comp_targetILNS1_3genE8ELNS1_11target_archE1030ELNS1_3gpuE2ELNS1_3repE0EEENS1_30default_config_static_selectorELNS0_4arch9wavefront6targetE0EEEvT1_
    .private_segment_fixed_size: 0
    .sgpr_count:     0
    .sgpr_spill_count: 0
    .symbol:         _ZN7rocprim17ROCPRIM_400000_NS6detail17trampoline_kernelINS0_14default_configENS1_25transform_config_selectorIjLb0EEEZNS1_14transform_implILb0ES3_S5_NS0_18transform_iteratorINS0_17counting_iteratorImlEEZNS1_24adjacent_difference_implIS3_Lb1ELb0EPjSB_N6thrust23THRUST_200600_302600_NS4plusIjEEEE10hipError_tPvRmT2_T3_mT4_P12ihipStream_tbEUlmE_jEESB_NS0_8identityIvEEEESG_SJ_SK_mSL_SN_bEUlT_E_NS1_11comp_targetILNS1_3genE8ELNS1_11target_archE1030ELNS1_3gpuE2ELNS1_3repE0EEENS1_30default_config_static_selectorELNS0_4arch9wavefront6targetE0EEEvT1_.kd
    .uniform_work_group_size: 1
    .uses_dynamic_stack: false
    .vgpr_count:     0
    .vgpr_spill_count: 0
    .wavefront_size: 32
    .workgroup_processor_mode: 1
  - .args:
      - .offset:         0
        .size:           56
        .value_kind:     by_value
    .group_segment_fixed_size: 0
    .kernarg_segment_align: 8
    .kernarg_segment_size: 56
    .language:       OpenCL C
    .language_version:
      - 2
      - 0
    .max_flat_workgroup_size: 1024
    .name:           _ZN7rocprim17ROCPRIM_400000_NS6detail17trampoline_kernelINS0_14default_configENS1_35adjacent_difference_config_selectorILb1EjEEZNS1_24adjacent_difference_implIS3_Lb1ELb0EPjS7_N6thrust23THRUST_200600_302600_NS4plusIjEEEE10hipError_tPvRmT2_T3_mT4_P12ihipStream_tbEUlT_E_NS1_11comp_targetILNS1_3genE0ELNS1_11target_archE4294967295ELNS1_3gpuE0ELNS1_3repE0EEENS1_30default_config_static_selectorELNS0_4arch9wavefront6targetE0EEEvT1_
    .private_segment_fixed_size: 0
    .sgpr_count:     0
    .sgpr_spill_count: 0
    .symbol:         _ZN7rocprim17ROCPRIM_400000_NS6detail17trampoline_kernelINS0_14default_configENS1_35adjacent_difference_config_selectorILb1EjEEZNS1_24adjacent_difference_implIS3_Lb1ELb0EPjS7_N6thrust23THRUST_200600_302600_NS4plusIjEEEE10hipError_tPvRmT2_T3_mT4_P12ihipStream_tbEUlT_E_NS1_11comp_targetILNS1_3genE0ELNS1_11target_archE4294967295ELNS1_3gpuE0ELNS1_3repE0EEENS1_30default_config_static_selectorELNS0_4arch9wavefront6targetE0EEEvT1_.kd
    .uniform_work_group_size: 1
    .uses_dynamic_stack: false
    .vgpr_count:     0
    .vgpr_spill_count: 0
    .wavefront_size: 32
    .workgroup_processor_mode: 1
  - .args:
      - .offset:         0
        .size:           56
        .value_kind:     by_value
    .group_segment_fixed_size: 0
    .kernarg_segment_align: 8
    .kernarg_segment_size: 56
    .language:       OpenCL C
    .language_version:
      - 2
      - 0
    .max_flat_workgroup_size: 32
    .name:           _ZN7rocprim17ROCPRIM_400000_NS6detail17trampoline_kernelINS0_14default_configENS1_35adjacent_difference_config_selectorILb1EjEEZNS1_24adjacent_difference_implIS3_Lb1ELb0EPjS7_N6thrust23THRUST_200600_302600_NS4plusIjEEEE10hipError_tPvRmT2_T3_mT4_P12ihipStream_tbEUlT_E_NS1_11comp_targetILNS1_3genE10ELNS1_11target_archE1201ELNS1_3gpuE5ELNS1_3repE0EEENS1_30default_config_static_selectorELNS0_4arch9wavefront6targetE0EEEvT1_
    .private_segment_fixed_size: 0
    .sgpr_count:     0
    .sgpr_spill_count: 0
    .symbol:         _ZN7rocprim17ROCPRIM_400000_NS6detail17trampoline_kernelINS0_14default_configENS1_35adjacent_difference_config_selectorILb1EjEEZNS1_24adjacent_difference_implIS3_Lb1ELb0EPjS7_N6thrust23THRUST_200600_302600_NS4plusIjEEEE10hipError_tPvRmT2_T3_mT4_P12ihipStream_tbEUlT_E_NS1_11comp_targetILNS1_3genE10ELNS1_11target_archE1201ELNS1_3gpuE5ELNS1_3repE0EEENS1_30default_config_static_selectorELNS0_4arch9wavefront6targetE0EEEvT1_.kd
    .uniform_work_group_size: 1
    .uses_dynamic_stack: false
    .vgpr_count:     0
    .vgpr_spill_count: 0
    .wavefront_size: 32
    .workgroup_processor_mode: 1
  - .args:
      - .offset:         0
        .size:           56
        .value_kind:     by_value
    .group_segment_fixed_size: 0
    .kernarg_segment_align: 8
    .kernarg_segment_size: 56
    .language:       OpenCL C
    .language_version:
      - 2
      - 0
    .max_flat_workgroup_size: 512
    .name:           _ZN7rocprim17ROCPRIM_400000_NS6detail17trampoline_kernelINS0_14default_configENS1_35adjacent_difference_config_selectorILb1EjEEZNS1_24adjacent_difference_implIS3_Lb1ELb0EPjS7_N6thrust23THRUST_200600_302600_NS4plusIjEEEE10hipError_tPvRmT2_T3_mT4_P12ihipStream_tbEUlT_E_NS1_11comp_targetILNS1_3genE5ELNS1_11target_archE942ELNS1_3gpuE9ELNS1_3repE0EEENS1_30default_config_static_selectorELNS0_4arch9wavefront6targetE0EEEvT1_
    .private_segment_fixed_size: 0
    .sgpr_count:     0
    .sgpr_spill_count: 0
    .symbol:         _ZN7rocprim17ROCPRIM_400000_NS6detail17trampoline_kernelINS0_14default_configENS1_35adjacent_difference_config_selectorILb1EjEEZNS1_24adjacent_difference_implIS3_Lb1ELb0EPjS7_N6thrust23THRUST_200600_302600_NS4plusIjEEEE10hipError_tPvRmT2_T3_mT4_P12ihipStream_tbEUlT_E_NS1_11comp_targetILNS1_3genE5ELNS1_11target_archE942ELNS1_3gpuE9ELNS1_3repE0EEENS1_30default_config_static_selectorELNS0_4arch9wavefront6targetE0EEEvT1_.kd
    .uniform_work_group_size: 1
    .uses_dynamic_stack: false
    .vgpr_count:     0
    .vgpr_spill_count: 0
    .wavefront_size: 32
    .workgroup_processor_mode: 1
  - .args:
      - .offset:         0
        .size:           56
        .value_kind:     by_value
    .group_segment_fixed_size: 0
    .kernarg_segment_align: 8
    .kernarg_segment_size: 56
    .language:       OpenCL C
    .language_version:
      - 2
      - 0
    .max_flat_workgroup_size: 512
    .name:           _ZN7rocprim17ROCPRIM_400000_NS6detail17trampoline_kernelINS0_14default_configENS1_35adjacent_difference_config_selectorILb1EjEEZNS1_24adjacent_difference_implIS3_Lb1ELb0EPjS7_N6thrust23THRUST_200600_302600_NS4plusIjEEEE10hipError_tPvRmT2_T3_mT4_P12ihipStream_tbEUlT_E_NS1_11comp_targetILNS1_3genE4ELNS1_11target_archE910ELNS1_3gpuE8ELNS1_3repE0EEENS1_30default_config_static_selectorELNS0_4arch9wavefront6targetE0EEEvT1_
    .private_segment_fixed_size: 0
    .sgpr_count:     0
    .sgpr_spill_count: 0
    .symbol:         _ZN7rocprim17ROCPRIM_400000_NS6detail17trampoline_kernelINS0_14default_configENS1_35adjacent_difference_config_selectorILb1EjEEZNS1_24adjacent_difference_implIS3_Lb1ELb0EPjS7_N6thrust23THRUST_200600_302600_NS4plusIjEEEE10hipError_tPvRmT2_T3_mT4_P12ihipStream_tbEUlT_E_NS1_11comp_targetILNS1_3genE4ELNS1_11target_archE910ELNS1_3gpuE8ELNS1_3repE0EEENS1_30default_config_static_selectorELNS0_4arch9wavefront6targetE0EEEvT1_.kd
    .uniform_work_group_size: 1
    .uses_dynamic_stack: false
    .vgpr_count:     0
    .vgpr_spill_count: 0
    .wavefront_size: 32
    .workgroup_processor_mode: 1
  - .args:
      - .offset:         0
        .size:           56
        .value_kind:     by_value
    .group_segment_fixed_size: 0
    .kernarg_segment_align: 8
    .kernarg_segment_size: 56
    .language:       OpenCL C
    .language_version:
      - 2
      - 0
    .max_flat_workgroup_size: 1024
    .name:           _ZN7rocprim17ROCPRIM_400000_NS6detail17trampoline_kernelINS0_14default_configENS1_35adjacent_difference_config_selectorILb1EjEEZNS1_24adjacent_difference_implIS3_Lb1ELb0EPjS7_N6thrust23THRUST_200600_302600_NS4plusIjEEEE10hipError_tPvRmT2_T3_mT4_P12ihipStream_tbEUlT_E_NS1_11comp_targetILNS1_3genE3ELNS1_11target_archE908ELNS1_3gpuE7ELNS1_3repE0EEENS1_30default_config_static_selectorELNS0_4arch9wavefront6targetE0EEEvT1_
    .private_segment_fixed_size: 0
    .sgpr_count:     0
    .sgpr_spill_count: 0
    .symbol:         _ZN7rocprim17ROCPRIM_400000_NS6detail17trampoline_kernelINS0_14default_configENS1_35adjacent_difference_config_selectorILb1EjEEZNS1_24adjacent_difference_implIS3_Lb1ELb0EPjS7_N6thrust23THRUST_200600_302600_NS4plusIjEEEE10hipError_tPvRmT2_T3_mT4_P12ihipStream_tbEUlT_E_NS1_11comp_targetILNS1_3genE3ELNS1_11target_archE908ELNS1_3gpuE7ELNS1_3repE0EEENS1_30default_config_static_selectorELNS0_4arch9wavefront6targetE0EEEvT1_.kd
    .uniform_work_group_size: 1
    .uses_dynamic_stack: false
    .vgpr_count:     0
    .vgpr_spill_count: 0
    .wavefront_size: 32
    .workgroup_processor_mode: 1
  - .args:
      - .offset:         0
        .size:           56
        .value_kind:     by_value
    .group_segment_fixed_size: 0
    .kernarg_segment_align: 8
    .kernarg_segment_size: 56
    .language:       OpenCL C
    .language_version:
      - 2
      - 0
    .max_flat_workgroup_size: 256
    .name:           _ZN7rocprim17ROCPRIM_400000_NS6detail17trampoline_kernelINS0_14default_configENS1_35adjacent_difference_config_selectorILb1EjEEZNS1_24adjacent_difference_implIS3_Lb1ELb0EPjS7_N6thrust23THRUST_200600_302600_NS4plusIjEEEE10hipError_tPvRmT2_T3_mT4_P12ihipStream_tbEUlT_E_NS1_11comp_targetILNS1_3genE2ELNS1_11target_archE906ELNS1_3gpuE6ELNS1_3repE0EEENS1_30default_config_static_selectorELNS0_4arch9wavefront6targetE0EEEvT1_
    .private_segment_fixed_size: 0
    .sgpr_count:     0
    .sgpr_spill_count: 0
    .symbol:         _ZN7rocprim17ROCPRIM_400000_NS6detail17trampoline_kernelINS0_14default_configENS1_35adjacent_difference_config_selectorILb1EjEEZNS1_24adjacent_difference_implIS3_Lb1ELb0EPjS7_N6thrust23THRUST_200600_302600_NS4plusIjEEEE10hipError_tPvRmT2_T3_mT4_P12ihipStream_tbEUlT_E_NS1_11comp_targetILNS1_3genE2ELNS1_11target_archE906ELNS1_3gpuE6ELNS1_3repE0EEENS1_30default_config_static_selectorELNS0_4arch9wavefront6targetE0EEEvT1_.kd
    .uniform_work_group_size: 1
    .uses_dynamic_stack: false
    .vgpr_count:     0
    .vgpr_spill_count: 0
    .wavefront_size: 32
    .workgroup_processor_mode: 1
  - .args:
      - .offset:         0
        .size:           56
        .value_kind:     by_value
    .group_segment_fixed_size: 14848
    .kernarg_segment_align: 8
    .kernarg_segment_size: 56
    .language:       OpenCL C
    .language_version:
      - 2
      - 0
    .max_flat_workgroup_size: 128
    .name:           _ZN7rocprim17ROCPRIM_400000_NS6detail17trampoline_kernelINS0_14default_configENS1_35adjacent_difference_config_selectorILb1EjEEZNS1_24adjacent_difference_implIS3_Lb1ELb0EPjS7_N6thrust23THRUST_200600_302600_NS4plusIjEEEE10hipError_tPvRmT2_T3_mT4_P12ihipStream_tbEUlT_E_NS1_11comp_targetILNS1_3genE9ELNS1_11target_archE1100ELNS1_3gpuE3ELNS1_3repE0EEENS1_30default_config_static_selectorELNS0_4arch9wavefront6targetE0EEEvT1_
    .private_segment_fixed_size: 0
    .sgpr_count:     46
    .sgpr_spill_count: 0
    .symbol:         _ZN7rocprim17ROCPRIM_400000_NS6detail17trampoline_kernelINS0_14default_configENS1_35adjacent_difference_config_selectorILb1EjEEZNS1_24adjacent_difference_implIS3_Lb1ELb0EPjS7_N6thrust23THRUST_200600_302600_NS4plusIjEEEE10hipError_tPvRmT2_T3_mT4_P12ihipStream_tbEUlT_E_NS1_11comp_targetILNS1_3genE9ELNS1_11target_archE1100ELNS1_3gpuE3ELNS1_3repE0EEENS1_30default_config_static_selectorELNS0_4arch9wavefront6targetE0EEEvT1_.kd
    .uniform_work_group_size: 1
    .uses_dynamic_stack: false
    .vgpr_count:     64
    .vgpr_spill_count: 0
    .wavefront_size: 32
    .workgroup_processor_mode: 1
  - .args:
      - .offset:         0
        .size:           56
        .value_kind:     by_value
    .group_segment_fixed_size: 0
    .kernarg_segment_align: 8
    .kernarg_segment_size: 56
    .language:       OpenCL C
    .language_version:
      - 2
      - 0
    .max_flat_workgroup_size: 32
    .name:           _ZN7rocprim17ROCPRIM_400000_NS6detail17trampoline_kernelINS0_14default_configENS1_35adjacent_difference_config_selectorILb1EjEEZNS1_24adjacent_difference_implIS3_Lb1ELb0EPjS7_N6thrust23THRUST_200600_302600_NS4plusIjEEEE10hipError_tPvRmT2_T3_mT4_P12ihipStream_tbEUlT_E_NS1_11comp_targetILNS1_3genE8ELNS1_11target_archE1030ELNS1_3gpuE2ELNS1_3repE0EEENS1_30default_config_static_selectorELNS0_4arch9wavefront6targetE0EEEvT1_
    .private_segment_fixed_size: 0
    .sgpr_count:     0
    .sgpr_spill_count: 0
    .symbol:         _ZN7rocprim17ROCPRIM_400000_NS6detail17trampoline_kernelINS0_14default_configENS1_35adjacent_difference_config_selectorILb1EjEEZNS1_24adjacent_difference_implIS3_Lb1ELb0EPjS7_N6thrust23THRUST_200600_302600_NS4plusIjEEEE10hipError_tPvRmT2_T3_mT4_P12ihipStream_tbEUlT_E_NS1_11comp_targetILNS1_3genE8ELNS1_11target_archE1030ELNS1_3gpuE2ELNS1_3repE0EEENS1_30default_config_static_selectorELNS0_4arch9wavefront6targetE0EEEvT1_.kd
    .uniform_work_group_size: 1
    .uses_dynamic_stack: false
    .vgpr_count:     0
    .vgpr_spill_count: 0
    .wavefront_size: 32
    .workgroup_processor_mode: 1
  - .args:
      - .offset:         0
        .size:           16
        .value_kind:     by_value
      - .offset:         16
        .size:           8
        .value_kind:     by_value
      - .offset:         24
        .size:           8
        .value_kind:     by_value
    .group_segment_fixed_size: 0
    .kernarg_segment_align: 8
    .kernarg_segment_size: 32
    .language:       OpenCL C
    .language_version:
      - 2
      - 0
    .max_flat_workgroup_size: 256
    .name:           _ZN6thrust23THRUST_200600_302600_NS11hip_rocprim14__parallel_for6kernelILj256ENS1_20__uninitialized_fill7functorINS0_10device_ptrItEEtEEmLj1EEEvT0_T1_SA_
    .private_segment_fixed_size: 0
    .sgpr_count:     18
    .sgpr_spill_count: 0
    .symbol:         _ZN6thrust23THRUST_200600_302600_NS11hip_rocprim14__parallel_for6kernelILj256ENS1_20__uninitialized_fill7functorINS0_10device_ptrItEEtEEmLj1EEEvT0_T1_SA_.kd
    .uniform_work_group_size: 1
    .uses_dynamic_stack: false
    .vgpr_count:     3
    .vgpr_spill_count: 0
    .wavefront_size: 32
    .workgroup_processor_mode: 1
  - .args:
      - .offset:         0
        .size:           56
        .value_kind:     by_value
    .group_segment_fixed_size: 0
    .kernarg_segment_align: 8
    .kernarg_segment_size: 56
    .language:       OpenCL C
    .language_version:
      - 2
      - 0
    .max_flat_workgroup_size: 64
    .name:           _ZN7rocprim17ROCPRIM_400000_NS6detail17trampoline_kernelINS0_14default_configENS1_35adjacent_difference_config_selectorILb0EtEEZNS1_24adjacent_difference_implIS3_Lb0ELb0EPtS7_N6thrust23THRUST_200600_302600_NS5minusItEEEE10hipError_tPvRmT2_T3_mT4_P12ihipStream_tbEUlT_E_NS1_11comp_targetILNS1_3genE0ELNS1_11target_archE4294967295ELNS1_3gpuE0ELNS1_3repE0EEENS1_30default_config_static_selectorELNS0_4arch9wavefront6targetE0EEEvT1_
    .private_segment_fixed_size: 0
    .sgpr_count:     0
    .sgpr_spill_count: 0
    .symbol:         _ZN7rocprim17ROCPRIM_400000_NS6detail17trampoline_kernelINS0_14default_configENS1_35adjacent_difference_config_selectorILb0EtEEZNS1_24adjacent_difference_implIS3_Lb0ELb0EPtS7_N6thrust23THRUST_200600_302600_NS5minusItEEEE10hipError_tPvRmT2_T3_mT4_P12ihipStream_tbEUlT_E_NS1_11comp_targetILNS1_3genE0ELNS1_11target_archE4294967295ELNS1_3gpuE0ELNS1_3repE0EEENS1_30default_config_static_selectorELNS0_4arch9wavefront6targetE0EEEvT1_.kd
    .uniform_work_group_size: 1
    .uses_dynamic_stack: false
    .vgpr_count:     0
    .vgpr_spill_count: 0
    .wavefront_size: 32
    .workgroup_processor_mode: 1
  - .args:
      - .offset:         0
        .size:           56
        .value_kind:     by_value
    .group_segment_fixed_size: 0
    .kernarg_segment_align: 8
    .kernarg_segment_size: 56
    .language:       OpenCL C
    .language_version:
      - 2
      - 0
    .max_flat_workgroup_size: 128
    .name:           _ZN7rocprim17ROCPRIM_400000_NS6detail17trampoline_kernelINS0_14default_configENS1_35adjacent_difference_config_selectorILb0EtEEZNS1_24adjacent_difference_implIS3_Lb0ELb0EPtS7_N6thrust23THRUST_200600_302600_NS5minusItEEEE10hipError_tPvRmT2_T3_mT4_P12ihipStream_tbEUlT_E_NS1_11comp_targetILNS1_3genE10ELNS1_11target_archE1201ELNS1_3gpuE5ELNS1_3repE0EEENS1_30default_config_static_selectorELNS0_4arch9wavefront6targetE0EEEvT1_
    .private_segment_fixed_size: 0
    .sgpr_count:     0
    .sgpr_spill_count: 0
    .symbol:         _ZN7rocprim17ROCPRIM_400000_NS6detail17trampoline_kernelINS0_14default_configENS1_35adjacent_difference_config_selectorILb0EtEEZNS1_24adjacent_difference_implIS3_Lb0ELb0EPtS7_N6thrust23THRUST_200600_302600_NS5minusItEEEE10hipError_tPvRmT2_T3_mT4_P12ihipStream_tbEUlT_E_NS1_11comp_targetILNS1_3genE10ELNS1_11target_archE1201ELNS1_3gpuE5ELNS1_3repE0EEENS1_30default_config_static_selectorELNS0_4arch9wavefront6targetE0EEEvT1_.kd
    .uniform_work_group_size: 1
    .uses_dynamic_stack: false
    .vgpr_count:     0
    .vgpr_spill_count: 0
    .wavefront_size: 32
    .workgroup_processor_mode: 1
  - .args:
      - .offset:         0
        .size:           56
        .value_kind:     by_value
    .group_segment_fixed_size: 0
    .kernarg_segment_align: 8
    .kernarg_segment_size: 56
    .language:       OpenCL C
    .language_version:
      - 2
      - 0
    .max_flat_workgroup_size: 256
    .name:           _ZN7rocprim17ROCPRIM_400000_NS6detail17trampoline_kernelINS0_14default_configENS1_35adjacent_difference_config_selectorILb0EtEEZNS1_24adjacent_difference_implIS3_Lb0ELb0EPtS7_N6thrust23THRUST_200600_302600_NS5minusItEEEE10hipError_tPvRmT2_T3_mT4_P12ihipStream_tbEUlT_E_NS1_11comp_targetILNS1_3genE5ELNS1_11target_archE942ELNS1_3gpuE9ELNS1_3repE0EEENS1_30default_config_static_selectorELNS0_4arch9wavefront6targetE0EEEvT1_
    .private_segment_fixed_size: 0
    .sgpr_count:     0
    .sgpr_spill_count: 0
    .symbol:         _ZN7rocprim17ROCPRIM_400000_NS6detail17trampoline_kernelINS0_14default_configENS1_35adjacent_difference_config_selectorILb0EtEEZNS1_24adjacent_difference_implIS3_Lb0ELb0EPtS7_N6thrust23THRUST_200600_302600_NS5minusItEEEE10hipError_tPvRmT2_T3_mT4_P12ihipStream_tbEUlT_E_NS1_11comp_targetILNS1_3genE5ELNS1_11target_archE942ELNS1_3gpuE9ELNS1_3repE0EEENS1_30default_config_static_selectorELNS0_4arch9wavefront6targetE0EEEvT1_.kd
    .uniform_work_group_size: 1
    .uses_dynamic_stack: false
    .vgpr_count:     0
    .vgpr_spill_count: 0
    .wavefront_size: 32
    .workgroup_processor_mode: 1
  - .args:
      - .offset:         0
        .size:           56
        .value_kind:     by_value
    .group_segment_fixed_size: 0
    .kernarg_segment_align: 8
    .kernarg_segment_size: 56
    .language:       OpenCL C
    .language_version:
      - 2
      - 0
    .max_flat_workgroup_size: 64
    .name:           _ZN7rocprim17ROCPRIM_400000_NS6detail17trampoline_kernelINS0_14default_configENS1_35adjacent_difference_config_selectorILb0EtEEZNS1_24adjacent_difference_implIS3_Lb0ELb0EPtS7_N6thrust23THRUST_200600_302600_NS5minusItEEEE10hipError_tPvRmT2_T3_mT4_P12ihipStream_tbEUlT_E_NS1_11comp_targetILNS1_3genE4ELNS1_11target_archE910ELNS1_3gpuE8ELNS1_3repE0EEENS1_30default_config_static_selectorELNS0_4arch9wavefront6targetE0EEEvT1_
    .private_segment_fixed_size: 0
    .sgpr_count:     0
    .sgpr_spill_count: 0
    .symbol:         _ZN7rocprim17ROCPRIM_400000_NS6detail17trampoline_kernelINS0_14default_configENS1_35adjacent_difference_config_selectorILb0EtEEZNS1_24adjacent_difference_implIS3_Lb0ELb0EPtS7_N6thrust23THRUST_200600_302600_NS5minusItEEEE10hipError_tPvRmT2_T3_mT4_P12ihipStream_tbEUlT_E_NS1_11comp_targetILNS1_3genE4ELNS1_11target_archE910ELNS1_3gpuE8ELNS1_3repE0EEENS1_30default_config_static_selectorELNS0_4arch9wavefront6targetE0EEEvT1_.kd
    .uniform_work_group_size: 1
    .uses_dynamic_stack: false
    .vgpr_count:     0
    .vgpr_spill_count: 0
    .wavefront_size: 32
    .workgroup_processor_mode: 1
  - .args:
      - .offset:         0
        .size:           56
        .value_kind:     by_value
    .group_segment_fixed_size: 0
    .kernarg_segment_align: 8
    .kernarg_segment_size: 56
    .language:       OpenCL C
    .language_version:
      - 2
      - 0
    .max_flat_workgroup_size: 64
    .name:           _ZN7rocprim17ROCPRIM_400000_NS6detail17trampoline_kernelINS0_14default_configENS1_35adjacent_difference_config_selectorILb0EtEEZNS1_24adjacent_difference_implIS3_Lb0ELb0EPtS7_N6thrust23THRUST_200600_302600_NS5minusItEEEE10hipError_tPvRmT2_T3_mT4_P12ihipStream_tbEUlT_E_NS1_11comp_targetILNS1_3genE3ELNS1_11target_archE908ELNS1_3gpuE7ELNS1_3repE0EEENS1_30default_config_static_selectorELNS0_4arch9wavefront6targetE0EEEvT1_
    .private_segment_fixed_size: 0
    .sgpr_count:     0
    .sgpr_spill_count: 0
    .symbol:         _ZN7rocprim17ROCPRIM_400000_NS6detail17trampoline_kernelINS0_14default_configENS1_35adjacent_difference_config_selectorILb0EtEEZNS1_24adjacent_difference_implIS3_Lb0ELb0EPtS7_N6thrust23THRUST_200600_302600_NS5minusItEEEE10hipError_tPvRmT2_T3_mT4_P12ihipStream_tbEUlT_E_NS1_11comp_targetILNS1_3genE3ELNS1_11target_archE908ELNS1_3gpuE7ELNS1_3repE0EEENS1_30default_config_static_selectorELNS0_4arch9wavefront6targetE0EEEvT1_.kd
    .uniform_work_group_size: 1
    .uses_dynamic_stack: false
    .vgpr_count:     0
    .vgpr_spill_count: 0
    .wavefront_size: 32
    .workgroup_processor_mode: 1
  - .args:
      - .offset:         0
        .size:           56
        .value_kind:     by_value
    .group_segment_fixed_size: 0
    .kernarg_segment_align: 8
    .kernarg_segment_size: 56
    .language:       OpenCL C
    .language_version:
      - 2
      - 0
    .max_flat_workgroup_size: 64
    .name:           _ZN7rocprim17ROCPRIM_400000_NS6detail17trampoline_kernelINS0_14default_configENS1_35adjacent_difference_config_selectorILb0EtEEZNS1_24adjacent_difference_implIS3_Lb0ELb0EPtS7_N6thrust23THRUST_200600_302600_NS5minusItEEEE10hipError_tPvRmT2_T3_mT4_P12ihipStream_tbEUlT_E_NS1_11comp_targetILNS1_3genE2ELNS1_11target_archE906ELNS1_3gpuE6ELNS1_3repE0EEENS1_30default_config_static_selectorELNS0_4arch9wavefront6targetE0EEEvT1_
    .private_segment_fixed_size: 0
    .sgpr_count:     0
    .sgpr_spill_count: 0
    .symbol:         _ZN7rocprim17ROCPRIM_400000_NS6detail17trampoline_kernelINS0_14default_configENS1_35adjacent_difference_config_selectorILb0EtEEZNS1_24adjacent_difference_implIS3_Lb0ELb0EPtS7_N6thrust23THRUST_200600_302600_NS5minusItEEEE10hipError_tPvRmT2_T3_mT4_P12ihipStream_tbEUlT_E_NS1_11comp_targetILNS1_3genE2ELNS1_11target_archE906ELNS1_3gpuE6ELNS1_3repE0EEENS1_30default_config_static_selectorELNS0_4arch9wavefront6targetE0EEEvT1_.kd
    .uniform_work_group_size: 1
    .uses_dynamic_stack: false
    .vgpr_count:     0
    .vgpr_spill_count: 0
    .wavefront_size: 32
    .workgroup_processor_mode: 1
  - .args:
      - .offset:         0
        .size:           56
        .value_kind:     by_value
    .group_segment_fixed_size: 896
    .kernarg_segment_align: 8
    .kernarg_segment_size: 56
    .language:       OpenCL C
    .language_version:
      - 2
      - 0
    .max_flat_workgroup_size: 64
    .name:           _ZN7rocprim17ROCPRIM_400000_NS6detail17trampoline_kernelINS0_14default_configENS1_35adjacent_difference_config_selectorILb0EtEEZNS1_24adjacent_difference_implIS3_Lb0ELb0EPtS7_N6thrust23THRUST_200600_302600_NS5minusItEEEE10hipError_tPvRmT2_T3_mT4_P12ihipStream_tbEUlT_E_NS1_11comp_targetILNS1_3genE9ELNS1_11target_archE1100ELNS1_3gpuE3ELNS1_3repE0EEENS1_30default_config_static_selectorELNS0_4arch9wavefront6targetE0EEEvT1_
    .private_segment_fixed_size: 0
    .sgpr_count:     23
    .sgpr_spill_count: 0
    .symbol:         _ZN7rocprim17ROCPRIM_400000_NS6detail17trampoline_kernelINS0_14default_configENS1_35adjacent_difference_config_selectorILb0EtEEZNS1_24adjacent_difference_implIS3_Lb0ELb0EPtS7_N6thrust23THRUST_200600_302600_NS5minusItEEEE10hipError_tPvRmT2_T3_mT4_P12ihipStream_tbEUlT_E_NS1_11comp_targetILNS1_3genE9ELNS1_11target_archE1100ELNS1_3gpuE3ELNS1_3repE0EEENS1_30default_config_static_selectorELNS0_4arch9wavefront6targetE0EEEvT1_.kd
    .uniform_work_group_size: 1
    .uses_dynamic_stack: false
    .vgpr_count:     22
    .vgpr_spill_count: 0
    .wavefront_size: 32
    .workgroup_processor_mode: 1
  - .args:
      - .offset:         0
        .size:           56
        .value_kind:     by_value
    .group_segment_fixed_size: 0
    .kernarg_segment_align: 8
    .kernarg_segment_size: 56
    .language:       OpenCL C
    .language_version:
      - 2
      - 0
    .max_flat_workgroup_size: 1024
    .name:           _ZN7rocprim17ROCPRIM_400000_NS6detail17trampoline_kernelINS0_14default_configENS1_35adjacent_difference_config_selectorILb0EtEEZNS1_24adjacent_difference_implIS3_Lb0ELb0EPtS7_N6thrust23THRUST_200600_302600_NS5minusItEEEE10hipError_tPvRmT2_T3_mT4_P12ihipStream_tbEUlT_E_NS1_11comp_targetILNS1_3genE8ELNS1_11target_archE1030ELNS1_3gpuE2ELNS1_3repE0EEENS1_30default_config_static_selectorELNS0_4arch9wavefront6targetE0EEEvT1_
    .private_segment_fixed_size: 0
    .sgpr_count:     0
    .sgpr_spill_count: 0
    .symbol:         _ZN7rocprim17ROCPRIM_400000_NS6detail17trampoline_kernelINS0_14default_configENS1_35adjacent_difference_config_selectorILb0EtEEZNS1_24adjacent_difference_implIS3_Lb0ELb0EPtS7_N6thrust23THRUST_200600_302600_NS5minusItEEEE10hipError_tPvRmT2_T3_mT4_P12ihipStream_tbEUlT_E_NS1_11comp_targetILNS1_3genE8ELNS1_11target_archE1030ELNS1_3gpuE2ELNS1_3repE0EEENS1_30default_config_static_selectorELNS0_4arch9wavefront6targetE0EEEvT1_.kd
    .uniform_work_group_size: 1
    .uses_dynamic_stack: false
    .vgpr_count:     0
    .vgpr_spill_count: 0
    .wavefront_size: 32
    .workgroup_processor_mode: 1
  - .args:
      - .offset:         0
        .size:           56
        .value_kind:     by_value
    .group_segment_fixed_size: 0
    .kernarg_segment_align: 8
    .kernarg_segment_size: 56
    .language:       OpenCL C
    .language_version:
      - 2
      - 0
    .max_flat_workgroup_size: 128
    .name:           _ZN7rocprim17ROCPRIM_400000_NS6detail17trampoline_kernelINS0_14default_configENS1_25transform_config_selectorItLb0EEEZNS1_14transform_implILb0ES3_S5_NS0_18transform_iteratorINS0_17counting_iteratorImlEEZNS1_24adjacent_difference_implIS3_Lb1ELb0EPtSB_N6thrust23THRUST_200600_302600_NS5minusItEEEE10hipError_tPvRmT2_T3_mT4_P12ihipStream_tbEUlmE_tEESB_NS0_8identityIvEEEESG_SJ_SK_mSL_SN_bEUlT_E_NS1_11comp_targetILNS1_3genE0ELNS1_11target_archE4294967295ELNS1_3gpuE0ELNS1_3repE0EEENS1_30default_config_static_selectorELNS0_4arch9wavefront6targetE0EEEvT1_
    .private_segment_fixed_size: 0
    .sgpr_count:     0
    .sgpr_spill_count: 0
    .symbol:         _ZN7rocprim17ROCPRIM_400000_NS6detail17trampoline_kernelINS0_14default_configENS1_25transform_config_selectorItLb0EEEZNS1_14transform_implILb0ES3_S5_NS0_18transform_iteratorINS0_17counting_iteratorImlEEZNS1_24adjacent_difference_implIS3_Lb1ELb0EPtSB_N6thrust23THRUST_200600_302600_NS5minusItEEEE10hipError_tPvRmT2_T3_mT4_P12ihipStream_tbEUlmE_tEESB_NS0_8identityIvEEEESG_SJ_SK_mSL_SN_bEUlT_E_NS1_11comp_targetILNS1_3genE0ELNS1_11target_archE4294967295ELNS1_3gpuE0ELNS1_3repE0EEENS1_30default_config_static_selectorELNS0_4arch9wavefront6targetE0EEEvT1_.kd
    .uniform_work_group_size: 1
    .uses_dynamic_stack: false
    .vgpr_count:     0
    .vgpr_spill_count: 0
    .wavefront_size: 32
    .workgroup_processor_mode: 1
  - .args:
      - .offset:         0
        .size:           56
        .value_kind:     by_value
    .group_segment_fixed_size: 0
    .kernarg_segment_align: 8
    .kernarg_segment_size: 56
    .language:       OpenCL C
    .language_version:
      - 2
      - 0
    .max_flat_workgroup_size: 256
    .name:           _ZN7rocprim17ROCPRIM_400000_NS6detail17trampoline_kernelINS0_14default_configENS1_25transform_config_selectorItLb0EEEZNS1_14transform_implILb0ES3_S5_NS0_18transform_iteratorINS0_17counting_iteratorImlEEZNS1_24adjacent_difference_implIS3_Lb1ELb0EPtSB_N6thrust23THRUST_200600_302600_NS5minusItEEEE10hipError_tPvRmT2_T3_mT4_P12ihipStream_tbEUlmE_tEESB_NS0_8identityIvEEEESG_SJ_SK_mSL_SN_bEUlT_E_NS1_11comp_targetILNS1_3genE5ELNS1_11target_archE942ELNS1_3gpuE9ELNS1_3repE0EEENS1_30default_config_static_selectorELNS0_4arch9wavefront6targetE0EEEvT1_
    .private_segment_fixed_size: 0
    .sgpr_count:     0
    .sgpr_spill_count: 0
    .symbol:         _ZN7rocprim17ROCPRIM_400000_NS6detail17trampoline_kernelINS0_14default_configENS1_25transform_config_selectorItLb0EEEZNS1_14transform_implILb0ES3_S5_NS0_18transform_iteratorINS0_17counting_iteratorImlEEZNS1_24adjacent_difference_implIS3_Lb1ELb0EPtSB_N6thrust23THRUST_200600_302600_NS5minusItEEEE10hipError_tPvRmT2_T3_mT4_P12ihipStream_tbEUlmE_tEESB_NS0_8identityIvEEEESG_SJ_SK_mSL_SN_bEUlT_E_NS1_11comp_targetILNS1_3genE5ELNS1_11target_archE942ELNS1_3gpuE9ELNS1_3repE0EEENS1_30default_config_static_selectorELNS0_4arch9wavefront6targetE0EEEvT1_.kd
    .uniform_work_group_size: 1
    .uses_dynamic_stack: false
    .vgpr_count:     0
    .vgpr_spill_count: 0
    .wavefront_size: 32
    .workgroup_processor_mode: 1
  - .args:
      - .offset:         0
        .size:           56
        .value_kind:     by_value
    .group_segment_fixed_size: 0
    .kernarg_segment_align: 8
    .kernarg_segment_size: 56
    .language:       OpenCL C
    .language_version:
      - 2
      - 0
    .max_flat_workgroup_size: 64
    .name:           _ZN7rocprim17ROCPRIM_400000_NS6detail17trampoline_kernelINS0_14default_configENS1_25transform_config_selectorItLb0EEEZNS1_14transform_implILb0ES3_S5_NS0_18transform_iteratorINS0_17counting_iteratorImlEEZNS1_24adjacent_difference_implIS3_Lb1ELb0EPtSB_N6thrust23THRUST_200600_302600_NS5minusItEEEE10hipError_tPvRmT2_T3_mT4_P12ihipStream_tbEUlmE_tEESB_NS0_8identityIvEEEESG_SJ_SK_mSL_SN_bEUlT_E_NS1_11comp_targetILNS1_3genE4ELNS1_11target_archE910ELNS1_3gpuE8ELNS1_3repE0EEENS1_30default_config_static_selectorELNS0_4arch9wavefront6targetE0EEEvT1_
    .private_segment_fixed_size: 0
    .sgpr_count:     0
    .sgpr_spill_count: 0
    .symbol:         _ZN7rocprim17ROCPRIM_400000_NS6detail17trampoline_kernelINS0_14default_configENS1_25transform_config_selectorItLb0EEEZNS1_14transform_implILb0ES3_S5_NS0_18transform_iteratorINS0_17counting_iteratorImlEEZNS1_24adjacent_difference_implIS3_Lb1ELb0EPtSB_N6thrust23THRUST_200600_302600_NS5minusItEEEE10hipError_tPvRmT2_T3_mT4_P12ihipStream_tbEUlmE_tEESB_NS0_8identityIvEEEESG_SJ_SK_mSL_SN_bEUlT_E_NS1_11comp_targetILNS1_3genE4ELNS1_11target_archE910ELNS1_3gpuE8ELNS1_3repE0EEENS1_30default_config_static_selectorELNS0_4arch9wavefront6targetE0EEEvT1_.kd
    .uniform_work_group_size: 1
    .uses_dynamic_stack: false
    .vgpr_count:     0
    .vgpr_spill_count: 0
    .wavefront_size: 32
    .workgroup_processor_mode: 1
  - .args:
      - .offset:         0
        .size:           56
        .value_kind:     by_value
    .group_segment_fixed_size: 0
    .kernarg_segment_align: 8
    .kernarg_segment_size: 56
    .language:       OpenCL C
    .language_version:
      - 2
      - 0
    .max_flat_workgroup_size: 128
    .name:           _ZN7rocprim17ROCPRIM_400000_NS6detail17trampoline_kernelINS0_14default_configENS1_25transform_config_selectorItLb0EEEZNS1_14transform_implILb0ES3_S5_NS0_18transform_iteratorINS0_17counting_iteratorImlEEZNS1_24adjacent_difference_implIS3_Lb1ELb0EPtSB_N6thrust23THRUST_200600_302600_NS5minusItEEEE10hipError_tPvRmT2_T3_mT4_P12ihipStream_tbEUlmE_tEESB_NS0_8identityIvEEEESG_SJ_SK_mSL_SN_bEUlT_E_NS1_11comp_targetILNS1_3genE3ELNS1_11target_archE908ELNS1_3gpuE7ELNS1_3repE0EEENS1_30default_config_static_selectorELNS0_4arch9wavefront6targetE0EEEvT1_
    .private_segment_fixed_size: 0
    .sgpr_count:     0
    .sgpr_spill_count: 0
    .symbol:         _ZN7rocprim17ROCPRIM_400000_NS6detail17trampoline_kernelINS0_14default_configENS1_25transform_config_selectorItLb0EEEZNS1_14transform_implILb0ES3_S5_NS0_18transform_iteratorINS0_17counting_iteratorImlEEZNS1_24adjacent_difference_implIS3_Lb1ELb0EPtSB_N6thrust23THRUST_200600_302600_NS5minusItEEEE10hipError_tPvRmT2_T3_mT4_P12ihipStream_tbEUlmE_tEESB_NS0_8identityIvEEEESG_SJ_SK_mSL_SN_bEUlT_E_NS1_11comp_targetILNS1_3genE3ELNS1_11target_archE908ELNS1_3gpuE7ELNS1_3repE0EEENS1_30default_config_static_selectorELNS0_4arch9wavefront6targetE0EEEvT1_.kd
    .uniform_work_group_size: 1
    .uses_dynamic_stack: false
    .vgpr_count:     0
    .vgpr_spill_count: 0
    .wavefront_size: 32
    .workgroup_processor_mode: 1
  - .args:
      - .offset:         0
        .size:           56
        .value_kind:     by_value
    .group_segment_fixed_size: 0
    .kernarg_segment_align: 8
    .kernarg_segment_size: 56
    .language:       OpenCL C
    .language_version:
      - 2
      - 0
    .max_flat_workgroup_size: 512
    .name:           _ZN7rocprim17ROCPRIM_400000_NS6detail17trampoline_kernelINS0_14default_configENS1_25transform_config_selectorItLb0EEEZNS1_14transform_implILb0ES3_S5_NS0_18transform_iteratorINS0_17counting_iteratorImlEEZNS1_24adjacent_difference_implIS3_Lb1ELb0EPtSB_N6thrust23THRUST_200600_302600_NS5minusItEEEE10hipError_tPvRmT2_T3_mT4_P12ihipStream_tbEUlmE_tEESB_NS0_8identityIvEEEESG_SJ_SK_mSL_SN_bEUlT_E_NS1_11comp_targetILNS1_3genE2ELNS1_11target_archE906ELNS1_3gpuE6ELNS1_3repE0EEENS1_30default_config_static_selectorELNS0_4arch9wavefront6targetE0EEEvT1_
    .private_segment_fixed_size: 0
    .sgpr_count:     0
    .sgpr_spill_count: 0
    .symbol:         _ZN7rocprim17ROCPRIM_400000_NS6detail17trampoline_kernelINS0_14default_configENS1_25transform_config_selectorItLb0EEEZNS1_14transform_implILb0ES3_S5_NS0_18transform_iteratorINS0_17counting_iteratorImlEEZNS1_24adjacent_difference_implIS3_Lb1ELb0EPtSB_N6thrust23THRUST_200600_302600_NS5minusItEEEE10hipError_tPvRmT2_T3_mT4_P12ihipStream_tbEUlmE_tEESB_NS0_8identityIvEEEESG_SJ_SK_mSL_SN_bEUlT_E_NS1_11comp_targetILNS1_3genE2ELNS1_11target_archE906ELNS1_3gpuE6ELNS1_3repE0EEENS1_30default_config_static_selectorELNS0_4arch9wavefront6targetE0EEEvT1_.kd
    .uniform_work_group_size: 1
    .uses_dynamic_stack: false
    .vgpr_count:     0
    .vgpr_spill_count: 0
    .wavefront_size: 32
    .workgroup_processor_mode: 1
  - .args:
      - .offset:         0
        .size:           56
        .value_kind:     by_value
    .group_segment_fixed_size: 0
    .kernarg_segment_align: 8
    .kernarg_segment_size: 56
    .language:       OpenCL C
    .language_version:
      - 2
      - 0
    .max_flat_workgroup_size: 1024
    .name:           _ZN7rocprim17ROCPRIM_400000_NS6detail17trampoline_kernelINS0_14default_configENS1_25transform_config_selectorItLb0EEEZNS1_14transform_implILb0ES3_S5_NS0_18transform_iteratorINS0_17counting_iteratorImlEEZNS1_24adjacent_difference_implIS3_Lb1ELb0EPtSB_N6thrust23THRUST_200600_302600_NS5minusItEEEE10hipError_tPvRmT2_T3_mT4_P12ihipStream_tbEUlmE_tEESB_NS0_8identityIvEEEESG_SJ_SK_mSL_SN_bEUlT_E_NS1_11comp_targetILNS1_3genE10ELNS1_11target_archE1201ELNS1_3gpuE5ELNS1_3repE0EEENS1_30default_config_static_selectorELNS0_4arch9wavefront6targetE0EEEvT1_
    .private_segment_fixed_size: 0
    .sgpr_count:     0
    .sgpr_spill_count: 0
    .symbol:         _ZN7rocprim17ROCPRIM_400000_NS6detail17trampoline_kernelINS0_14default_configENS1_25transform_config_selectorItLb0EEEZNS1_14transform_implILb0ES3_S5_NS0_18transform_iteratorINS0_17counting_iteratorImlEEZNS1_24adjacent_difference_implIS3_Lb1ELb0EPtSB_N6thrust23THRUST_200600_302600_NS5minusItEEEE10hipError_tPvRmT2_T3_mT4_P12ihipStream_tbEUlmE_tEESB_NS0_8identityIvEEEESG_SJ_SK_mSL_SN_bEUlT_E_NS1_11comp_targetILNS1_3genE10ELNS1_11target_archE1201ELNS1_3gpuE5ELNS1_3repE0EEENS1_30default_config_static_selectorELNS0_4arch9wavefront6targetE0EEEvT1_.kd
    .uniform_work_group_size: 1
    .uses_dynamic_stack: false
    .vgpr_count:     0
    .vgpr_spill_count: 0
    .wavefront_size: 32
    .workgroup_processor_mode: 1
  - .args:
      - .offset:         0
        .size:           56
        .value_kind:     by_value
    .group_segment_fixed_size: 0
    .kernarg_segment_align: 8
    .kernarg_segment_size: 56
    .language:       OpenCL C
    .language_version:
      - 2
      - 0
    .max_flat_workgroup_size: 512
    .name:           _ZN7rocprim17ROCPRIM_400000_NS6detail17trampoline_kernelINS0_14default_configENS1_25transform_config_selectorItLb0EEEZNS1_14transform_implILb0ES3_S5_NS0_18transform_iteratorINS0_17counting_iteratorImlEEZNS1_24adjacent_difference_implIS3_Lb1ELb0EPtSB_N6thrust23THRUST_200600_302600_NS5minusItEEEE10hipError_tPvRmT2_T3_mT4_P12ihipStream_tbEUlmE_tEESB_NS0_8identityIvEEEESG_SJ_SK_mSL_SN_bEUlT_E_NS1_11comp_targetILNS1_3genE10ELNS1_11target_archE1200ELNS1_3gpuE4ELNS1_3repE0EEENS1_30default_config_static_selectorELNS0_4arch9wavefront6targetE0EEEvT1_
    .private_segment_fixed_size: 0
    .sgpr_count:     0
    .sgpr_spill_count: 0
    .symbol:         _ZN7rocprim17ROCPRIM_400000_NS6detail17trampoline_kernelINS0_14default_configENS1_25transform_config_selectorItLb0EEEZNS1_14transform_implILb0ES3_S5_NS0_18transform_iteratorINS0_17counting_iteratorImlEEZNS1_24adjacent_difference_implIS3_Lb1ELb0EPtSB_N6thrust23THRUST_200600_302600_NS5minusItEEEE10hipError_tPvRmT2_T3_mT4_P12ihipStream_tbEUlmE_tEESB_NS0_8identityIvEEEESG_SJ_SK_mSL_SN_bEUlT_E_NS1_11comp_targetILNS1_3genE10ELNS1_11target_archE1200ELNS1_3gpuE4ELNS1_3repE0EEENS1_30default_config_static_selectorELNS0_4arch9wavefront6targetE0EEEvT1_.kd
    .uniform_work_group_size: 1
    .uses_dynamic_stack: false
    .vgpr_count:     0
    .vgpr_spill_count: 0
    .wavefront_size: 32
    .workgroup_processor_mode: 1
  - .args:
      - .offset:         0
        .size:           56
        .value_kind:     by_value
      - .offset:         56
        .size:           4
        .value_kind:     hidden_block_count_x
      - .offset:         60
        .size:           4
        .value_kind:     hidden_block_count_y
      - .offset:         64
        .size:           4
        .value_kind:     hidden_block_count_z
      - .offset:         68
        .size:           2
        .value_kind:     hidden_group_size_x
      - .offset:         70
        .size:           2
        .value_kind:     hidden_group_size_y
      - .offset:         72
        .size:           2
        .value_kind:     hidden_group_size_z
      - .offset:         74
        .size:           2
        .value_kind:     hidden_remainder_x
      - .offset:         76
        .size:           2
        .value_kind:     hidden_remainder_y
      - .offset:         78
        .size:           2
        .value_kind:     hidden_remainder_z
      - .offset:         96
        .size:           8
        .value_kind:     hidden_global_offset_x
      - .offset:         104
        .size:           8
        .value_kind:     hidden_global_offset_y
      - .offset:         112
        .size:           8
        .value_kind:     hidden_global_offset_z
      - .offset:         120
        .size:           2
        .value_kind:     hidden_grid_dims
    .group_segment_fixed_size: 0
    .kernarg_segment_align: 8
    .kernarg_segment_size: 312
    .language:       OpenCL C
    .language_version:
      - 2
      - 0
    .max_flat_workgroup_size: 1024
    .name:           _ZN7rocprim17ROCPRIM_400000_NS6detail17trampoline_kernelINS0_14default_configENS1_25transform_config_selectorItLb0EEEZNS1_14transform_implILb0ES3_S5_NS0_18transform_iteratorINS0_17counting_iteratorImlEEZNS1_24adjacent_difference_implIS3_Lb1ELb0EPtSB_N6thrust23THRUST_200600_302600_NS5minusItEEEE10hipError_tPvRmT2_T3_mT4_P12ihipStream_tbEUlmE_tEESB_NS0_8identityIvEEEESG_SJ_SK_mSL_SN_bEUlT_E_NS1_11comp_targetILNS1_3genE9ELNS1_11target_archE1100ELNS1_3gpuE3ELNS1_3repE0EEENS1_30default_config_static_selectorELNS0_4arch9wavefront6targetE0EEEvT1_
    .private_segment_fixed_size: 0
    .sgpr_count:     20
    .sgpr_spill_count: 0
    .symbol:         _ZN7rocprim17ROCPRIM_400000_NS6detail17trampoline_kernelINS0_14default_configENS1_25transform_config_selectorItLb0EEEZNS1_14transform_implILb0ES3_S5_NS0_18transform_iteratorINS0_17counting_iteratorImlEEZNS1_24adjacent_difference_implIS3_Lb1ELb0EPtSB_N6thrust23THRUST_200600_302600_NS5minusItEEEE10hipError_tPvRmT2_T3_mT4_P12ihipStream_tbEUlmE_tEESB_NS0_8identityIvEEEESG_SJ_SK_mSL_SN_bEUlT_E_NS1_11comp_targetILNS1_3genE9ELNS1_11target_archE1100ELNS1_3gpuE3ELNS1_3repE0EEENS1_30default_config_static_selectorELNS0_4arch9wavefront6targetE0EEEvT1_.kd
    .uniform_work_group_size: 1
    .uses_dynamic_stack: false
    .vgpr_count:     8
    .vgpr_spill_count: 0
    .wavefront_size: 32
    .workgroup_processor_mode: 1
  - .args:
      - .offset:         0
        .size:           56
        .value_kind:     by_value
    .group_segment_fixed_size: 0
    .kernarg_segment_align: 8
    .kernarg_segment_size: 56
    .language:       OpenCL C
    .language_version:
      - 2
      - 0
    .max_flat_workgroup_size: 1024
    .name:           _ZN7rocprim17ROCPRIM_400000_NS6detail17trampoline_kernelINS0_14default_configENS1_25transform_config_selectorItLb0EEEZNS1_14transform_implILb0ES3_S5_NS0_18transform_iteratorINS0_17counting_iteratorImlEEZNS1_24adjacent_difference_implIS3_Lb1ELb0EPtSB_N6thrust23THRUST_200600_302600_NS5minusItEEEE10hipError_tPvRmT2_T3_mT4_P12ihipStream_tbEUlmE_tEESB_NS0_8identityIvEEEESG_SJ_SK_mSL_SN_bEUlT_E_NS1_11comp_targetILNS1_3genE8ELNS1_11target_archE1030ELNS1_3gpuE2ELNS1_3repE0EEENS1_30default_config_static_selectorELNS0_4arch9wavefront6targetE0EEEvT1_
    .private_segment_fixed_size: 0
    .sgpr_count:     0
    .sgpr_spill_count: 0
    .symbol:         _ZN7rocprim17ROCPRIM_400000_NS6detail17trampoline_kernelINS0_14default_configENS1_25transform_config_selectorItLb0EEEZNS1_14transform_implILb0ES3_S5_NS0_18transform_iteratorINS0_17counting_iteratorImlEEZNS1_24adjacent_difference_implIS3_Lb1ELb0EPtSB_N6thrust23THRUST_200600_302600_NS5minusItEEEE10hipError_tPvRmT2_T3_mT4_P12ihipStream_tbEUlmE_tEESB_NS0_8identityIvEEEESG_SJ_SK_mSL_SN_bEUlT_E_NS1_11comp_targetILNS1_3genE8ELNS1_11target_archE1030ELNS1_3gpuE2ELNS1_3repE0EEENS1_30default_config_static_selectorELNS0_4arch9wavefront6targetE0EEEvT1_.kd
    .uniform_work_group_size: 1
    .uses_dynamic_stack: false
    .vgpr_count:     0
    .vgpr_spill_count: 0
    .wavefront_size: 32
    .workgroup_processor_mode: 1
  - .args:
      - .offset:         0
        .size:           56
        .value_kind:     by_value
    .group_segment_fixed_size: 0
    .kernarg_segment_align: 8
    .kernarg_segment_size: 56
    .language:       OpenCL C
    .language_version:
      - 2
      - 0
    .max_flat_workgroup_size: 32
    .name:           _ZN7rocprim17ROCPRIM_400000_NS6detail17trampoline_kernelINS0_14default_configENS1_35adjacent_difference_config_selectorILb1EtEEZNS1_24adjacent_difference_implIS3_Lb1ELb0EPtS7_N6thrust23THRUST_200600_302600_NS5minusItEEEE10hipError_tPvRmT2_T3_mT4_P12ihipStream_tbEUlT_E_NS1_11comp_targetILNS1_3genE0ELNS1_11target_archE4294967295ELNS1_3gpuE0ELNS1_3repE0EEENS1_30default_config_static_selectorELNS0_4arch9wavefront6targetE0EEEvT1_
    .private_segment_fixed_size: 0
    .sgpr_count:     0
    .sgpr_spill_count: 0
    .symbol:         _ZN7rocprim17ROCPRIM_400000_NS6detail17trampoline_kernelINS0_14default_configENS1_35adjacent_difference_config_selectorILb1EtEEZNS1_24adjacent_difference_implIS3_Lb1ELb0EPtS7_N6thrust23THRUST_200600_302600_NS5minusItEEEE10hipError_tPvRmT2_T3_mT4_P12ihipStream_tbEUlT_E_NS1_11comp_targetILNS1_3genE0ELNS1_11target_archE4294967295ELNS1_3gpuE0ELNS1_3repE0EEENS1_30default_config_static_selectorELNS0_4arch9wavefront6targetE0EEEvT1_.kd
    .uniform_work_group_size: 1
    .uses_dynamic_stack: false
    .vgpr_count:     0
    .vgpr_spill_count: 0
    .wavefront_size: 32
    .workgroup_processor_mode: 1
  - .args:
      - .offset:         0
        .size:           56
        .value_kind:     by_value
    .group_segment_fixed_size: 0
    .kernarg_segment_align: 8
    .kernarg_segment_size: 56
    .language:       OpenCL C
    .language_version:
      - 2
      - 0
    .max_flat_workgroup_size: 512
    .name:           _ZN7rocprim17ROCPRIM_400000_NS6detail17trampoline_kernelINS0_14default_configENS1_35adjacent_difference_config_selectorILb1EtEEZNS1_24adjacent_difference_implIS3_Lb1ELb0EPtS7_N6thrust23THRUST_200600_302600_NS5minusItEEEE10hipError_tPvRmT2_T3_mT4_P12ihipStream_tbEUlT_E_NS1_11comp_targetILNS1_3genE10ELNS1_11target_archE1201ELNS1_3gpuE5ELNS1_3repE0EEENS1_30default_config_static_selectorELNS0_4arch9wavefront6targetE0EEEvT1_
    .private_segment_fixed_size: 0
    .sgpr_count:     0
    .sgpr_spill_count: 0
    .symbol:         _ZN7rocprim17ROCPRIM_400000_NS6detail17trampoline_kernelINS0_14default_configENS1_35adjacent_difference_config_selectorILb1EtEEZNS1_24adjacent_difference_implIS3_Lb1ELb0EPtS7_N6thrust23THRUST_200600_302600_NS5minusItEEEE10hipError_tPvRmT2_T3_mT4_P12ihipStream_tbEUlT_E_NS1_11comp_targetILNS1_3genE10ELNS1_11target_archE1201ELNS1_3gpuE5ELNS1_3repE0EEENS1_30default_config_static_selectorELNS0_4arch9wavefront6targetE0EEEvT1_.kd
    .uniform_work_group_size: 1
    .uses_dynamic_stack: false
    .vgpr_count:     0
    .vgpr_spill_count: 0
    .wavefront_size: 32
    .workgroup_processor_mode: 1
  - .args:
      - .offset:         0
        .size:           56
        .value_kind:     by_value
    .group_segment_fixed_size: 0
    .kernarg_segment_align: 8
    .kernarg_segment_size: 56
    .language:       OpenCL C
    .language_version:
      - 2
      - 0
    .max_flat_workgroup_size: 64
    .name:           _ZN7rocprim17ROCPRIM_400000_NS6detail17trampoline_kernelINS0_14default_configENS1_35adjacent_difference_config_selectorILb1EtEEZNS1_24adjacent_difference_implIS3_Lb1ELb0EPtS7_N6thrust23THRUST_200600_302600_NS5minusItEEEE10hipError_tPvRmT2_T3_mT4_P12ihipStream_tbEUlT_E_NS1_11comp_targetILNS1_3genE5ELNS1_11target_archE942ELNS1_3gpuE9ELNS1_3repE0EEENS1_30default_config_static_selectorELNS0_4arch9wavefront6targetE0EEEvT1_
    .private_segment_fixed_size: 0
    .sgpr_count:     0
    .sgpr_spill_count: 0
    .symbol:         _ZN7rocprim17ROCPRIM_400000_NS6detail17trampoline_kernelINS0_14default_configENS1_35adjacent_difference_config_selectorILb1EtEEZNS1_24adjacent_difference_implIS3_Lb1ELb0EPtS7_N6thrust23THRUST_200600_302600_NS5minusItEEEE10hipError_tPvRmT2_T3_mT4_P12ihipStream_tbEUlT_E_NS1_11comp_targetILNS1_3genE5ELNS1_11target_archE942ELNS1_3gpuE9ELNS1_3repE0EEENS1_30default_config_static_selectorELNS0_4arch9wavefront6targetE0EEEvT1_.kd
    .uniform_work_group_size: 1
    .uses_dynamic_stack: false
    .vgpr_count:     0
    .vgpr_spill_count: 0
    .wavefront_size: 32
    .workgroup_processor_mode: 1
  - .args:
      - .offset:         0
        .size:           56
        .value_kind:     by_value
    .group_segment_fixed_size: 0
    .kernarg_segment_align: 8
    .kernarg_segment_size: 56
    .language:       OpenCL C
    .language_version:
      - 2
      - 0
    .max_flat_workgroup_size: 64
    .name:           _ZN7rocprim17ROCPRIM_400000_NS6detail17trampoline_kernelINS0_14default_configENS1_35adjacent_difference_config_selectorILb1EtEEZNS1_24adjacent_difference_implIS3_Lb1ELb0EPtS7_N6thrust23THRUST_200600_302600_NS5minusItEEEE10hipError_tPvRmT2_T3_mT4_P12ihipStream_tbEUlT_E_NS1_11comp_targetILNS1_3genE4ELNS1_11target_archE910ELNS1_3gpuE8ELNS1_3repE0EEENS1_30default_config_static_selectorELNS0_4arch9wavefront6targetE0EEEvT1_
    .private_segment_fixed_size: 0
    .sgpr_count:     0
    .sgpr_spill_count: 0
    .symbol:         _ZN7rocprim17ROCPRIM_400000_NS6detail17trampoline_kernelINS0_14default_configENS1_35adjacent_difference_config_selectorILb1EtEEZNS1_24adjacent_difference_implIS3_Lb1ELb0EPtS7_N6thrust23THRUST_200600_302600_NS5minusItEEEE10hipError_tPvRmT2_T3_mT4_P12ihipStream_tbEUlT_E_NS1_11comp_targetILNS1_3genE4ELNS1_11target_archE910ELNS1_3gpuE8ELNS1_3repE0EEENS1_30default_config_static_selectorELNS0_4arch9wavefront6targetE0EEEvT1_.kd
    .uniform_work_group_size: 1
    .uses_dynamic_stack: false
    .vgpr_count:     0
    .vgpr_spill_count: 0
    .wavefront_size: 32
    .workgroup_processor_mode: 1
  - .args:
      - .offset:         0
        .size:           56
        .value_kind:     by_value
    .group_segment_fixed_size: 0
    .kernarg_segment_align: 8
    .kernarg_segment_size: 56
    .language:       OpenCL C
    .language_version:
      - 2
      - 0
    .max_flat_workgroup_size: 32
    .name:           _ZN7rocprim17ROCPRIM_400000_NS6detail17trampoline_kernelINS0_14default_configENS1_35adjacent_difference_config_selectorILb1EtEEZNS1_24adjacent_difference_implIS3_Lb1ELb0EPtS7_N6thrust23THRUST_200600_302600_NS5minusItEEEE10hipError_tPvRmT2_T3_mT4_P12ihipStream_tbEUlT_E_NS1_11comp_targetILNS1_3genE3ELNS1_11target_archE908ELNS1_3gpuE7ELNS1_3repE0EEENS1_30default_config_static_selectorELNS0_4arch9wavefront6targetE0EEEvT1_
    .private_segment_fixed_size: 0
    .sgpr_count:     0
    .sgpr_spill_count: 0
    .symbol:         _ZN7rocprim17ROCPRIM_400000_NS6detail17trampoline_kernelINS0_14default_configENS1_35adjacent_difference_config_selectorILb1EtEEZNS1_24adjacent_difference_implIS3_Lb1ELb0EPtS7_N6thrust23THRUST_200600_302600_NS5minusItEEEE10hipError_tPvRmT2_T3_mT4_P12ihipStream_tbEUlT_E_NS1_11comp_targetILNS1_3genE3ELNS1_11target_archE908ELNS1_3gpuE7ELNS1_3repE0EEENS1_30default_config_static_selectorELNS0_4arch9wavefront6targetE0EEEvT1_.kd
    .uniform_work_group_size: 1
    .uses_dynamic_stack: false
    .vgpr_count:     0
    .vgpr_spill_count: 0
    .wavefront_size: 32
    .workgroup_processor_mode: 1
  - .args:
      - .offset:         0
        .size:           56
        .value_kind:     by_value
    .group_segment_fixed_size: 0
    .kernarg_segment_align: 8
    .kernarg_segment_size: 56
    .language:       OpenCL C
    .language_version:
      - 2
      - 0
    .max_flat_workgroup_size: 64
    .name:           _ZN7rocprim17ROCPRIM_400000_NS6detail17trampoline_kernelINS0_14default_configENS1_35adjacent_difference_config_selectorILb1EtEEZNS1_24adjacent_difference_implIS3_Lb1ELb0EPtS7_N6thrust23THRUST_200600_302600_NS5minusItEEEE10hipError_tPvRmT2_T3_mT4_P12ihipStream_tbEUlT_E_NS1_11comp_targetILNS1_3genE2ELNS1_11target_archE906ELNS1_3gpuE6ELNS1_3repE0EEENS1_30default_config_static_selectorELNS0_4arch9wavefront6targetE0EEEvT1_
    .private_segment_fixed_size: 0
    .sgpr_count:     0
    .sgpr_spill_count: 0
    .symbol:         _ZN7rocprim17ROCPRIM_400000_NS6detail17trampoline_kernelINS0_14default_configENS1_35adjacent_difference_config_selectorILb1EtEEZNS1_24adjacent_difference_implIS3_Lb1ELb0EPtS7_N6thrust23THRUST_200600_302600_NS5minusItEEEE10hipError_tPvRmT2_T3_mT4_P12ihipStream_tbEUlT_E_NS1_11comp_targetILNS1_3genE2ELNS1_11target_archE906ELNS1_3gpuE6ELNS1_3repE0EEENS1_30default_config_static_selectorELNS0_4arch9wavefront6targetE0EEEvT1_.kd
    .uniform_work_group_size: 1
    .uses_dynamic_stack: false
    .vgpr_count:     0
    .vgpr_spill_count: 0
    .wavefront_size: 32
    .workgroup_processor_mode: 1
  - .args:
      - .offset:         0
        .size:           56
        .value_kind:     by_value
    .group_segment_fixed_size: 5888
    .kernarg_segment_align: 8
    .kernarg_segment_size: 56
    .language:       OpenCL C
    .language_version:
      - 2
      - 0
    .max_flat_workgroup_size: 128
    .name:           _ZN7rocprim17ROCPRIM_400000_NS6detail17trampoline_kernelINS0_14default_configENS1_35adjacent_difference_config_selectorILb1EtEEZNS1_24adjacent_difference_implIS3_Lb1ELb0EPtS7_N6thrust23THRUST_200600_302600_NS5minusItEEEE10hipError_tPvRmT2_T3_mT4_P12ihipStream_tbEUlT_E_NS1_11comp_targetILNS1_3genE9ELNS1_11target_archE1100ELNS1_3gpuE3ELNS1_3repE0EEENS1_30default_config_static_selectorELNS0_4arch9wavefront6targetE0EEEvT1_
    .private_segment_fixed_size: 0
    .sgpr_count:     31
    .sgpr_spill_count: 0
    .symbol:         _ZN7rocprim17ROCPRIM_400000_NS6detail17trampoline_kernelINS0_14default_configENS1_35adjacent_difference_config_selectorILb1EtEEZNS1_24adjacent_difference_implIS3_Lb1ELb0EPtS7_N6thrust23THRUST_200600_302600_NS5minusItEEEE10hipError_tPvRmT2_T3_mT4_P12ihipStream_tbEUlT_E_NS1_11comp_targetILNS1_3genE9ELNS1_11target_archE1100ELNS1_3gpuE3ELNS1_3repE0EEENS1_30default_config_static_selectorELNS0_4arch9wavefront6targetE0EEEvT1_.kd
    .uniform_work_group_size: 1
    .uses_dynamic_stack: false
    .vgpr_count:     49
    .vgpr_spill_count: 0
    .wavefront_size: 32
    .workgroup_processor_mode: 1
  - .args:
      - .offset:         0
        .size:           56
        .value_kind:     by_value
    .group_segment_fixed_size: 0
    .kernarg_segment_align: 8
    .kernarg_segment_size: 56
    .language:       OpenCL C
    .language_version:
      - 2
      - 0
    .max_flat_workgroup_size: 512
    .name:           _ZN7rocprim17ROCPRIM_400000_NS6detail17trampoline_kernelINS0_14default_configENS1_35adjacent_difference_config_selectorILb1EtEEZNS1_24adjacent_difference_implIS3_Lb1ELb0EPtS7_N6thrust23THRUST_200600_302600_NS5minusItEEEE10hipError_tPvRmT2_T3_mT4_P12ihipStream_tbEUlT_E_NS1_11comp_targetILNS1_3genE8ELNS1_11target_archE1030ELNS1_3gpuE2ELNS1_3repE0EEENS1_30default_config_static_selectorELNS0_4arch9wavefront6targetE0EEEvT1_
    .private_segment_fixed_size: 0
    .sgpr_count:     0
    .sgpr_spill_count: 0
    .symbol:         _ZN7rocprim17ROCPRIM_400000_NS6detail17trampoline_kernelINS0_14default_configENS1_35adjacent_difference_config_selectorILb1EtEEZNS1_24adjacent_difference_implIS3_Lb1ELb0EPtS7_N6thrust23THRUST_200600_302600_NS5minusItEEEE10hipError_tPvRmT2_T3_mT4_P12ihipStream_tbEUlT_E_NS1_11comp_targetILNS1_3genE8ELNS1_11target_archE1030ELNS1_3gpuE2ELNS1_3repE0EEENS1_30default_config_static_selectorELNS0_4arch9wavefront6targetE0EEEvT1_.kd
    .uniform_work_group_size: 1
    .uses_dynamic_stack: false
    .vgpr_count:     0
    .vgpr_spill_count: 0
    .wavefront_size: 32
    .workgroup_processor_mode: 1
  - .args:
      - .offset:         0
        .size:           56
        .value_kind:     by_value
    .group_segment_fixed_size: 0
    .kernarg_segment_align: 8
    .kernarg_segment_size: 56
    .language:       OpenCL C
    .language_version:
      - 2
      - 0
    .max_flat_workgroup_size: 64
    .name:           _ZN7rocprim17ROCPRIM_400000_NS6detail17trampoline_kernelINS0_14default_configENS1_35adjacent_difference_config_selectorILb0EtEEZNS1_24adjacent_difference_implIS3_Lb0ELb0EPtS7_N6thrust23THRUST_200600_302600_NS4plusItEEEE10hipError_tPvRmT2_T3_mT4_P12ihipStream_tbEUlT_E_NS1_11comp_targetILNS1_3genE0ELNS1_11target_archE4294967295ELNS1_3gpuE0ELNS1_3repE0EEENS1_30default_config_static_selectorELNS0_4arch9wavefront6targetE0EEEvT1_
    .private_segment_fixed_size: 0
    .sgpr_count:     0
    .sgpr_spill_count: 0
    .symbol:         _ZN7rocprim17ROCPRIM_400000_NS6detail17trampoline_kernelINS0_14default_configENS1_35adjacent_difference_config_selectorILb0EtEEZNS1_24adjacent_difference_implIS3_Lb0ELb0EPtS7_N6thrust23THRUST_200600_302600_NS4plusItEEEE10hipError_tPvRmT2_T3_mT4_P12ihipStream_tbEUlT_E_NS1_11comp_targetILNS1_3genE0ELNS1_11target_archE4294967295ELNS1_3gpuE0ELNS1_3repE0EEENS1_30default_config_static_selectorELNS0_4arch9wavefront6targetE0EEEvT1_.kd
    .uniform_work_group_size: 1
    .uses_dynamic_stack: false
    .vgpr_count:     0
    .vgpr_spill_count: 0
    .wavefront_size: 32
    .workgroup_processor_mode: 1
  - .args:
      - .offset:         0
        .size:           56
        .value_kind:     by_value
    .group_segment_fixed_size: 0
    .kernarg_segment_align: 8
    .kernarg_segment_size: 56
    .language:       OpenCL C
    .language_version:
      - 2
      - 0
    .max_flat_workgroup_size: 128
    .name:           _ZN7rocprim17ROCPRIM_400000_NS6detail17trampoline_kernelINS0_14default_configENS1_35adjacent_difference_config_selectorILb0EtEEZNS1_24adjacent_difference_implIS3_Lb0ELb0EPtS7_N6thrust23THRUST_200600_302600_NS4plusItEEEE10hipError_tPvRmT2_T3_mT4_P12ihipStream_tbEUlT_E_NS1_11comp_targetILNS1_3genE10ELNS1_11target_archE1201ELNS1_3gpuE5ELNS1_3repE0EEENS1_30default_config_static_selectorELNS0_4arch9wavefront6targetE0EEEvT1_
    .private_segment_fixed_size: 0
    .sgpr_count:     0
    .sgpr_spill_count: 0
    .symbol:         _ZN7rocprim17ROCPRIM_400000_NS6detail17trampoline_kernelINS0_14default_configENS1_35adjacent_difference_config_selectorILb0EtEEZNS1_24adjacent_difference_implIS3_Lb0ELb0EPtS7_N6thrust23THRUST_200600_302600_NS4plusItEEEE10hipError_tPvRmT2_T3_mT4_P12ihipStream_tbEUlT_E_NS1_11comp_targetILNS1_3genE10ELNS1_11target_archE1201ELNS1_3gpuE5ELNS1_3repE0EEENS1_30default_config_static_selectorELNS0_4arch9wavefront6targetE0EEEvT1_.kd
    .uniform_work_group_size: 1
    .uses_dynamic_stack: false
    .vgpr_count:     0
    .vgpr_spill_count: 0
    .wavefront_size: 32
    .workgroup_processor_mode: 1
  - .args:
      - .offset:         0
        .size:           56
        .value_kind:     by_value
    .group_segment_fixed_size: 0
    .kernarg_segment_align: 8
    .kernarg_segment_size: 56
    .language:       OpenCL C
    .language_version:
      - 2
      - 0
    .max_flat_workgroup_size: 256
    .name:           _ZN7rocprim17ROCPRIM_400000_NS6detail17trampoline_kernelINS0_14default_configENS1_35adjacent_difference_config_selectorILb0EtEEZNS1_24adjacent_difference_implIS3_Lb0ELb0EPtS7_N6thrust23THRUST_200600_302600_NS4plusItEEEE10hipError_tPvRmT2_T3_mT4_P12ihipStream_tbEUlT_E_NS1_11comp_targetILNS1_3genE5ELNS1_11target_archE942ELNS1_3gpuE9ELNS1_3repE0EEENS1_30default_config_static_selectorELNS0_4arch9wavefront6targetE0EEEvT1_
    .private_segment_fixed_size: 0
    .sgpr_count:     0
    .sgpr_spill_count: 0
    .symbol:         _ZN7rocprim17ROCPRIM_400000_NS6detail17trampoline_kernelINS0_14default_configENS1_35adjacent_difference_config_selectorILb0EtEEZNS1_24adjacent_difference_implIS3_Lb0ELb0EPtS7_N6thrust23THRUST_200600_302600_NS4plusItEEEE10hipError_tPvRmT2_T3_mT4_P12ihipStream_tbEUlT_E_NS1_11comp_targetILNS1_3genE5ELNS1_11target_archE942ELNS1_3gpuE9ELNS1_3repE0EEENS1_30default_config_static_selectorELNS0_4arch9wavefront6targetE0EEEvT1_.kd
    .uniform_work_group_size: 1
    .uses_dynamic_stack: false
    .vgpr_count:     0
    .vgpr_spill_count: 0
    .wavefront_size: 32
    .workgroup_processor_mode: 1
  - .args:
      - .offset:         0
        .size:           56
        .value_kind:     by_value
    .group_segment_fixed_size: 0
    .kernarg_segment_align: 8
    .kernarg_segment_size: 56
    .language:       OpenCL C
    .language_version:
      - 2
      - 0
    .max_flat_workgroup_size: 64
    .name:           _ZN7rocprim17ROCPRIM_400000_NS6detail17trampoline_kernelINS0_14default_configENS1_35adjacent_difference_config_selectorILb0EtEEZNS1_24adjacent_difference_implIS3_Lb0ELb0EPtS7_N6thrust23THRUST_200600_302600_NS4plusItEEEE10hipError_tPvRmT2_T3_mT4_P12ihipStream_tbEUlT_E_NS1_11comp_targetILNS1_3genE4ELNS1_11target_archE910ELNS1_3gpuE8ELNS1_3repE0EEENS1_30default_config_static_selectorELNS0_4arch9wavefront6targetE0EEEvT1_
    .private_segment_fixed_size: 0
    .sgpr_count:     0
    .sgpr_spill_count: 0
    .symbol:         _ZN7rocprim17ROCPRIM_400000_NS6detail17trampoline_kernelINS0_14default_configENS1_35adjacent_difference_config_selectorILb0EtEEZNS1_24adjacent_difference_implIS3_Lb0ELb0EPtS7_N6thrust23THRUST_200600_302600_NS4plusItEEEE10hipError_tPvRmT2_T3_mT4_P12ihipStream_tbEUlT_E_NS1_11comp_targetILNS1_3genE4ELNS1_11target_archE910ELNS1_3gpuE8ELNS1_3repE0EEENS1_30default_config_static_selectorELNS0_4arch9wavefront6targetE0EEEvT1_.kd
    .uniform_work_group_size: 1
    .uses_dynamic_stack: false
    .vgpr_count:     0
    .vgpr_spill_count: 0
    .wavefront_size: 32
    .workgroup_processor_mode: 1
  - .args:
      - .offset:         0
        .size:           56
        .value_kind:     by_value
    .group_segment_fixed_size: 0
    .kernarg_segment_align: 8
    .kernarg_segment_size: 56
    .language:       OpenCL C
    .language_version:
      - 2
      - 0
    .max_flat_workgroup_size: 64
    .name:           _ZN7rocprim17ROCPRIM_400000_NS6detail17trampoline_kernelINS0_14default_configENS1_35adjacent_difference_config_selectorILb0EtEEZNS1_24adjacent_difference_implIS3_Lb0ELb0EPtS7_N6thrust23THRUST_200600_302600_NS4plusItEEEE10hipError_tPvRmT2_T3_mT4_P12ihipStream_tbEUlT_E_NS1_11comp_targetILNS1_3genE3ELNS1_11target_archE908ELNS1_3gpuE7ELNS1_3repE0EEENS1_30default_config_static_selectorELNS0_4arch9wavefront6targetE0EEEvT1_
    .private_segment_fixed_size: 0
    .sgpr_count:     0
    .sgpr_spill_count: 0
    .symbol:         _ZN7rocprim17ROCPRIM_400000_NS6detail17trampoline_kernelINS0_14default_configENS1_35adjacent_difference_config_selectorILb0EtEEZNS1_24adjacent_difference_implIS3_Lb0ELb0EPtS7_N6thrust23THRUST_200600_302600_NS4plusItEEEE10hipError_tPvRmT2_T3_mT4_P12ihipStream_tbEUlT_E_NS1_11comp_targetILNS1_3genE3ELNS1_11target_archE908ELNS1_3gpuE7ELNS1_3repE0EEENS1_30default_config_static_selectorELNS0_4arch9wavefront6targetE0EEEvT1_.kd
    .uniform_work_group_size: 1
    .uses_dynamic_stack: false
    .vgpr_count:     0
    .vgpr_spill_count: 0
    .wavefront_size: 32
    .workgroup_processor_mode: 1
  - .args:
      - .offset:         0
        .size:           56
        .value_kind:     by_value
    .group_segment_fixed_size: 0
    .kernarg_segment_align: 8
    .kernarg_segment_size: 56
    .language:       OpenCL C
    .language_version:
      - 2
      - 0
    .max_flat_workgroup_size: 64
    .name:           _ZN7rocprim17ROCPRIM_400000_NS6detail17trampoline_kernelINS0_14default_configENS1_35adjacent_difference_config_selectorILb0EtEEZNS1_24adjacent_difference_implIS3_Lb0ELb0EPtS7_N6thrust23THRUST_200600_302600_NS4plusItEEEE10hipError_tPvRmT2_T3_mT4_P12ihipStream_tbEUlT_E_NS1_11comp_targetILNS1_3genE2ELNS1_11target_archE906ELNS1_3gpuE6ELNS1_3repE0EEENS1_30default_config_static_selectorELNS0_4arch9wavefront6targetE0EEEvT1_
    .private_segment_fixed_size: 0
    .sgpr_count:     0
    .sgpr_spill_count: 0
    .symbol:         _ZN7rocprim17ROCPRIM_400000_NS6detail17trampoline_kernelINS0_14default_configENS1_35adjacent_difference_config_selectorILb0EtEEZNS1_24adjacent_difference_implIS3_Lb0ELb0EPtS7_N6thrust23THRUST_200600_302600_NS4plusItEEEE10hipError_tPvRmT2_T3_mT4_P12ihipStream_tbEUlT_E_NS1_11comp_targetILNS1_3genE2ELNS1_11target_archE906ELNS1_3gpuE6ELNS1_3repE0EEENS1_30default_config_static_selectorELNS0_4arch9wavefront6targetE0EEEvT1_.kd
    .uniform_work_group_size: 1
    .uses_dynamic_stack: false
    .vgpr_count:     0
    .vgpr_spill_count: 0
    .wavefront_size: 32
    .workgroup_processor_mode: 1
  - .args:
      - .offset:         0
        .size:           56
        .value_kind:     by_value
    .group_segment_fixed_size: 896
    .kernarg_segment_align: 8
    .kernarg_segment_size: 56
    .language:       OpenCL C
    .language_version:
      - 2
      - 0
    .max_flat_workgroup_size: 64
    .name:           _ZN7rocprim17ROCPRIM_400000_NS6detail17trampoline_kernelINS0_14default_configENS1_35adjacent_difference_config_selectorILb0EtEEZNS1_24adjacent_difference_implIS3_Lb0ELb0EPtS7_N6thrust23THRUST_200600_302600_NS4plusItEEEE10hipError_tPvRmT2_T3_mT4_P12ihipStream_tbEUlT_E_NS1_11comp_targetILNS1_3genE9ELNS1_11target_archE1100ELNS1_3gpuE3ELNS1_3repE0EEENS1_30default_config_static_selectorELNS0_4arch9wavefront6targetE0EEEvT1_
    .private_segment_fixed_size: 0
    .sgpr_count:     23
    .sgpr_spill_count: 0
    .symbol:         _ZN7rocprim17ROCPRIM_400000_NS6detail17trampoline_kernelINS0_14default_configENS1_35adjacent_difference_config_selectorILb0EtEEZNS1_24adjacent_difference_implIS3_Lb0ELb0EPtS7_N6thrust23THRUST_200600_302600_NS4plusItEEEE10hipError_tPvRmT2_T3_mT4_P12ihipStream_tbEUlT_E_NS1_11comp_targetILNS1_3genE9ELNS1_11target_archE1100ELNS1_3gpuE3ELNS1_3repE0EEENS1_30default_config_static_selectorELNS0_4arch9wavefront6targetE0EEEvT1_.kd
    .uniform_work_group_size: 1
    .uses_dynamic_stack: false
    .vgpr_count:     22
    .vgpr_spill_count: 0
    .wavefront_size: 32
    .workgroup_processor_mode: 1
  - .args:
      - .offset:         0
        .size:           56
        .value_kind:     by_value
    .group_segment_fixed_size: 0
    .kernarg_segment_align: 8
    .kernarg_segment_size: 56
    .language:       OpenCL C
    .language_version:
      - 2
      - 0
    .max_flat_workgroup_size: 1024
    .name:           _ZN7rocprim17ROCPRIM_400000_NS6detail17trampoline_kernelINS0_14default_configENS1_35adjacent_difference_config_selectorILb0EtEEZNS1_24adjacent_difference_implIS3_Lb0ELb0EPtS7_N6thrust23THRUST_200600_302600_NS4plusItEEEE10hipError_tPvRmT2_T3_mT4_P12ihipStream_tbEUlT_E_NS1_11comp_targetILNS1_3genE8ELNS1_11target_archE1030ELNS1_3gpuE2ELNS1_3repE0EEENS1_30default_config_static_selectorELNS0_4arch9wavefront6targetE0EEEvT1_
    .private_segment_fixed_size: 0
    .sgpr_count:     0
    .sgpr_spill_count: 0
    .symbol:         _ZN7rocprim17ROCPRIM_400000_NS6detail17trampoline_kernelINS0_14default_configENS1_35adjacent_difference_config_selectorILb0EtEEZNS1_24adjacent_difference_implIS3_Lb0ELb0EPtS7_N6thrust23THRUST_200600_302600_NS4plusItEEEE10hipError_tPvRmT2_T3_mT4_P12ihipStream_tbEUlT_E_NS1_11comp_targetILNS1_3genE8ELNS1_11target_archE1030ELNS1_3gpuE2ELNS1_3repE0EEENS1_30default_config_static_selectorELNS0_4arch9wavefront6targetE0EEEvT1_.kd
    .uniform_work_group_size: 1
    .uses_dynamic_stack: false
    .vgpr_count:     0
    .vgpr_spill_count: 0
    .wavefront_size: 32
    .workgroup_processor_mode: 1
  - .args:
      - .offset:         0
        .size:           56
        .value_kind:     by_value
    .group_segment_fixed_size: 0
    .kernarg_segment_align: 8
    .kernarg_segment_size: 56
    .language:       OpenCL C
    .language_version:
      - 2
      - 0
    .max_flat_workgroup_size: 128
    .name:           _ZN7rocprim17ROCPRIM_400000_NS6detail17trampoline_kernelINS0_14default_configENS1_25transform_config_selectorItLb0EEEZNS1_14transform_implILb0ES3_S5_NS0_18transform_iteratorINS0_17counting_iteratorImlEEZNS1_24adjacent_difference_implIS3_Lb1ELb0EPtSB_N6thrust23THRUST_200600_302600_NS4plusItEEEE10hipError_tPvRmT2_T3_mT4_P12ihipStream_tbEUlmE_tEESB_NS0_8identityIvEEEESG_SJ_SK_mSL_SN_bEUlT_E_NS1_11comp_targetILNS1_3genE0ELNS1_11target_archE4294967295ELNS1_3gpuE0ELNS1_3repE0EEENS1_30default_config_static_selectorELNS0_4arch9wavefront6targetE0EEEvT1_
    .private_segment_fixed_size: 0
    .sgpr_count:     0
    .sgpr_spill_count: 0
    .symbol:         _ZN7rocprim17ROCPRIM_400000_NS6detail17trampoline_kernelINS0_14default_configENS1_25transform_config_selectorItLb0EEEZNS1_14transform_implILb0ES3_S5_NS0_18transform_iteratorINS0_17counting_iteratorImlEEZNS1_24adjacent_difference_implIS3_Lb1ELb0EPtSB_N6thrust23THRUST_200600_302600_NS4plusItEEEE10hipError_tPvRmT2_T3_mT4_P12ihipStream_tbEUlmE_tEESB_NS0_8identityIvEEEESG_SJ_SK_mSL_SN_bEUlT_E_NS1_11comp_targetILNS1_3genE0ELNS1_11target_archE4294967295ELNS1_3gpuE0ELNS1_3repE0EEENS1_30default_config_static_selectorELNS0_4arch9wavefront6targetE0EEEvT1_.kd
    .uniform_work_group_size: 1
    .uses_dynamic_stack: false
    .vgpr_count:     0
    .vgpr_spill_count: 0
    .wavefront_size: 32
    .workgroup_processor_mode: 1
  - .args:
      - .offset:         0
        .size:           56
        .value_kind:     by_value
    .group_segment_fixed_size: 0
    .kernarg_segment_align: 8
    .kernarg_segment_size: 56
    .language:       OpenCL C
    .language_version:
      - 2
      - 0
    .max_flat_workgroup_size: 256
    .name:           _ZN7rocprim17ROCPRIM_400000_NS6detail17trampoline_kernelINS0_14default_configENS1_25transform_config_selectorItLb0EEEZNS1_14transform_implILb0ES3_S5_NS0_18transform_iteratorINS0_17counting_iteratorImlEEZNS1_24adjacent_difference_implIS3_Lb1ELb0EPtSB_N6thrust23THRUST_200600_302600_NS4plusItEEEE10hipError_tPvRmT2_T3_mT4_P12ihipStream_tbEUlmE_tEESB_NS0_8identityIvEEEESG_SJ_SK_mSL_SN_bEUlT_E_NS1_11comp_targetILNS1_3genE5ELNS1_11target_archE942ELNS1_3gpuE9ELNS1_3repE0EEENS1_30default_config_static_selectorELNS0_4arch9wavefront6targetE0EEEvT1_
    .private_segment_fixed_size: 0
    .sgpr_count:     0
    .sgpr_spill_count: 0
    .symbol:         _ZN7rocprim17ROCPRIM_400000_NS6detail17trampoline_kernelINS0_14default_configENS1_25transform_config_selectorItLb0EEEZNS1_14transform_implILb0ES3_S5_NS0_18transform_iteratorINS0_17counting_iteratorImlEEZNS1_24adjacent_difference_implIS3_Lb1ELb0EPtSB_N6thrust23THRUST_200600_302600_NS4plusItEEEE10hipError_tPvRmT2_T3_mT4_P12ihipStream_tbEUlmE_tEESB_NS0_8identityIvEEEESG_SJ_SK_mSL_SN_bEUlT_E_NS1_11comp_targetILNS1_3genE5ELNS1_11target_archE942ELNS1_3gpuE9ELNS1_3repE0EEENS1_30default_config_static_selectorELNS0_4arch9wavefront6targetE0EEEvT1_.kd
    .uniform_work_group_size: 1
    .uses_dynamic_stack: false
    .vgpr_count:     0
    .vgpr_spill_count: 0
    .wavefront_size: 32
    .workgroup_processor_mode: 1
  - .args:
      - .offset:         0
        .size:           56
        .value_kind:     by_value
    .group_segment_fixed_size: 0
    .kernarg_segment_align: 8
    .kernarg_segment_size: 56
    .language:       OpenCL C
    .language_version:
      - 2
      - 0
    .max_flat_workgroup_size: 64
    .name:           _ZN7rocprim17ROCPRIM_400000_NS6detail17trampoline_kernelINS0_14default_configENS1_25transform_config_selectorItLb0EEEZNS1_14transform_implILb0ES3_S5_NS0_18transform_iteratorINS0_17counting_iteratorImlEEZNS1_24adjacent_difference_implIS3_Lb1ELb0EPtSB_N6thrust23THRUST_200600_302600_NS4plusItEEEE10hipError_tPvRmT2_T3_mT4_P12ihipStream_tbEUlmE_tEESB_NS0_8identityIvEEEESG_SJ_SK_mSL_SN_bEUlT_E_NS1_11comp_targetILNS1_3genE4ELNS1_11target_archE910ELNS1_3gpuE8ELNS1_3repE0EEENS1_30default_config_static_selectorELNS0_4arch9wavefront6targetE0EEEvT1_
    .private_segment_fixed_size: 0
    .sgpr_count:     0
    .sgpr_spill_count: 0
    .symbol:         _ZN7rocprim17ROCPRIM_400000_NS6detail17trampoline_kernelINS0_14default_configENS1_25transform_config_selectorItLb0EEEZNS1_14transform_implILb0ES3_S5_NS0_18transform_iteratorINS0_17counting_iteratorImlEEZNS1_24adjacent_difference_implIS3_Lb1ELb0EPtSB_N6thrust23THRUST_200600_302600_NS4plusItEEEE10hipError_tPvRmT2_T3_mT4_P12ihipStream_tbEUlmE_tEESB_NS0_8identityIvEEEESG_SJ_SK_mSL_SN_bEUlT_E_NS1_11comp_targetILNS1_3genE4ELNS1_11target_archE910ELNS1_3gpuE8ELNS1_3repE0EEENS1_30default_config_static_selectorELNS0_4arch9wavefront6targetE0EEEvT1_.kd
    .uniform_work_group_size: 1
    .uses_dynamic_stack: false
    .vgpr_count:     0
    .vgpr_spill_count: 0
    .wavefront_size: 32
    .workgroup_processor_mode: 1
  - .args:
      - .offset:         0
        .size:           56
        .value_kind:     by_value
    .group_segment_fixed_size: 0
    .kernarg_segment_align: 8
    .kernarg_segment_size: 56
    .language:       OpenCL C
    .language_version:
      - 2
      - 0
    .max_flat_workgroup_size: 128
    .name:           _ZN7rocprim17ROCPRIM_400000_NS6detail17trampoline_kernelINS0_14default_configENS1_25transform_config_selectorItLb0EEEZNS1_14transform_implILb0ES3_S5_NS0_18transform_iteratorINS0_17counting_iteratorImlEEZNS1_24adjacent_difference_implIS3_Lb1ELb0EPtSB_N6thrust23THRUST_200600_302600_NS4plusItEEEE10hipError_tPvRmT2_T3_mT4_P12ihipStream_tbEUlmE_tEESB_NS0_8identityIvEEEESG_SJ_SK_mSL_SN_bEUlT_E_NS1_11comp_targetILNS1_3genE3ELNS1_11target_archE908ELNS1_3gpuE7ELNS1_3repE0EEENS1_30default_config_static_selectorELNS0_4arch9wavefront6targetE0EEEvT1_
    .private_segment_fixed_size: 0
    .sgpr_count:     0
    .sgpr_spill_count: 0
    .symbol:         _ZN7rocprim17ROCPRIM_400000_NS6detail17trampoline_kernelINS0_14default_configENS1_25transform_config_selectorItLb0EEEZNS1_14transform_implILb0ES3_S5_NS0_18transform_iteratorINS0_17counting_iteratorImlEEZNS1_24adjacent_difference_implIS3_Lb1ELb0EPtSB_N6thrust23THRUST_200600_302600_NS4plusItEEEE10hipError_tPvRmT2_T3_mT4_P12ihipStream_tbEUlmE_tEESB_NS0_8identityIvEEEESG_SJ_SK_mSL_SN_bEUlT_E_NS1_11comp_targetILNS1_3genE3ELNS1_11target_archE908ELNS1_3gpuE7ELNS1_3repE0EEENS1_30default_config_static_selectorELNS0_4arch9wavefront6targetE0EEEvT1_.kd
    .uniform_work_group_size: 1
    .uses_dynamic_stack: false
    .vgpr_count:     0
    .vgpr_spill_count: 0
    .wavefront_size: 32
    .workgroup_processor_mode: 1
  - .args:
      - .offset:         0
        .size:           56
        .value_kind:     by_value
    .group_segment_fixed_size: 0
    .kernarg_segment_align: 8
    .kernarg_segment_size: 56
    .language:       OpenCL C
    .language_version:
      - 2
      - 0
    .max_flat_workgroup_size: 512
    .name:           _ZN7rocprim17ROCPRIM_400000_NS6detail17trampoline_kernelINS0_14default_configENS1_25transform_config_selectorItLb0EEEZNS1_14transform_implILb0ES3_S5_NS0_18transform_iteratorINS0_17counting_iteratorImlEEZNS1_24adjacent_difference_implIS3_Lb1ELb0EPtSB_N6thrust23THRUST_200600_302600_NS4plusItEEEE10hipError_tPvRmT2_T3_mT4_P12ihipStream_tbEUlmE_tEESB_NS0_8identityIvEEEESG_SJ_SK_mSL_SN_bEUlT_E_NS1_11comp_targetILNS1_3genE2ELNS1_11target_archE906ELNS1_3gpuE6ELNS1_3repE0EEENS1_30default_config_static_selectorELNS0_4arch9wavefront6targetE0EEEvT1_
    .private_segment_fixed_size: 0
    .sgpr_count:     0
    .sgpr_spill_count: 0
    .symbol:         _ZN7rocprim17ROCPRIM_400000_NS6detail17trampoline_kernelINS0_14default_configENS1_25transform_config_selectorItLb0EEEZNS1_14transform_implILb0ES3_S5_NS0_18transform_iteratorINS0_17counting_iteratorImlEEZNS1_24adjacent_difference_implIS3_Lb1ELb0EPtSB_N6thrust23THRUST_200600_302600_NS4plusItEEEE10hipError_tPvRmT2_T3_mT4_P12ihipStream_tbEUlmE_tEESB_NS0_8identityIvEEEESG_SJ_SK_mSL_SN_bEUlT_E_NS1_11comp_targetILNS1_3genE2ELNS1_11target_archE906ELNS1_3gpuE6ELNS1_3repE0EEENS1_30default_config_static_selectorELNS0_4arch9wavefront6targetE0EEEvT1_.kd
    .uniform_work_group_size: 1
    .uses_dynamic_stack: false
    .vgpr_count:     0
    .vgpr_spill_count: 0
    .wavefront_size: 32
    .workgroup_processor_mode: 1
  - .args:
      - .offset:         0
        .size:           56
        .value_kind:     by_value
    .group_segment_fixed_size: 0
    .kernarg_segment_align: 8
    .kernarg_segment_size: 56
    .language:       OpenCL C
    .language_version:
      - 2
      - 0
    .max_flat_workgroup_size: 1024
    .name:           _ZN7rocprim17ROCPRIM_400000_NS6detail17trampoline_kernelINS0_14default_configENS1_25transform_config_selectorItLb0EEEZNS1_14transform_implILb0ES3_S5_NS0_18transform_iteratorINS0_17counting_iteratorImlEEZNS1_24adjacent_difference_implIS3_Lb1ELb0EPtSB_N6thrust23THRUST_200600_302600_NS4plusItEEEE10hipError_tPvRmT2_T3_mT4_P12ihipStream_tbEUlmE_tEESB_NS0_8identityIvEEEESG_SJ_SK_mSL_SN_bEUlT_E_NS1_11comp_targetILNS1_3genE10ELNS1_11target_archE1201ELNS1_3gpuE5ELNS1_3repE0EEENS1_30default_config_static_selectorELNS0_4arch9wavefront6targetE0EEEvT1_
    .private_segment_fixed_size: 0
    .sgpr_count:     0
    .sgpr_spill_count: 0
    .symbol:         _ZN7rocprim17ROCPRIM_400000_NS6detail17trampoline_kernelINS0_14default_configENS1_25transform_config_selectorItLb0EEEZNS1_14transform_implILb0ES3_S5_NS0_18transform_iteratorINS0_17counting_iteratorImlEEZNS1_24adjacent_difference_implIS3_Lb1ELb0EPtSB_N6thrust23THRUST_200600_302600_NS4plusItEEEE10hipError_tPvRmT2_T3_mT4_P12ihipStream_tbEUlmE_tEESB_NS0_8identityIvEEEESG_SJ_SK_mSL_SN_bEUlT_E_NS1_11comp_targetILNS1_3genE10ELNS1_11target_archE1201ELNS1_3gpuE5ELNS1_3repE0EEENS1_30default_config_static_selectorELNS0_4arch9wavefront6targetE0EEEvT1_.kd
    .uniform_work_group_size: 1
    .uses_dynamic_stack: false
    .vgpr_count:     0
    .vgpr_spill_count: 0
    .wavefront_size: 32
    .workgroup_processor_mode: 1
  - .args:
      - .offset:         0
        .size:           56
        .value_kind:     by_value
    .group_segment_fixed_size: 0
    .kernarg_segment_align: 8
    .kernarg_segment_size: 56
    .language:       OpenCL C
    .language_version:
      - 2
      - 0
    .max_flat_workgroup_size: 512
    .name:           _ZN7rocprim17ROCPRIM_400000_NS6detail17trampoline_kernelINS0_14default_configENS1_25transform_config_selectorItLb0EEEZNS1_14transform_implILb0ES3_S5_NS0_18transform_iteratorINS0_17counting_iteratorImlEEZNS1_24adjacent_difference_implIS3_Lb1ELb0EPtSB_N6thrust23THRUST_200600_302600_NS4plusItEEEE10hipError_tPvRmT2_T3_mT4_P12ihipStream_tbEUlmE_tEESB_NS0_8identityIvEEEESG_SJ_SK_mSL_SN_bEUlT_E_NS1_11comp_targetILNS1_3genE10ELNS1_11target_archE1200ELNS1_3gpuE4ELNS1_3repE0EEENS1_30default_config_static_selectorELNS0_4arch9wavefront6targetE0EEEvT1_
    .private_segment_fixed_size: 0
    .sgpr_count:     0
    .sgpr_spill_count: 0
    .symbol:         _ZN7rocprim17ROCPRIM_400000_NS6detail17trampoline_kernelINS0_14default_configENS1_25transform_config_selectorItLb0EEEZNS1_14transform_implILb0ES3_S5_NS0_18transform_iteratorINS0_17counting_iteratorImlEEZNS1_24adjacent_difference_implIS3_Lb1ELb0EPtSB_N6thrust23THRUST_200600_302600_NS4plusItEEEE10hipError_tPvRmT2_T3_mT4_P12ihipStream_tbEUlmE_tEESB_NS0_8identityIvEEEESG_SJ_SK_mSL_SN_bEUlT_E_NS1_11comp_targetILNS1_3genE10ELNS1_11target_archE1200ELNS1_3gpuE4ELNS1_3repE0EEENS1_30default_config_static_selectorELNS0_4arch9wavefront6targetE0EEEvT1_.kd
    .uniform_work_group_size: 1
    .uses_dynamic_stack: false
    .vgpr_count:     0
    .vgpr_spill_count: 0
    .wavefront_size: 32
    .workgroup_processor_mode: 1
  - .args:
      - .offset:         0
        .size:           56
        .value_kind:     by_value
      - .offset:         56
        .size:           4
        .value_kind:     hidden_block_count_x
      - .offset:         60
        .size:           4
        .value_kind:     hidden_block_count_y
      - .offset:         64
        .size:           4
        .value_kind:     hidden_block_count_z
      - .offset:         68
        .size:           2
        .value_kind:     hidden_group_size_x
      - .offset:         70
        .size:           2
        .value_kind:     hidden_group_size_y
      - .offset:         72
        .size:           2
        .value_kind:     hidden_group_size_z
      - .offset:         74
        .size:           2
        .value_kind:     hidden_remainder_x
      - .offset:         76
        .size:           2
        .value_kind:     hidden_remainder_y
      - .offset:         78
        .size:           2
        .value_kind:     hidden_remainder_z
      - .offset:         96
        .size:           8
        .value_kind:     hidden_global_offset_x
      - .offset:         104
        .size:           8
        .value_kind:     hidden_global_offset_y
      - .offset:         112
        .size:           8
        .value_kind:     hidden_global_offset_z
      - .offset:         120
        .size:           2
        .value_kind:     hidden_grid_dims
    .group_segment_fixed_size: 0
    .kernarg_segment_align: 8
    .kernarg_segment_size: 312
    .language:       OpenCL C
    .language_version:
      - 2
      - 0
    .max_flat_workgroup_size: 1024
    .name:           _ZN7rocprim17ROCPRIM_400000_NS6detail17trampoline_kernelINS0_14default_configENS1_25transform_config_selectorItLb0EEEZNS1_14transform_implILb0ES3_S5_NS0_18transform_iteratorINS0_17counting_iteratorImlEEZNS1_24adjacent_difference_implIS3_Lb1ELb0EPtSB_N6thrust23THRUST_200600_302600_NS4plusItEEEE10hipError_tPvRmT2_T3_mT4_P12ihipStream_tbEUlmE_tEESB_NS0_8identityIvEEEESG_SJ_SK_mSL_SN_bEUlT_E_NS1_11comp_targetILNS1_3genE9ELNS1_11target_archE1100ELNS1_3gpuE3ELNS1_3repE0EEENS1_30default_config_static_selectorELNS0_4arch9wavefront6targetE0EEEvT1_
    .private_segment_fixed_size: 0
    .sgpr_count:     20
    .sgpr_spill_count: 0
    .symbol:         _ZN7rocprim17ROCPRIM_400000_NS6detail17trampoline_kernelINS0_14default_configENS1_25transform_config_selectorItLb0EEEZNS1_14transform_implILb0ES3_S5_NS0_18transform_iteratorINS0_17counting_iteratorImlEEZNS1_24adjacent_difference_implIS3_Lb1ELb0EPtSB_N6thrust23THRUST_200600_302600_NS4plusItEEEE10hipError_tPvRmT2_T3_mT4_P12ihipStream_tbEUlmE_tEESB_NS0_8identityIvEEEESG_SJ_SK_mSL_SN_bEUlT_E_NS1_11comp_targetILNS1_3genE9ELNS1_11target_archE1100ELNS1_3gpuE3ELNS1_3repE0EEENS1_30default_config_static_selectorELNS0_4arch9wavefront6targetE0EEEvT1_.kd
    .uniform_work_group_size: 1
    .uses_dynamic_stack: false
    .vgpr_count:     8
    .vgpr_spill_count: 0
    .wavefront_size: 32
    .workgroup_processor_mode: 1
  - .args:
      - .offset:         0
        .size:           56
        .value_kind:     by_value
    .group_segment_fixed_size: 0
    .kernarg_segment_align: 8
    .kernarg_segment_size: 56
    .language:       OpenCL C
    .language_version:
      - 2
      - 0
    .max_flat_workgroup_size: 1024
    .name:           _ZN7rocprim17ROCPRIM_400000_NS6detail17trampoline_kernelINS0_14default_configENS1_25transform_config_selectorItLb0EEEZNS1_14transform_implILb0ES3_S5_NS0_18transform_iteratorINS0_17counting_iteratorImlEEZNS1_24adjacent_difference_implIS3_Lb1ELb0EPtSB_N6thrust23THRUST_200600_302600_NS4plusItEEEE10hipError_tPvRmT2_T3_mT4_P12ihipStream_tbEUlmE_tEESB_NS0_8identityIvEEEESG_SJ_SK_mSL_SN_bEUlT_E_NS1_11comp_targetILNS1_3genE8ELNS1_11target_archE1030ELNS1_3gpuE2ELNS1_3repE0EEENS1_30default_config_static_selectorELNS0_4arch9wavefront6targetE0EEEvT1_
    .private_segment_fixed_size: 0
    .sgpr_count:     0
    .sgpr_spill_count: 0
    .symbol:         _ZN7rocprim17ROCPRIM_400000_NS6detail17trampoline_kernelINS0_14default_configENS1_25transform_config_selectorItLb0EEEZNS1_14transform_implILb0ES3_S5_NS0_18transform_iteratorINS0_17counting_iteratorImlEEZNS1_24adjacent_difference_implIS3_Lb1ELb0EPtSB_N6thrust23THRUST_200600_302600_NS4plusItEEEE10hipError_tPvRmT2_T3_mT4_P12ihipStream_tbEUlmE_tEESB_NS0_8identityIvEEEESG_SJ_SK_mSL_SN_bEUlT_E_NS1_11comp_targetILNS1_3genE8ELNS1_11target_archE1030ELNS1_3gpuE2ELNS1_3repE0EEENS1_30default_config_static_selectorELNS0_4arch9wavefront6targetE0EEEvT1_.kd
    .uniform_work_group_size: 1
    .uses_dynamic_stack: false
    .vgpr_count:     0
    .vgpr_spill_count: 0
    .wavefront_size: 32
    .workgroup_processor_mode: 1
  - .args:
      - .offset:         0
        .size:           56
        .value_kind:     by_value
    .group_segment_fixed_size: 0
    .kernarg_segment_align: 8
    .kernarg_segment_size: 56
    .language:       OpenCL C
    .language_version:
      - 2
      - 0
    .max_flat_workgroup_size: 32
    .name:           _ZN7rocprim17ROCPRIM_400000_NS6detail17trampoline_kernelINS0_14default_configENS1_35adjacent_difference_config_selectorILb1EtEEZNS1_24adjacent_difference_implIS3_Lb1ELb0EPtS7_N6thrust23THRUST_200600_302600_NS4plusItEEEE10hipError_tPvRmT2_T3_mT4_P12ihipStream_tbEUlT_E_NS1_11comp_targetILNS1_3genE0ELNS1_11target_archE4294967295ELNS1_3gpuE0ELNS1_3repE0EEENS1_30default_config_static_selectorELNS0_4arch9wavefront6targetE0EEEvT1_
    .private_segment_fixed_size: 0
    .sgpr_count:     0
    .sgpr_spill_count: 0
    .symbol:         _ZN7rocprim17ROCPRIM_400000_NS6detail17trampoline_kernelINS0_14default_configENS1_35adjacent_difference_config_selectorILb1EtEEZNS1_24adjacent_difference_implIS3_Lb1ELb0EPtS7_N6thrust23THRUST_200600_302600_NS4plusItEEEE10hipError_tPvRmT2_T3_mT4_P12ihipStream_tbEUlT_E_NS1_11comp_targetILNS1_3genE0ELNS1_11target_archE4294967295ELNS1_3gpuE0ELNS1_3repE0EEENS1_30default_config_static_selectorELNS0_4arch9wavefront6targetE0EEEvT1_.kd
    .uniform_work_group_size: 1
    .uses_dynamic_stack: false
    .vgpr_count:     0
    .vgpr_spill_count: 0
    .wavefront_size: 32
    .workgroup_processor_mode: 1
  - .args:
      - .offset:         0
        .size:           56
        .value_kind:     by_value
    .group_segment_fixed_size: 0
    .kernarg_segment_align: 8
    .kernarg_segment_size: 56
    .language:       OpenCL C
    .language_version:
      - 2
      - 0
    .max_flat_workgroup_size: 512
    .name:           _ZN7rocprim17ROCPRIM_400000_NS6detail17trampoline_kernelINS0_14default_configENS1_35adjacent_difference_config_selectorILb1EtEEZNS1_24adjacent_difference_implIS3_Lb1ELb0EPtS7_N6thrust23THRUST_200600_302600_NS4plusItEEEE10hipError_tPvRmT2_T3_mT4_P12ihipStream_tbEUlT_E_NS1_11comp_targetILNS1_3genE10ELNS1_11target_archE1201ELNS1_3gpuE5ELNS1_3repE0EEENS1_30default_config_static_selectorELNS0_4arch9wavefront6targetE0EEEvT1_
    .private_segment_fixed_size: 0
    .sgpr_count:     0
    .sgpr_spill_count: 0
    .symbol:         _ZN7rocprim17ROCPRIM_400000_NS6detail17trampoline_kernelINS0_14default_configENS1_35adjacent_difference_config_selectorILb1EtEEZNS1_24adjacent_difference_implIS3_Lb1ELb0EPtS7_N6thrust23THRUST_200600_302600_NS4plusItEEEE10hipError_tPvRmT2_T3_mT4_P12ihipStream_tbEUlT_E_NS1_11comp_targetILNS1_3genE10ELNS1_11target_archE1201ELNS1_3gpuE5ELNS1_3repE0EEENS1_30default_config_static_selectorELNS0_4arch9wavefront6targetE0EEEvT1_.kd
    .uniform_work_group_size: 1
    .uses_dynamic_stack: false
    .vgpr_count:     0
    .vgpr_spill_count: 0
    .wavefront_size: 32
    .workgroup_processor_mode: 1
  - .args:
      - .offset:         0
        .size:           56
        .value_kind:     by_value
    .group_segment_fixed_size: 0
    .kernarg_segment_align: 8
    .kernarg_segment_size: 56
    .language:       OpenCL C
    .language_version:
      - 2
      - 0
    .max_flat_workgroup_size: 64
    .name:           _ZN7rocprim17ROCPRIM_400000_NS6detail17trampoline_kernelINS0_14default_configENS1_35adjacent_difference_config_selectorILb1EtEEZNS1_24adjacent_difference_implIS3_Lb1ELb0EPtS7_N6thrust23THRUST_200600_302600_NS4plusItEEEE10hipError_tPvRmT2_T3_mT4_P12ihipStream_tbEUlT_E_NS1_11comp_targetILNS1_3genE5ELNS1_11target_archE942ELNS1_3gpuE9ELNS1_3repE0EEENS1_30default_config_static_selectorELNS0_4arch9wavefront6targetE0EEEvT1_
    .private_segment_fixed_size: 0
    .sgpr_count:     0
    .sgpr_spill_count: 0
    .symbol:         _ZN7rocprim17ROCPRIM_400000_NS6detail17trampoline_kernelINS0_14default_configENS1_35adjacent_difference_config_selectorILb1EtEEZNS1_24adjacent_difference_implIS3_Lb1ELb0EPtS7_N6thrust23THRUST_200600_302600_NS4plusItEEEE10hipError_tPvRmT2_T3_mT4_P12ihipStream_tbEUlT_E_NS1_11comp_targetILNS1_3genE5ELNS1_11target_archE942ELNS1_3gpuE9ELNS1_3repE0EEENS1_30default_config_static_selectorELNS0_4arch9wavefront6targetE0EEEvT1_.kd
    .uniform_work_group_size: 1
    .uses_dynamic_stack: false
    .vgpr_count:     0
    .vgpr_spill_count: 0
    .wavefront_size: 32
    .workgroup_processor_mode: 1
  - .args:
      - .offset:         0
        .size:           56
        .value_kind:     by_value
    .group_segment_fixed_size: 0
    .kernarg_segment_align: 8
    .kernarg_segment_size: 56
    .language:       OpenCL C
    .language_version:
      - 2
      - 0
    .max_flat_workgroup_size: 64
    .name:           _ZN7rocprim17ROCPRIM_400000_NS6detail17trampoline_kernelINS0_14default_configENS1_35adjacent_difference_config_selectorILb1EtEEZNS1_24adjacent_difference_implIS3_Lb1ELb0EPtS7_N6thrust23THRUST_200600_302600_NS4plusItEEEE10hipError_tPvRmT2_T3_mT4_P12ihipStream_tbEUlT_E_NS1_11comp_targetILNS1_3genE4ELNS1_11target_archE910ELNS1_3gpuE8ELNS1_3repE0EEENS1_30default_config_static_selectorELNS0_4arch9wavefront6targetE0EEEvT1_
    .private_segment_fixed_size: 0
    .sgpr_count:     0
    .sgpr_spill_count: 0
    .symbol:         _ZN7rocprim17ROCPRIM_400000_NS6detail17trampoline_kernelINS0_14default_configENS1_35adjacent_difference_config_selectorILb1EtEEZNS1_24adjacent_difference_implIS3_Lb1ELb0EPtS7_N6thrust23THRUST_200600_302600_NS4plusItEEEE10hipError_tPvRmT2_T3_mT4_P12ihipStream_tbEUlT_E_NS1_11comp_targetILNS1_3genE4ELNS1_11target_archE910ELNS1_3gpuE8ELNS1_3repE0EEENS1_30default_config_static_selectorELNS0_4arch9wavefront6targetE0EEEvT1_.kd
    .uniform_work_group_size: 1
    .uses_dynamic_stack: false
    .vgpr_count:     0
    .vgpr_spill_count: 0
    .wavefront_size: 32
    .workgroup_processor_mode: 1
  - .args:
      - .offset:         0
        .size:           56
        .value_kind:     by_value
    .group_segment_fixed_size: 0
    .kernarg_segment_align: 8
    .kernarg_segment_size: 56
    .language:       OpenCL C
    .language_version:
      - 2
      - 0
    .max_flat_workgroup_size: 32
    .name:           _ZN7rocprim17ROCPRIM_400000_NS6detail17trampoline_kernelINS0_14default_configENS1_35adjacent_difference_config_selectorILb1EtEEZNS1_24adjacent_difference_implIS3_Lb1ELb0EPtS7_N6thrust23THRUST_200600_302600_NS4plusItEEEE10hipError_tPvRmT2_T3_mT4_P12ihipStream_tbEUlT_E_NS1_11comp_targetILNS1_3genE3ELNS1_11target_archE908ELNS1_3gpuE7ELNS1_3repE0EEENS1_30default_config_static_selectorELNS0_4arch9wavefront6targetE0EEEvT1_
    .private_segment_fixed_size: 0
    .sgpr_count:     0
    .sgpr_spill_count: 0
    .symbol:         _ZN7rocprim17ROCPRIM_400000_NS6detail17trampoline_kernelINS0_14default_configENS1_35adjacent_difference_config_selectorILb1EtEEZNS1_24adjacent_difference_implIS3_Lb1ELb0EPtS7_N6thrust23THRUST_200600_302600_NS4plusItEEEE10hipError_tPvRmT2_T3_mT4_P12ihipStream_tbEUlT_E_NS1_11comp_targetILNS1_3genE3ELNS1_11target_archE908ELNS1_3gpuE7ELNS1_3repE0EEENS1_30default_config_static_selectorELNS0_4arch9wavefront6targetE0EEEvT1_.kd
    .uniform_work_group_size: 1
    .uses_dynamic_stack: false
    .vgpr_count:     0
    .vgpr_spill_count: 0
    .wavefront_size: 32
    .workgroup_processor_mode: 1
  - .args:
      - .offset:         0
        .size:           56
        .value_kind:     by_value
    .group_segment_fixed_size: 0
    .kernarg_segment_align: 8
    .kernarg_segment_size: 56
    .language:       OpenCL C
    .language_version:
      - 2
      - 0
    .max_flat_workgroup_size: 64
    .name:           _ZN7rocprim17ROCPRIM_400000_NS6detail17trampoline_kernelINS0_14default_configENS1_35adjacent_difference_config_selectorILb1EtEEZNS1_24adjacent_difference_implIS3_Lb1ELb0EPtS7_N6thrust23THRUST_200600_302600_NS4plusItEEEE10hipError_tPvRmT2_T3_mT4_P12ihipStream_tbEUlT_E_NS1_11comp_targetILNS1_3genE2ELNS1_11target_archE906ELNS1_3gpuE6ELNS1_3repE0EEENS1_30default_config_static_selectorELNS0_4arch9wavefront6targetE0EEEvT1_
    .private_segment_fixed_size: 0
    .sgpr_count:     0
    .sgpr_spill_count: 0
    .symbol:         _ZN7rocprim17ROCPRIM_400000_NS6detail17trampoline_kernelINS0_14default_configENS1_35adjacent_difference_config_selectorILb1EtEEZNS1_24adjacent_difference_implIS3_Lb1ELb0EPtS7_N6thrust23THRUST_200600_302600_NS4plusItEEEE10hipError_tPvRmT2_T3_mT4_P12ihipStream_tbEUlT_E_NS1_11comp_targetILNS1_3genE2ELNS1_11target_archE906ELNS1_3gpuE6ELNS1_3repE0EEENS1_30default_config_static_selectorELNS0_4arch9wavefront6targetE0EEEvT1_.kd
    .uniform_work_group_size: 1
    .uses_dynamic_stack: false
    .vgpr_count:     0
    .vgpr_spill_count: 0
    .wavefront_size: 32
    .workgroup_processor_mode: 1
  - .args:
      - .offset:         0
        .size:           56
        .value_kind:     by_value
    .group_segment_fixed_size: 5888
    .kernarg_segment_align: 8
    .kernarg_segment_size: 56
    .language:       OpenCL C
    .language_version:
      - 2
      - 0
    .max_flat_workgroup_size: 128
    .name:           _ZN7rocprim17ROCPRIM_400000_NS6detail17trampoline_kernelINS0_14default_configENS1_35adjacent_difference_config_selectorILb1EtEEZNS1_24adjacent_difference_implIS3_Lb1ELb0EPtS7_N6thrust23THRUST_200600_302600_NS4plusItEEEE10hipError_tPvRmT2_T3_mT4_P12ihipStream_tbEUlT_E_NS1_11comp_targetILNS1_3genE9ELNS1_11target_archE1100ELNS1_3gpuE3ELNS1_3repE0EEENS1_30default_config_static_selectorELNS0_4arch9wavefront6targetE0EEEvT1_
    .private_segment_fixed_size: 0
    .sgpr_count:     28
    .sgpr_spill_count: 0
    .symbol:         _ZN7rocprim17ROCPRIM_400000_NS6detail17trampoline_kernelINS0_14default_configENS1_35adjacent_difference_config_selectorILb1EtEEZNS1_24adjacent_difference_implIS3_Lb1ELb0EPtS7_N6thrust23THRUST_200600_302600_NS4plusItEEEE10hipError_tPvRmT2_T3_mT4_P12ihipStream_tbEUlT_E_NS1_11comp_targetILNS1_3genE9ELNS1_11target_archE1100ELNS1_3gpuE3ELNS1_3repE0EEENS1_30default_config_static_selectorELNS0_4arch9wavefront6targetE0EEEvT1_.kd
    .uniform_work_group_size: 1
    .uses_dynamic_stack: false
    .vgpr_count:     41
    .vgpr_spill_count: 0
    .wavefront_size: 32
    .workgroup_processor_mode: 1
  - .args:
      - .offset:         0
        .size:           56
        .value_kind:     by_value
    .group_segment_fixed_size: 0
    .kernarg_segment_align: 8
    .kernarg_segment_size: 56
    .language:       OpenCL C
    .language_version:
      - 2
      - 0
    .max_flat_workgroup_size: 512
    .name:           _ZN7rocprim17ROCPRIM_400000_NS6detail17trampoline_kernelINS0_14default_configENS1_35adjacent_difference_config_selectorILb1EtEEZNS1_24adjacent_difference_implIS3_Lb1ELb0EPtS7_N6thrust23THRUST_200600_302600_NS4plusItEEEE10hipError_tPvRmT2_T3_mT4_P12ihipStream_tbEUlT_E_NS1_11comp_targetILNS1_3genE8ELNS1_11target_archE1030ELNS1_3gpuE2ELNS1_3repE0EEENS1_30default_config_static_selectorELNS0_4arch9wavefront6targetE0EEEvT1_
    .private_segment_fixed_size: 0
    .sgpr_count:     0
    .sgpr_spill_count: 0
    .symbol:         _ZN7rocprim17ROCPRIM_400000_NS6detail17trampoline_kernelINS0_14default_configENS1_35adjacent_difference_config_selectorILb1EtEEZNS1_24adjacent_difference_implIS3_Lb1ELb0EPtS7_N6thrust23THRUST_200600_302600_NS4plusItEEEE10hipError_tPvRmT2_T3_mT4_P12ihipStream_tbEUlT_E_NS1_11comp_targetILNS1_3genE8ELNS1_11target_archE1030ELNS1_3gpuE2ELNS1_3repE0EEENS1_30default_config_static_selectorELNS0_4arch9wavefront6targetE0EEEvT1_.kd
    .uniform_work_group_size: 1
    .uses_dynamic_stack: false
    .vgpr_count:     0
    .vgpr_spill_count: 0
    .wavefront_size: 32
    .workgroup_processor_mode: 1
  - .args:
      - .offset:         0
        .size:           16
        .value_kind:     by_value
      - .offset:         16
        .size:           8
        .value_kind:     by_value
      - .offset:         24
        .size:           8
        .value_kind:     by_value
    .group_segment_fixed_size: 0
    .kernarg_segment_align: 8
    .kernarg_segment_size: 32
    .language:       OpenCL C
    .language_version:
      - 2
      - 0
    .max_flat_workgroup_size: 256
    .name:           _ZN6thrust23THRUST_200600_302600_NS11hip_rocprim14__parallel_for6kernelILj256ENS1_20__uninitialized_fill7functorINS0_10device_ptrIxEExEEmLj1EEEvT0_T1_SA_
    .private_segment_fixed_size: 0
    .sgpr_count:     18
    .sgpr_spill_count: 0
    .symbol:         _ZN6thrust23THRUST_200600_302600_NS11hip_rocprim14__parallel_for6kernelILj256ENS1_20__uninitialized_fill7functorINS0_10device_ptrIxEExEEmLj1EEEvT0_T1_SA_.kd
    .uniform_work_group_size: 1
    .uses_dynamic_stack: false
    .vgpr_count:     4
    .vgpr_spill_count: 0
    .wavefront_size: 32
    .workgroup_processor_mode: 1
  - .args:
      - .offset:         0
        .size:           56
        .value_kind:     by_value
    .group_segment_fixed_size: 0
    .kernarg_segment_align: 8
    .kernarg_segment_size: 56
    .language:       OpenCL C
    .language_version:
      - 2
      - 0
    .max_flat_workgroup_size: 128
    .name:           _ZN7rocprim17ROCPRIM_400000_NS6detail17trampoline_kernelINS0_14default_configENS1_35adjacent_difference_config_selectorILb0ExEEZNS1_24adjacent_difference_implIS3_Lb0ELb0EPxS7_N6thrust23THRUST_200600_302600_NS5minusIxEEEE10hipError_tPvRmT2_T3_mT4_P12ihipStream_tbEUlT_E_NS1_11comp_targetILNS1_3genE0ELNS1_11target_archE4294967295ELNS1_3gpuE0ELNS1_3repE0EEENS1_30default_config_static_selectorELNS0_4arch9wavefront6targetE0EEEvT1_
    .private_segment_fixed_size: 0
    .sgpr_count:     0
    .sgpr_spill_count: 0
    .symbol:         _ZN7rocprim17ROCPRIM_400000_NS6detail17trampoline_kernelINS0_14default_configENS1_35adjacent_difference_config_selectorILb0ExEEZNS1_24adjacent_difference_implIS3_Lb0ELb0EPxS7_N6thrust23THRUST_200600_302600_NS5minusIxEEEE10hipError_tPvRmT2_T3_mT4_P12ihipStream_tbEUlT_E_NS1_11comp_targetILNS1_3genE0ELNS1_11target_archE4294967295ELNS1_3gpuE0ELNS1_3repE0EEENS1_30default_config_static_selectorELNS0_4arch9wavefront6targetE0EEEvT1_.kd
    .uniform_work_group_size: 1
    .uses_dynamic_stack: false
    .vgpr_count:     0
    .vgpr_spill_count: 0
    .wavefront_size: 32
    .workgroup_processor_mode: 1
  - .args:
      - .offset:         0
        .size:           56
        .value_kind:     by_value
    .group_segment_fixed_size: 0
    .kernarg_segment_align: 8
    .kernarg_segment_size: 56
    .language:       OpenCL C
    .language_version:
      - 2
      - 0
    .max_flat_workgroup_size: 128
    .name:           _ZN7rocprim17ROCPRIM_400000_NS6detail17trampoline_kernelINS0_14default_configENS1_35adjacent_difference_config_selectorILb0ExEEZNS1_24adjacent_difference_implIS3_Lb0ELb0EPxS7_N6thrust23THRUST_200600_302600_NS5minusIxEEEE10hipError_tPvRmT2_T3_mT4_P12ihipStream_tbEUlT_E_NS1_11comp_targetILNS1_3genE10ELNS1_11target_archE1201ELNS1_3gpuE5ELNS1_3repE0EEENS1_30default_config_static_selectorELNS0_4arch9wavefront6targetE0EEEvT1_
    .private_segment_fixed_size: 0
    .sgpr_count:     0
    .sgpr_spill_count: 0
    .symbol:         _ZN7rocprim17ROCPRIM_400000_NS6detail17trampoline_kernelINS0_14default_configENS1_35adjacent_difference_config_selectorILb0ExEEZNS1_24adjacent_difference_implIS3_Lb0ELb0EPxS7_N6thrust23THRUST_200600_302600_NS5minusIxEEEE10hipError_tPvRmT2_T3_mT4_P12ihipStream_tbEUlT_E_NS1_11comp_targetILNS1_3genE10ELNS1_11target_archE1201ELNS1_3gpuE5ELNS1_3repE0EEENS1_30default_config_static_selectorELNS0_4arch9wavefront6targetE0EEEvT1_.kd
    .uniform_work_group_size: 1
    .uses_dynamic_stack: false
    .vgpr_count:     0
    .vgpr_spill_count: 0
    .wavefront_size: 32
    .workgroup_processor_mode: 1
  - .args:
      - .offset:         0
        .size:           56
        .value_kind:     by_value
    .group_segment_fixed_size: 0
    .kernarg_segment_align: 8
    .kernarg_segment_size: 56
    .language:       OpenCL C
    .language_version:
      - 2
      - 0
    .max_flat_workgroup_size: 64
    .name:           _ZN7rocprim17ROCPRIM_400000_NS6detail17trampoline_kernelINS0_14default_configENS1_35adjacent_difference_config_selectorILb0ExEEZNS1_24adjacent_difference_implIS3_Lb0ELb0EPxS7_N6thrust23THRUST_200600_302600_NS5minusIxEEEE10hipError_tPvRmT2_T3_mT4_P12ihipStream_tbEUlT_E_NS1_11comp_targetILNS1_3genE5ELNS1_11target_archE942ELNS1_3gpuE9ELNS1_3repE0EEENS1_30default_config_static_selectorELNS0_4arch9wavefront6targetE0EEEvT1_
    .private_segment_fixed_size: 0
    .sgpr_count:     0
    .sgpr_spill_count: 0
    .symbol:         _ZN7rocprim17ROCPRIM_400000_NS6detail17trampoline_kernelINS0_14default_configENS1_35adjacent_difference_config_selectorILb0ExEEZNS1_24adjacent_difference_implIS3_Lb0ELb0EPxS7_N6thrust23THRUST_200600_302600_NS5minusIxEEEE10hipError_tPvRmT2_T3_mT4_P12ihipStream_tbEUlT_E_NS1_11comp_targetILNS1_3genE5ELNS1_11target_archE942ELNS1_3gpuE9ELNS1_3repE0EEENS1_30default_config_static_selectorELNS0_4arch9wavefront6targetE0EEEvT1_.kd
    .uniform_work_group_size: 1
    .uses_dynamic_stack: false
    .vgpr_count:     0
    .vgpr_spill_count: 0
    .wavefront_size: 32
    .workgroup_processor_mode: 1
  - .args:
      - .offset:         0
        .size:           56
        .value_kind:     by_value
    .group_segment_fixed_size: 0
    .kernarg_segment_align: 8
    .kernarg_segment_size: 56
    .language:       OpenCL C
    .language_version:
      - 2
      - 0
    .max_flat_workgroup_size: 256
    .name:           _ZN7rocprim17ROCPRIM_400000_NS6detail17trampoline_kernelINS0_14default_configENS1_35adjacent_difference_config_selectorILb0ExEEZNS1_24adjacent_difference_implIS3_Lb0ELb0EPxS7_N6thrust23THRUST_200600_302600_NS5minusIxEEEE10hipError_tPvRmT2_T3_mT4_P12ihipStream_tbEUlT_E_NS1_11comp_targetILNS1_3genE4ELNS1_11target_archE910ELNS1_3gpuE8ELNS1_3repE0EEENS1_30default_config_static_selectorELNS0_4arch9wavefront6targetE0EEEvT1_
    .private_segment_fixed_size: 0
    .sgpr_count:     0
    .sgpr_spill_count: 0
    .symbol:         _ZN7rocprim17ROCPRIM_400000_NS6detail17trampoline_kernelINS0_14default_configENS1_35adjacent_difference_config_selectorILb0ExEEZNS1_24adjacent_difference_implIS3_Lb0ELb0EPxS7_N6thrust23THRUST_200600_302600_NS5minusIxEEEE10hipError_tPvRmT2_T3_mT4_P12ihipStream_tbEUlT_E_NS1_11comp_targetILNS1_3genE4ELNS1_11target_archE910ELNS1_3gpuE8ELNS1_3repE0EEENS1_30default_config_static_selectorELNS0_4arch9wavefront6targetE0EEEvT1_.kd
    .uniform_work_group_size: 1
    .uses_dynamic_stack: false
    .vgpr_count:     0
    .vgpr_spill_count: 0
    .wavefront_size: 32
    .workgroup_processor_mode: 1
  - .args:
      - .offset:         0
        .size:           56
        .value_kind:     by_value
    .group_segment_fixed_size: 0
    .kernarg_segment_align: 8
    .kernarg_segment_size: 56
    .language:       OpenCL C
    .language_version:
      - 2
      - 0
    .max_flat_workgroup_size: 128
    .name:           _ZN7rocprim17ROCPRIM_400000_NS6detail17trampoline_kernelINS0_14default_configENS1_35adjacent_difference_config_selectorILb0ExEEZNS1_24adjacent_difference_implIS3_Lb0ELb0EPxS7_N6thrust23THRUST_200600_302600_NS5minusIxEEEE10hipError_tPvRmT2_T3_mT4_P12ihipStream_tbEUlT_E_NS1_11comp_targetILNS1_3genE3ELNS1_11target_archE908ELNS1_3gpuE7ELNS1_3repE0EEENS1_30default_config_static_selectorELNS0_4arch9wavefront6targetE0EEEvT1_
    .private_segment_fixed_size: 0
    .sgpr_count:     0
    .sgpr_spill_count: 0
    .symbol:         _ZN7rocprim17ROCPRIM_400000_NS6detail17trampoline_kernelINS0_14default_configENS1_35adjacent_difference_config_selectorILb0ExEEZNS1_24adjacent_difference_implIS3_Lb0ELb0EPxS7_N6thrust23THRUST_200600_302600_NS5minusIxEEEE10hipError_tPvRmT2_T3_mT4_P12ihipStream_tbEUlT_E_NS1_11comp_targetILNS1_3genE3ELNS1_11target_archE908ELNS1_3gpuE7ELNS1_3repE0EEENS1_30default_config_static_selectorELNS0_4arch9wavefront6targetE0EEEvT1_.kd
    .uniform_work_group_size: 1
    .uses_dynamic_stack: false
    .vgpr_count:     0
    .vgpr_spill_count: 0
    .wavefront_size: 32
    .workgroup_processor_mode: 1
  - .args:
      - .offset:         0
        .size:           56
        .value_kind:     by_value
    .group_segment_fixed_size: 0
    .kernarg_segment_align: 8
    .kernarg_segment_size: 56
    .language:       OpenCL C
    .language_version:
      - 2
      - 0
    .max_flat_workgroup_size: 128
    .name:           _ZN7rocprim17ROCPRIM_400000_NS6detail17trampoline_kernelINS0_14default_configENS1_35adjacent_difference_config_selectorILb0ExEEZNS1_24adjacent_difference_implIS3_Lb0ELb0EPxS7_N6thrust23THRUST_200600_302600_NS5minusIxEEEE10hipError_tPvRmT2_T3_mT4_P12ihipStream_tbEUlT_E_NS1_11comp_targetILNS1_3genE2ELNS1_11target_archE906ELNS1_3gpuE6ELNS1_3repE0EEENS1_30default_config_static_selectorELNS0_4arch9wavefront6targetE0EEEvT1_
    .private_segment_fixed_size: 0
    .sgpr_count:     0
    .sgpr_spill_count: 0
    .symbol:         _ZN7rocprim17ROCPRIM_400000_NS6detail17trampoline_kernelINS0_14default_configENS1_35adjacent_difference_config_selectorILb0ExEEZNS1_24adjacent_difference_implIS3_Lb0ELb0EPxS7_N6thrust23THRUST_200600_302600_NS5minusIxEEEE10hipError_tPvRmT2_T3_mT4_P12ihipStream_tbEUlT_E_NS1_11comp_targetILNS1_3genE2ELNS1_11target_archE906ELNS1_3gpuE6ELNS1_3repE0EEENS1_30default_config_static_selectorELNS0_4arch9wavefront6targetE0EEEvT1_.kd
    .uniform_work_group_size: 1
    .uses_dynamic_stack: false
    .vgpr_count:     0
    .vgpr_spill_count: 0
    .wavefront_size: 32
    .workgroup_processor_mode: 1
  - .args:
      - .offset:         0
        .size:           56
        .value_kind:     by_value
    .group_segment_fixed_size: 8192
    .kernarg_segment_align: 8
    .kernarg_segment_size: 56
    .language:       OpenCL C
    .language_version:
      - 2
      - 0
    .max_flat_workgroup_size: 512
    .name:           _ZN7rocprim17ROCPRIM_400000_NS6detail17trampoline_kernelINS0_14default_configENS1_35adjacent_difference_config_selectorILb0ExEEZNS1_24adjacent_difference_implIS3_Lb0ELb0EPxS7_N6thrust23THRUST_200600_302600_NS5minusIxEEEE10hipError_tPvRmT2_T3_mT4_P12ihipStream_tbEUlT_E_NS1_11comp_targetILNS1_3genE9ELNS1_11target_archE1100ELNS1_3gpuE3ELNS1_3repE0EEENS1_30default_config_static_selectorELNS0_4arch9wavefront6targetE0EEEvT1_
    .private_segment_fixed_size: 0
    .sgpr_count:     22
    .sgpr_spill_count: 0
    .symbol:         _ZN7rocprim17ROCPRIM_400000_NS6detail17trampoline_kernelINS0_14default_configENS1_35adjacent_difference_config_selectorILb0ExEEZNS1_24adjacent_difference_implIS3_Lb0ELb0EPxS7_N6thrust23THRUST_200600_302600_NS5minusIxEEEE10hipError_tPvRmT2_T3_mT4_P12ihipStream_tbEUlT_E_NS1_11comp_targetILNS1_3genE9ELNS1_11target_archE1100ELNS1_3gpuE3ELNS1_3repE0EEENS1_30default_config_static_selectorELNS0_4arch9wavefront6targetE0EEEvT1_.kd
    .uniform_work_group_size: 1
    .uses_dynamic_stack: false
    .vgpr_count:     6
    .vgpr_spill_count: 0
    .wavefront_size: 32
    .workgroup_processor_mode: 1
  - .args:
      - .offset:         0
        .size:           56
        .value_kind:     by_value
    .group_segment_fixed_size: 0
    .kernarg_segment_align: 8
    .kernarg_segment_size: 56
    .language:       OpenCL C
    .language_version:
      - 2
      - 0
    .max_flat_workgroup_size: 1024
    .name:           _ZN7rocprim17ROCPRIM_400000_NS6detail17trampoline_kernelINS0_14default_configENS1_35adjacent_difference_config_selectorILb0ExEEZNS1_24adjacent_difference_implIS3_Lb0ELb0EPxS7_N6thrust23THRUST_200600_302600_NS5minusIxEEEE10hipError_tPvRmT2_T3_mT4_P12ihipStream_tbEUlT_E_NS1_11comp_targetILNS1_3genE8ELNS1_11target_archE1030ELNS1_3gpuE2ELNS1_3repE0EEENS1_30default_config_static_selectorELNS0_4arch9wavefront6targetE0EEEvT1_
    .private_segment_fixed_size: 0
    .sgpr_count:     0
    .sgpr_spill_count: 0
    .symbol:         _ZN7rocprim17ROCPRIM_400000_NS6detail17trampoline_kernelINS0_14default_configENS1_35adjacent_difference_config_selectorILb0ExEEZNS1_24adjacent_difference_implIS3_Lb0ELb0EPxS7_N6thrust23THRUST_200600_302600_NS5minusIxEEEE10hipError_tPvRmT2_T3_mT4_P12ihipStream_tbEUlT_E_NS1_11comp_targetILNS1_3genE8ELNS1_11target_archE1030ELNS1_3gpuE2ELNS1_3repE0EEENS1_30default_config_static_selectorELNS0_4arch9wavefront6targetE0EEEvT1_.kd
    .uniform_work_group_size: 1
    .uses_dynamic_stack: false
    .vgpr_count:     0
    .vgpr_spill_count: 0
    .wavefront_size: 32
    .workgroup_processor_mode: 1
  - .args:
      - .offset:         0
        .size:           56
        .value_kind:     by_value
    .group_segment_fixed_size: 0
    .kernarg_segment_align: 8
    .kernarg_segment_size: 56
    .language:       OpenCL C
    .language_version:
      - 2
      - 0
    .max_flat_workgroup_size: 128
    .name:           _ZN7rocprim17ROCPRIM_400000_NS6detail17trampoline_kernelINS0_14default_configENS1_25transform_config_selectorIxLb0EEEZNS1_14transform_implILb0ES3_S5_NS0_18transform_iteratorINS0_17counting_iteratorImlEEZNS1_24adjacent_difference_implIS3_Lb1ELb0EPxSB_N6thrust23THRUST_200600_302600_NS5minusIxEEEE10hipError_tPvRmT2_T3_mT4_P12ihipStream_tbEUlmE_xEESB_NS0_8identityIvEEEESG_SJ_SK_mSL_SN_bEUlT_E_NS1_11comp_targetILNS1_3genE0ELNS1_11target_archE4294967295ELNS1_3gpuE0ELNS1_3repE0EEENS1_30default_config_static_selectorELNS0_4arch9wavefront6targetE0EEEvT1_
    .private_segment_fixed_size: 0
    .sgpr_count:     0
    .sgpr_spill_count: 0
    .symbol:         _ZN7rocprim17ROCPRIM_400000_NS6detail17trampoline_kernelINS0_14default_configENS1_25transform_config_selectorIxLb0EEEZNS1_14transform_implILb0ES3_S5_NS0_18transform_iteratorINS0_17counting_iteratorImlEEZNS1_24adjacent_difference_implIS3_Lb1ELb0EPxSB_N6thrust23THRUST_200600_302600_NS5minusIxEEEE10hipError_tPvRmT2_T3_mT4_P12ihipStream_tbEUlmE_xEESB_NS0_8identityIvEEEESG_SJ_SK_mSL_SN_bEUlT_E_NS1_11comp_targetILNS1_3genE0ELNS1_11target_archE4294967295ELNS1_3gpuE0ELNS1_3repE0EEENS1_30default_config_static_selectorELNS0_4arch9wavefront6targetE0EEEvT1_.kd
    .uniform_work_group_size: 1
    .uses_dynamic_stack: false
    .vgpr_count:     0
    .vgpr_spill_count: 0
    .wavefront_size: 32
    .workgroup_processor_mode: 1
  - .args:
      - .offset:         0
        .size:           56
        .value_kind:     by_value
    .group_segment_fixed_size: 0
    .kernarg_segment_align: 8
    .kernarg_segment_size: 56
    .language:       OpenCL C
    .language_version:
      - 2
      - 0
    .max_flat_workgroup_size: 512
    .name:           _ZN7rocprim17ROCPRIM_400000_NS6detail17trampoline_kernelINS0_14default_configENS1_25transform_config_selectorIxLb0EEEZNS1_14transform_implILb0ES3_S5_NS0_18transform_iteratorINS0_17counting_iteratorImlEEZNS1_24adjacent_difference_implIS3_Lb1ELb0EPxSB_N6thrust23THRUST_200600_302600_NS5minusIxEEEE10hipError_tPvRmT2_T3_mT4_P12ihipStream_tbEUlmE_xEESB_NS0_8identityIvEEEESG_SJ_SK_mSL_SN_bEUlT_E_NS1_11comp_targetILNS1_3genE5ELNS1_11target_archE942ELNS1_3gpuE9ELNS1_3repE0EEENS1_30default_config_static_selectorELNS0_4arch9wavefront6targetE0EEEvT1_
    .private_segment_fixed_size: 0
    .sgpr_count:     0
    .sgpr_spill_count: 0
    .symbol:         _ZN7rocprim17ROCPRIM_400000_NS6detail17trampoline_kernelINS0_14default_configENS1_25transform_config_selectorIxLb0EEEZNS1_14transform_implILb0ES3_S5_NS0_18transform_iteratorINS0_17counting_iteratorImlEEZNS1_24adjacent_difference_implIS3_Lb1ELb0EPxSB_N6thrust23THRUST_200600_302600_NS5minusIxEEEE10hipError_tPvRmT2_T3_mT4_P12ihipStream_tbEUlmE_xEESB_NS0_8identityIvEEEESG_SJ_SK_mSL_SN_bEUlT_E_NS1_11comp_targetILNS1_3genE5ELNS1_11target_archE942ELNS1_3gpuE9ELNS1_3repE0EEENS1_30default_config_static_selectorELNS0_4arch9wavefront6targetE0EEEvT1_.kd
    .uniform_work_group_size: 1
    .uses_dynamic_stack: false
    .vgpr_count:     0
    .vgpr_spill_count: 0
    .wavefront_size: 32
    .workgroup_processor_mode: 1
  - .args:
      - .offset:         0
        .size:           56
        .value_kind:     by_value
    .group_segment_fixed_size: 0
    .kernarg_segment_align: 8
    .kernarg_segment_size: 56
    .language:       OpenCL C
    .language_version:
      - 2
      - 0
    .max_flat_workgroup_size: 256
    .name:           _ZN7rocprim17ROCPRIM_400000_NS6detail17trampoline_kernelINS0_14default_configENS1_25transform_config_selectorIxLb0EEEZNS1_14transform_implILb0ES3_S5_NS0_18transform_iteratorINS0_17counting_iteratorImlEEZNS1_24adjacent_difference_implIS3_Lb1ELb0EPxSB_N6thrust23THRUST_200600_302600_NS5minusIxEEEE10hipError_tPvRmT2_T3_mT4_P12ihipStream_tbEUlmE_xEESB_NS0_8identityIvEEEESG_SJ_SK_mSL_SN_bEUlT_E_NS1_11comp_targetILNS1_3genE4ELNS1_11target_archE910ELNS1_3gpuE8ELNS1_3repE0EEENS1_30default_config_static_selectorELNS0_4arch9wavefront6targetE0EEEvT1_
    .private_segment_fixed_size: 0
    .sgpr_count:     0
    .sgpr_spill_count: 0
    .symbol:         _ZN7rocprim17ROCPRIM_400000_NS6detail17trampoline_kernelINS0_14default_configENS1_25transform_config_selectorIxLb0EEEZNS1_14transform_implILb0ES3_S5_NS0_18transform_iteratorINS0_17counting_iteratorImlEEZNS1_24adjacent_difference_implIS3_Lb1ELb0EPxSB_N6thrust23THRUST_200600_302600_NS5minusIxEEEE10hipError_tPvRmT2_T3_mT4_P12ihipStream_tbEUlmE_xEESB_NS0_8identityIvEEEESG_SJ_SK_mSL_SN_bEUlT_E_NS1_11comp_targetILNS1_3genE4ELNS1_11target_archE910ELNS1_3gpuE8ELNS1_3repE0EEENS1_30default_config_static_selectorELNS0_4arch9wavefront6targetE0EEEvT1_.kd
    .uniform_work_group_size: 1
    .uses_dynamic_stack: false
    .vgpr_count:     0
    .vgpr_spill_count: 0
    .wavefront_size: 32
    .workgroup_processor_mode: 1
  - .args:
      - .offset:         0
        .size:           56
        .value_kind:     by_value
    .group_segment_fixed_size: 0
    .kernarg_segment_align: 8
    .kernarg_segment_size: 56
    .language:       OpenCL C
    .language_version:
      - 2
      - 0
    .max_flat_workgroup_size: 128
    .name:           _ZN7rocprim17ROCPRIM_400000_NS6detail17trampoline_kernelINS0_14default_configENS1_25transform_config_selectorIxLb0EEEZNS1_14transform_implILb0ES3_S5_NS0_18transform_iteratorINS0_17counting_iteratorImlEEZNS1_24adjacent_difference_implIS3_Lb1ELb0EPxSB_N6thrust23THRUST_200600_302600_NS5minusIxEEEE10hipError_tPvRmT2_T3_mT4_P12ihipStream_tbEUlmE_xEESB_NS0_8identityIvEEEESG_SJ_SK_mSL_SN_bEUlT_E_NS1_11comp_targetILNS1_3genE3ELNS1_11target_archE908ELNS1_3gpuE7ELNS1_3repE0EEENS1_30default_config_static_selectorELNS0_4arch9wavefront6targetE0EEEvT1_
    .private_segment_fixed_size: 0
    .sgpr_count:     0
    .sgpr_spill_count: 0
    .symbol:         _ZN7rocprim17ROCPRIM_400000_NS6detail17trampoline_kernelINS0_14default_configENS1_25transform_config_selectorIxLb0EEEZNS1_14transform_implILb0ES3_S5_NS0_18transform_iteratorINS0_17counting_iteratorImlEEZNS1_24adjacent_difference_implIS3_Lb1ELb0EPxSB_N6thrust23THRUST_200600_302600_NS5minusIxEEEE10hipError_tPvRmT2_T3_mT4_P12ihipStream_tbEUlmE_xEESB_NS0_8identityIvEEEESG_SJ_SK_mSL_SN_bEUlT_E_NS1_11comp_targetILNS1_3genE3ELNS1_11target_archE908ELNS1_3gpuE7ELNS1_3repE0EEENS1_30default_config_static_selectorELNS0_4arch9wavefront6targetE0EEEvT1_.kd
    .uniform_work_group_size: 1
    .uses_dynamic_stack: false
    .vgpr_count:     0
    .vgpr_spill_count: 0
    .wavefront_size: 32
    .workgroup_processor_mode: 1
  - .args:
      - .offset:         0
        .size:           56
        .value_kind:     by_value
    .group_segment_fixed_size: 0
    .kernarg_segment_align: 8
    .kernarg_segment_size: 56
    .language:       OpenCL C
    .language_version:
      - 2
      - 0
    .max_flat_workgroup_size: 512
    .name:           _ZN7rocprim17ROCPRIM_400000_NS6detail17trampoline_kernelINS0_14default_configENS1_25transform_config_selectorIxLb0EEEZNS1_14transform_implILb0ES3_S5_NS0_18transform_iteratorINS0_17counting_iteratorImlEEZNS1_24adjacent_difference_implIS3_Lb1ELb0EPxSB_N6thrust23THRUST_200600_302600_NS5minusIxEEEE10hipError_tPvRmT2_T3_mT4_P12ihipStream_tbEUlmE_xEESB_NS0_8identityIvEEEESG_SJ_SK_mSL_SN_bEUlT_E_NS1_11comp_targetILNS1_3genE2ELNS1_11target_archE906ELNS1_3gpuE6ELNS1_3repE0EEENS1_30default_config_static_selectorELNS0_4arch9wavefront6targetE0EEEvT1_
    .private_segment_fixed_size: 0
    .sgpr_count:     0
    .sgpr_spill_count: 0
    .symbol:         _ZN7rocprim17ROCPRIM_400000_NS6detail17trampoline_kernelINS0_14default_configENS1_25transform_config_selectorIxLb0EEEZNS1_14transform_implILb0ES3_S5_NS0_18transform_iteratorINS0_17counting_iteratorImlEEZNS1_24adjacent_difference_implIS3_Lb1ELb0EPxSB_N6thrust23THRUST_200600_302600_NS5minusIxEEEE10hipError_tPvRmT2_T3_mT4_P12ihipStream_tbEUlmE_xEESB_NS0_8identityIvEEEESG_SJ_SK_mSL_SN_bEUlT_E_NS1_11comp_targetILNS1_3genE2ELNS1_11target_archE906ELNS1_3gpuE6ELNS1_3repE0EEENS1_30default_config_static_selectorELNS0_4arch9wavefront6targetE0EEEvT1_.kd
    .uniform_work_group_size: 1
    .uses_dynamic_stack: false
    .vgpr_count:     0
    .vgpr_spill_count: 0
    .wavefront_size: 32
    .workgroup_processor_mode: 1
  - .args:
      - .offset:         0
        .size:           56
        .value_kind:     by_value
    .group_segment_fixed_size: 0
    .kernarg_segment_align: 8
    .kernarg_segment_size: 56
    .language:       OpenCL C
    .language_version:
      - 2
      - 0
    .max_flat_workgroup_size: 1024
    .name:           _ZN7rocprim17ROCPRIM_400000_NS6detail17trampoline_kernelINS0_14default_configENS1_25transform_config_selectorIxLb0EEEZNS1_14transform_implILb0ES3_S5_NS0_18transform_iteratorINS0_17counting_iteratorImlEEZNS1_24adjacent_difference_implIS3_Lb1ELb0EPxSB_N6thrust23THRUST_200600_302600_NS5minusIxEEEE10hipError_tPvRmT2_T3_mT4_P12ihipStream_tbEUlmE_xEESB_NS0_8identityIvEEEESG_SJ_SK_mSL_SN_bEUlT_E_NS1_11comp_targetILNS1_3genE10ELNS1_11target_archE1201ELNS1_3gpuE5ELNS1_3repE0EEENS1_30default_config_static_selectorELNS0_4arch9wavefront6targetE0EEEvT1_
    .private_segment_fixed_size: 0
    .sgpr_count:     0
    .sgpr_spill_count: 0
    .symbol:         _ZN7rocprim17ROCPRIM_400000_NS6detail17trampoline_kernelINS0_14default_configENS1_25transform_config_selectorIxLb0EEEZNS1_14transform_implILb0ES3_S5_NS0_18transform_iteratorINS0_17counting_iteratorImlEEZNS1_24adjacent_difference_implIS3_Lb1ELb0EPxSB_N6thrust23THRUST_200600_302600_NS5minusIxEEEE10hipError_tPvRmT2_T3_mT4_P12ihipStream_tbEUlmE_xEESB_NS0_8identityIvEEEESG_SJ_SK_mSL_SN_bEUlT_E_NS1_11comp_targetILNS1_3genE10ELNS1_11target_archE1201ELNS1_3gpuE5ELNS1_3repE0EEENS1_30default_config_static_selectorELNS0_4arch9wavefront6targetE0EEEvT1_.kd
    .uniform_work_group_size: 1
    .uses_dynamic_stack: false
    .vgpr_count:     0
    .vgpr_spill_count: 0
    .wavefront_size: 32
    .workgroup_processor_mode: 1
  - .args:
      - .offset:         0
        .size:           56
        .value_kind:     by_value
    .group_segment_fixed_size: 0
    .kernarg_segment_align: 8
    .kernarg_segment_size: 56
    .language:       OpenCL C
    .language_version:
      - 2
      - 0
    .max_flat_workgroup_size: 512
    .name:           _ZN7rocprim17ROCPRIM_400000_NS6detail17trampoline_kernelINS0_14default_configENS1_25transform_config_selectorIxLb0EEEZNS1_14transform_implILb0ES3_S5_NS0_18transform_iteratorINS0_17counting_iteratorImlEEZNS1_24adjacent_difference_implIS3_Lb1ELb0EPxSB_N6thrust23THRUST_200600_302600_NS5minusIxEEEE10hipError_tPvRmT2_T3_mT4_P12ihipStream_tbEUlmE_xEESB_NS0_8identityIvEEEESG_SJ_SK_mSL_SN_bEUlT_E_NS1_11comp_targetILNS1_3genE10ELNS1_11target_archE1200ELNS1_3gpuE4ELNS1_3repE0EEENS1_30default_config_static_selectorELNS0_4arch9wavefront6targetE0EEEvT1_
    .private_segment_fixed_size: 0
    .sgpr_count:     0
    .sgpr_spill_count: 0
    .symbol:         _ZN7rocprim17ROCPRIM_400000_NS6detail17trampoline_kernelINS0_14default_configENS1_25transform_config_selectorIxLb0EEEZNS1_14transform_implILb0ES3_S5_NS0_18transform_iteratorINS0_17counting_iteratorImlEEZNS1_24adjacent_difference_implIS3_Lb1ELb0EPxSB_N6thrust23THRUST_200600_302600_NS5minusIxEEEE10hipError_tPvRmT2_T3_mT4_P12ihipStream_tbEUlmE_xEESB_NS0_8identityIvEEEESG_SJ_SK_mSL_SN_bEUlT_E_NS1_11comp_targetILNS1_3genE10ELNS1_11target_archE1200ELNS1_3gpuE4ELNS1_3repE0EEENS1_30default_config_static_selectorELNS0_4arch9wavefront6targetE0EEEvT1_.kd
    .uniform_work_group_size: 1
    .uses_dynamic_stack: false
    .vgpr_count:     0
    .vgpr_spill_count: 0
    .wavefront_size: 32
    .workgroup_processor_mode: 1
  - .args:
      - .offset:         0
        .size:           56
        .value_kind:     by_value
      - .offset:         56
        .size:           4
        .value_kind:     hidden_block_count_x
      - .offset:         60
        .size:           4
        .value_kind:     hidden_block_count_y
      - .offset:         64
        .size:           4
        .value_kind:     hidden_block_count_z
      - .offset:         68
        .size:           2
        .value_kind:     hidden_group_size_x
      - .offset:         70
        .size:           2
        .value_kind:     hidden_group_size_y
      - .offset:         72
        .size:           2
        .value_kind:     hidden_group_size_z
      - .offset:         74
        .size:           2
        .value_kind:     hidden_remainder_x
      - .offset:         76
        .size:           2
        .value_kind:     hidden_remainder_y
      - .offset:         78
        .size:           2
        .value_kind:     hidden_remainder_z
      - .offset:         96
        .size:           8
        .value_kind:     hidden_global_offset_x
      - .offset:         104
        .size:           8
        .value_kind:     hidden_global_offset_y
      - .offset:         112
        .size:           8
        .value_kind:     hidden_global_offset_z
      - .offset:         120
        .size:           2
        .value_kind:     hidden_grid_dims
    .group_segment_fixed_size: 0
    .kernarg_segment_align: 8
    .kernarg_segment_size: 312
    .language:       OpenCL C
    .language_version:
      - 2
      - 0
    .max_flat_workgroup_size: 512
    .name:           _ZN7rocprim17ROCPRIM_400000_NS6detail17trampoline_kernelINS0_14default_configENS1_25transform_config_selectorIxLb0EEEZNS1_14transform_implILb0ES3_S5_NS0_18transform_iteratorINS0_17counting_iteratorImlEEZNS1_24adjacent_difference_implIS3_Lb1ELb0EPxSB_N6thrust23THRUST_200600_302600_NS5minusIxEEEE10hipError_tPvRmT2_T3_mT4_P12ihipStream_tbEUlmE_xEESB_NS0_8identityIvEEEESG_SJ_SK_mSL_SN_bEUlT_E_NS1_11comp_targetILNS1_3genE9ELNS1_11target_archE1100ELNS1_3gpuE3ELNS1_3repE0EEENS1_30default_config_static_selectorELNS0_4arch9wavefront6targetE0EEEvT1_
    .private_segment_fixed_size: 0
    .sgpr_count:     18
    .sgpr_spill_count: 0
    .symbol:         _ZN7rocprim17ROCPRIM_400000_NS6detail17trampoline_kernelINS0_14default_configENS1_25transform_config_selectorIxLb0EEEZNS1_14transform_implILb0ES3_S5_NS0_18transform_iteratorINS0_17counting_iteratorImlEEZNS1_24adjacent_difference_implIS3_Lb1ELb0EPxSB_N6thrust23THRUST_200600_302600_NS5minusIxEEEE10hipError_tPvRmT2_T3_mT4_P12ihipStream_tbEUlmE_xEESB_NS0_8identityIvEEEESG_SJ_SK_mSL_SN_bEUlT_E_NS1_11comp_targetILNS1_3genE9ELNS1_11target_archE1100ELNS1_3gpuE3ELNS1_3repE0EEENS1_30default_config_static_selectorELNS0_4arch9wavefront6targetE0EEEvT1_.kd
    .uniform_work_group_size: 1
    .uses_dynamic_stack: false
    .vgpr_count:     6
    .vgpr_spill_count: 0
    .wavefront_size: 32
    .workgroup_processor_mode: 1
  - .args:
      - .offset:         0
        .size:           56
        .value_kind:     by_value
    .group_segment_fixed_size: 0
    .kernarg_segment_align: 8
    .kernarg_segment_size: 56
    .language:       OpenCL C
    .language_version:
      - 2
      - 0
    .max_flat_workgroup_size: 512
    .name:           _ZN7rocprim17ROCPRIM_400000_NS6detail17trampoline_kernelINS0_14default_configENS1_25transform_config_selectorIxLb0EEEZNS1_14transform_implILb0ES3_S5_NS0_18transform_iteratorINS0_17counting_iteratorImlEEZNS1_24adjacent_difference_implIS3_Lb1ELb0EPxSB_N6thrust23THRUST_200600_302600_NS5minusIxEEEE10hipError_tPvRmT2_T3_mT4_P12ihipStream_tbEUlmE_xEESB_NS0_8identityIvEEEESG_SJ_SK_mSL_SN_bEUlT_E_NS1_11comp_targetILNS1_3genE8ELNS1_11target_archE1030ELNS1_3gpuE2ELNS1_3repE0EEENS1_30default_config_static_selectorELNS0_4arch9wavefront6targetE0EEEvT1_
    .private_segment_fixed_size: 0
    .sgpr_count:     0
    .sgpr_spill_count: 0
    .symbol:         _ZN7rocprim17ROCPRIM_400000_NS6detail17trampoline_kernelINS0_14default_configENS1_25transform_config_selectorIxLb0EEEZNS1_14transform_implILb0ES3_S5_NS0_18transform_iteratorINS0_17counting_iteratorImlEEZNS1_24adjacent_difference_implIS3_Lb1ELb0EPxSB_N6thrust23THRUST_200600_302600_NS5minusIxEEEE10hipError_tPvRmT2_T3_mT4_P12ihipStream_tbEUlmE_xEESB_NS0_8identityIvEEEESG_SJ_SK_mSL_SN_bEUlT_E_NS1_11comp_targetILNS1_3genE8ELNS1_11target_archE1030ELNS1_3gpuE2ELNS1_3repE0EEENS1_30default_config_static_selectorELNS0_4arch9wavefront6targetE0EEEvT1_.kd
    .uniform_work_group_size: 1
    .uses_dynamic_stack: false
    .vgpr_count:     0
    .vgpr_spill_count: 0
    .wavefront_size: 32
    .workgroup_processor_mode: 1
  - .args:
      - .offset:         0
        .size:           56
        .value_kind:     by_value
    .group_segment_fixed_size: 0
    .kernarg_segment_align: 8
    .kernarg_segment_size: 56
    .language:       OpenCL C
    .language_version:
      - 2
      - 0
    .max_flat_workgroup_size: 512
    .name:           _ZN7rocprim17ROCPRIM_400000_NS6detail17trampoline_kernelINS0_14default_configENS1_35adjacent_difference_config_selectorILb1ExEEZNS1_24adjacent_difference_implIS3_Lb1ELb0EPxS7_N6thrust23THRUST_200600_302600_NS5minusIxEEEE10hipError_tPvRmT2_T3_mT4_P12ihipStream_tbEUlT_E_NS1_11comp_targetILNS1_3genE0ELNS1_11target_archE4294967295ELNS1_3gpuE0ELNS1_3repE0EEENS1_30default_config_static_selectorELNS0_4arch9wavefront6targetE0EEEvT1_
    .private_segment_fixed_size: 0
    .sgpr_count:     0
    .sgpr_spill_count: 0
    .symbol:         _ZN7rocprim17ROCPRIM_400000_NS6detail17trampoline_kernelINS0_14default_configENS1_35adjacent_difference_config_selectorILb1ExEEZNS1_24adjacent_difference_implIS3_Lb1ELb0EPxS7_N6thrust23THRUST_200600_302600_NS5minusIxEEEE10hipError_tPvRmT2_T3_mT4_P12ihipStream_tbEUlT_E_NS1_11comp_targetILNS1_3genE0ELNS1_11target_archE4294967295ELNS1_3gpuE0ELNS1_3repE0EEENS1_30default_config_static_selectorELNS0_4arch9wavefront6targetE0EEEvT1_.kd
    .uniform_work_group_size: 1
    .uses_dynamic_stack: false
    .vgpr_count:     0
    .vgpr_spill_count: 0
    .wavefront_size: 32
    .workgroup_processor_mode: 1
  - .args:
      - .offset:         0
        .size:           56
        .value_kind:     by_value
    .group_segment_fixed_size: 0
    .kernarg_segment_align: 8
    .kernarg_segment_size: 56
    .language:       OpenCL C
    .language_version:
      - 2
      - 0
    .max_flat_workgroup_size: 32
    .name:           _ZN7rocprim17ROCPRIM_400000_NS6detail17trampoline_kernelINS0_14default_configENS1_35adjacent_difference_config_selectorILb1ExEEZNS1_24adjacent_difference_implIS3_Lb1ELb0EPxS7_N6thrust23THRUST_200600_302600_NS5minusIxEEEE10hipError_tPvRmT2_T3_mT4_P12ihipStream_tbEUlT_E_NS1_11comp_targetILNS1_3genE10ELNS1_11target_archE1201ELNS1_3gpuE5ELNS1_3repE0EEENS1_30default_config_static_selectorELNS0_4arch9wavefront6targetE0EEEvT1_
    .private_segment_fixed_size: 0
    .sgpr_count:     0
    .sgpr_spill_count: 0
    .symbol:         _ZN7rocprim17ROCPRIM_400000_NS6detail17trampoline_kernelINS0_14default_configENS1_35adjacent_difference_config_selectorILb1ExEEZNS1_24adjacent_difference_implIS3_Lb1ELb0EPxS7_N6thrust23THRUST_200600_302600_NS5minusIxEEEE10hipError_tPvRmT2_T3_mT4_P12ihipStream_tbEUlT_E_NS1_11comp_targetILNS1_3genE10ELNS1_11target_archE1201ELNS1_3gpuE5ELNS1_3repE0EEENS1_30default_config_static_selectorELNS0_4arch9wavefront6targetE0EEEvT1_.kd
    .uniform_work_group_size: 1
    .uses_dynamic_stack: false
    .vgpr_count:     0
    .vgpr_spill_count: 0
    .wavefront_size: 32
    .workgroup_processor_mode: 1
  - .args:
      - .offset:         0
        .size:           56
        .value_kind:     by_value
    .group_segment_fixed_size: 0
    .kernarg_segment_align: 8
    .kernarg_segment_size: 56
    .language:       OpenCL C
    .language_version:
      - 2
      - 0
    .max_flat_workgroup_size: 256
    .name:           _ZN7rocprim17ROCPRIM_400000_NS6detail17trampoline_kernelINS0_14default_configENS1_35adjacent_difference_config_selectorILb1ExEEZNS1_24adjacent_difference_implIS3_Lb1ELb0EPxS7_N6thrust23THRUST_200600_302600_NS5minusIxEEEE10hipError_tPvRmT2_T3_mT4_P12ihipStream_tbEUlT_E_NS1_11comp_targetILNS1_3genE5ELNS1_11target_archE942ELNS1_3gpuE9ELNS1_3repE0EEENS1_30default_config_static_selectorELNS0_4arch9wavefront6targetE0EEEvT1_
    .private_segment_fixed_size: 0
    .sgpr_count:     0
    .sgpr_spill_count: 0
    .symbol:         _ZN7rocprim17ROCPRIM_400000_NS6detail17trampoline_kernelINS0_14default_configENS1_35adjacent_difference_config_selectorILb1ExEEZNS1_24adjacent_difference_implIS3_Lb1ELb0EPxS7_N6thrust23THRUST_200600_302600_NS5minusIxEEEE10hipError_tPvRmT2_T3_mT4_P12ihipStream_tbEUlT_E_NS1_11comp_targetILNS1_3genE5ELNS1_11target_archE942ELNS1_3gpuE9ELNS1_3repE0EEENS1_30default_config_static_selectorELNS0_4arch9wavefront6targetE0EEEvT1_.kd
    .uniform_work_group_size: 1
    .uses_dynamic_stack: false
    .vgpr_count:     0
    .vgpr_spill_count: 0
    .wavefront_size: 32
    .workgroup_processor_mode: 1
  - .args:
      - .offset:         0
        .size:           56
        .value_kind:     by_value
    .group_segment_fixed_size: 0
    .kernarg_segment_align: 8
    .kernarg_segment_size: 56
    .language:       OpenCL C
    .language_version:
      - 2
      - 0
    .max_flat_workgroup_size: 512
    .name:           _ZN7rocprim17ROCPRIM_400000_NS6detail17trampoline_kernelINS0_14default_configENS1_35adjacent_difference_config_selectorILb1ExEEZNS1_24adjacent_difference_implIS3_Lb1ELb0EPxS7_N6thrust23THRUST_200600_302600_NS5minusIxEEEE10hipError_tPvRmT2_T3_mT4_P12ihipStream_tbEUlT_E_NS1_11comp_targetILNS1_3genE4ELNS1_11target_archE910ELNS1_3gpuE8ELNS1_3repE0EEENS1_30default_config_static_selectorELNS0_4arch9wavefront6targetE0EEEvT1_
    .private_segment_fixed_size: 0
    .sgpr_count:     0
    .sgpr_spill_count: 0
    .symbol:         _ZN7rocprim17ROCPRIM_400000_NS6detail17trampoline_kernelINS0_14default_configENS1_35adjacent_difference_config_selectorILb1ExEEZNS1_24adjacent_difference_implIS3_Lb1ELb0EPxS7_N6thrust23THRUST_200600_302600_NS5minusIxEEEE10hipError_tPvRmT2_T3_mT4_P12ihipStream_tbEUlT_E_NS1_11comp_targetILNS1_3genE4ELNS1_11target_archE910ELNS1_3gpuE8ELNS1_3repE0EEENS1_30default_config_static_selectorELNS0_4arch9wavefront6targetE0EEEvT1_.kd
    .uniform_work_group_size: 1
    .uses_dynamic_stack: false
    .vgpr_count:     0
    .vgpr_spill_count: 0
    .wavefront_size: 32
    .workgroup_processor_mode: 1
  - .args:
      - .offset:         0
        .size:           56
        .value_kind:     by_value
    .group_segment_fixed_size: 0
    .kernarg_segment_align: 8
    .kernarg_segment_size: 56
    .language:       OpenCL C
    .language_version:
      - 2
      - 0
    .max_flat_workgroup_size: 512
    .name:           _ZN7rocprim17ROCPRIM_400000_NS6detail17trampoline_kernelINS0_14default_configENS1_35adjacent_difference_config_selectorILb1ExEEZNS1_24adjacent_difference_implIS3_Lb1ELb0EPxS7_N6thrust23THRUST_200600_302600_NS5minusIxEEEE10hipError_tPvRmT2_T3_mT4_P12ihipStream_tbEUlT_E_NS1_11comp_targetILNS1_3genE3ELNS1_11target_archE908ELNS1_3gpuE7ELNS1_3repE0EEENS1_30default_config_static_selectorELNS0_4arch9wavefront6targetE0EEEvT1_
    .private_segment_fixed_size: 0
    .sgpr_count:     0
    .sgpr_spill_count: 0
    .symbol:         _ZN7rocprim17ROCPRIM_400000_NS6detail17trampoline_kernelINS0_14default_configENS1_35adjacent_difference_config_selectorILb1ExEEZNS1_24adjacent_difference_implIS3_Lb1ELb0EPxS7_N6thrust23THRUST_200600_302600_NS5minusIxEEEE10hipError_tPvRmT2_T3_mT4_P12ihipStream_tbEUlT_E_NS1_11comp_targetILNS1_3genE3ELNS1_11target_archE908ELNS1_3gpuE7ELNS1_3repE0EEENS1_30default_config_static_selectorELNS0_4arch9wavefront6targetE0EEEvT1_.kd
    .uniform_work_group_size: 1
    .uses_dynamic_stack: false
    .vgpr_count:     0
    .vgpr_spill_count: 0
    .wavefront_size: 32
    .workgroup_processor_mode: 1
  - .args:
      - .offset:         0
        .size:           56
        .value_kind:     by_value
    .group_segment_fixed_size: 0
    .kernarg_segment_align: 8
    .kernarg_segment_size: 56
    .language:       OpenCL C
    .language_version:
      - 2
      - 0
    .max_flat_workgroup_size: 128
    .name:           _ZN7rocprim17ROCPRIM_400000_NS6detail17trampoline_kernelINS0_14default_configENS1_35adjacent_difference_config_selectorILb1ExEEZNS1_24adjacent_difference_implIS3_Lb1ELb0EPxS7_N6thrust23THRUST_200600_302600_NS5minusIxEEEE10hipError_tPvRmT2_T3_mT4_P12ihipStream_tbEUlT_E_NS1_11comp_targetILNS1_3genE2ELNS1_11target_archE906ELNS1_3gpuE6ELNS1_3repE0EEENS1_30default_config_static_selectorELNS0_4arch9wavefront6targetE0EEEvT1_
    .private_segment_fixed_size: 0
    .sgpr_count:     0
    .sgpr_spill_count: 0
    .symbol:         _ZN7rocprim17ROCPRIM_400000_NS6detail17trampoline_kernelINS0_14default_configENS1_35adjacent_difference_config_selectorILb1ExEEZNS1_24adjacent_difference_implIS3_Lb1ELb0EPxS7_N6thrust23THRUST_200600_302600_NS5minusIxEEEE10hipError_tPvRmT2_T3_mT4_P12ihipStream_tbEUlT_E_NS1_11comp_targetILNS1_3genE2ELNS1_11target_archE906ELNS1_3gpuE6ELNS1_3repE0EEENS1_30default_config_static_selectorELNS0_4arch9wavefront6targetE0EEEvT1_.kd
    .uniform_work_group_size: 1
    .uses_dynamic_stack: false
    .vgpr_count:     0
    .vgpr_spill_count: 0
    .wavefront_size: 32
    .workgroup_processor_mode: 1
  - .args:
      - .offset:         0
        .size:           56
        .value_kind:     by_value
    .group_segment_fixed_size: 29696
    .kernarg_segment_align: 8
    .kernarg_segment_size: 56
    .language:       OpenCL C
    .language_version:
      - 2
      - 0
    .max_flat_workgroup_size: 128
    .name:           _ZN7rocprim17ROCPRIM_400000_NS6detail17trampoline_kernelINS0_14default_configENS1_35adjacent_difference_config_selectorILb1ExEEZNS1_24adjacent_difference_implIS3_Lb1ELb0EPxS7_N6thrust23THRUST_200600_302600_NS5minusIxEEEE10hipError_tPvRmT2_T3_mT4_P12ihipStream_tbEUlT_E_NS1_11comp_targetILNS1_3genE9ELNS1_11target_archE1100ELNS1_3gpuE3ELNS1_3repE0EEENS1_30default_config_static_selectorELNS0_4arch9wavefront6targetE0EEEvT1_
    .private_segment_fixed_size: 0
    .sgpr_count:     28
    .sgpr_spill_count: 0
    .symbol:         _ZN7rocprim17ROCPRIM_400000_NS6detail17trampoline_kernelINS0_14default_configENS1_35adjacent_difference_config_selectorILb1ExEEZNS1_24adjacent_difference_implIS3_Lb1ELb0EPxS7_N6thrust23THRUST_200600_302600_NS5minusIxEEEE10hipError_tPvRmT2_T3_mT4_P12ihipStream_tbEUlT_E_NS1_11comp_targetILNS1_3genE9ELNS1_11target_archE1100ELNS1_3gpuE3ELNS1_3repE0EEENS1_30default_config_static_selectorELNS0_4arch9wavefront6targetE0EEEvT1_.kd
    .uniform_work_group_size: 1
    .uses_dynamic_stack: false
    .vgpr_count:     122
    .vgpr_spill_count: 0
    .wavefront_size: 32
    .workgroup_processor_mode: 1
  - .args:
      - .offset:         0
        .size:           56
        .value_kind:     by_value
    .group_segment_fixed_size: 0
    .kernarg_segment_align: 8
    .kernarg_segment_size: 56
    .language:       OpenCL C
    .language_version:
      - 2
      - 0
    .max_flat_workgroup_size: 32
    .name:           _ZN7rocprim17ROCPRIM_400000_NS6detail17trampoline_kernelINS0_14default_configENS1_35adjacent_difference_config_selectorILb1ExEEZNS1_24adjacent_difference_implIS3_Lb1ELb0EPxS7_N6thrust23THRUST_200600_302600_NS5minusIxEEEE10hipError_tPvRmT2_T3_mT4_P12ihipStream_tbEUlT_E_NS1_11comp_targetILNS1_3genE8ELNS1_11target_archE1030ELNS1_3gpuE2ELNS1_3repE0EEENS1_30default_config_static_selectorELNS0_4arch9wavefront6targetE0EEEvT1_
    .private_segment_fixed_size: 0
    .sgpr_count:     0
    .sgpr_spill_count: 0
    .symbol:         _ZN7rocprim17ROCPRIM_400000_NS6detail17trampoline_kernelINS0_14default_configENS1_35adjacent_difference_config_selectorILb1ExEEZNS1_24adjacent_difference_implIS3_Lb1ELb0EPxS7_N6thrust23THRUST_200600_302600_NS5minusIxEEEE10hipError_tPvRmT2_T3_mT4_P12ihipStream_tbEUlT_E_NS1_11comp_targetILNS1_3genE8ELNS1_11target_archE1030ELNS1_3gpuE2ELNS1_3repE0EEENS1_30default_config_static_selectorELNS0_4arch9wavefront6targetE0EEEvT1_.kd
    .uniform_work_group_size: 1
    .uses_dynamic_stack: false
    .vgpr_count:     0
    .vgpr_spill_count: 0
    .wavefront_size: 32
    .workgroup_processor_mode: 1
  - .args:
      - .offset:         0
        .size:           56
        .value_kind:     by_value
    .group_segment_fixed_size: 0
    .kernarg_segment_align: 8
    .kernarg_segment_size: 56
    .language:       OpenCL C
    .language_version:
      - 2
      - 0
    .max_flat_workgroup_size: 128
    .name:           _ZN7rocprim17ROCPRIM_400000_NS6detail17trampoline_kernelINS0_14default_configENS1_35adjacent_difference_config_selectorILb0ExEEZNS1_24adjacent_difference_implIS3_Lb0ELb0EPxS7_N6thrust23THRUST_200600_302600_NS4plusIxEEEE10hipError_tPvRmT2_T3_mT4_P12ihipStream_tbEUlT_E_NS1_11comp_targetILNS1_3genE0ELNS1_11target_archE4294967295ELNS1_3gpuE0ELNS1_3repE0EEENS1_30default_config_static_selectorELNS0_4arch9wavefront6targetE0EEEvT1_
    .private_segment_fixed_size: 0
    .sgpr_count:     0
    .sgpr_spill_count: 0
    .symbol:         _ZN7rocprim17ROCPRIM_400000_NS6detail17trampoline_kernelINS0_14default_configENS1_35adjacent_difference_config_selectorILb0ExEEZNS1_24adjacent_difference_implIS3_Lb0ELb0EPxS7_N6thrust23THRUST_200600_302600_NS4plusIxEEEE10hipError_tPvRmT2_T3_mT4_P12ihipStream_tbEUlT_E_NS1_11comp_targetILNS1_3genE0ELNS1_11target_archE4294967295ELNS1_3gpuE0ELNS1_3repE0EEENS1_30default_config_static_selectorELNS0_4arch9wavefront6targetE0EEEvT1_.kd
    .uniform_work_group_size: 1
    .uses_dynamic_stack: false
    .vgpr_count:     0
    .vgpr_spill_count: 0
    .wavefront_size: 32
    .workgroup_processor_mode: 1
  - .args:
      - .offset:         0
        .size:           56
        .value_kind:     by_value
    .group_segment_fixed_size: 0
    .kernarg_segment_align: 8
    .kernarg_segment_size: 56
    .language:       OpenCL C
    .language_version:
      - 2
      - 0
    .max_flat_workgroup_size: 128
    .name:           _ZN7rocprim17ROCPRIM_400000_NS6detail17trampoline_kernelINS0_14default_configENS1_35adjacent_difference_config_selectorILb0ExEEZNS1_24adjacent_difference_implIS3_Lb0ELb0EPxS7_N6thrust23THRUST_200600_302600_NS4plusIxEEEE10hipError_tPvRmT2_T3_mT4_P12ihipStream_tbEUlT_E_NS1_11comp_targetILNS1_3genE10ELNS1_11target_archE1201ELNS1_3gpuE5ELNS1_3repE0EEENS1_30default_config_static_selectorELNS0_4arch9wavefront6targetE0EEEvT1_
    .private_segment_fixed_size: 0
    .sgpr_count:     0
    .sgpr_spill_count: 0
    .symbol:         _ZN7rocprim17ROCPRIM_400000_NS6detail17trampoline_kernelINS0_14default_configENS1_35adjacent_difference_config_selectorILb0ExEEZNS1_24adjacent_difference_implIS3_Lb0ELb0EPxS7_N6thrust23THRUST_200600_302600_NS4plusIxEEEE10hipError_tPvRmT2_T3_mT4_P12ihipStream_tbEUlT_E_NS1_11comp_targetILNS1_3genE10ELNS1_11target_archE1201ELNS1_3gpuE5ELNS1_3repE0EEENS1_30default_config_static_selectorELNS0_4arch9wavefront6targetE0EEEvT1_.kd
    .uniform_work_group_size: 1
    .uses_dynamic_stack: false
    .vgpr_count:     0
    .vgpr_spill_count: 0
    .wavefront_size: 32
    .workgroup_processor_mode: 1
  - .args:
      - .offset:         0
        .size:           56
        .value_kind:     by_value
    .group_segment_fixed_size: 0
    .kernarg_segment_align: 8
    .kernarg_segment_size: 56
    .language:       OpenCL C
    .language_version:
      - 2
      - 0
    .max_flat_workgroup_size: 64
    .name:           _ZN7rocprim17ROCPRIM_400000_NS6detail17trampoline_kernelINS0_14default_configENS1_35adjacent_difference_config_selectorILb0ExEEZNS1_24adjacent_difference_implIS3_Lb0ELb0EPxS7_N6thrust23THRUST_200600_302600_NS4plusIxEEEE10hipError_tPvRmT2_T3_mT4_P12ihipStream_tbEUlT_E_NS1_11comp_targetILNS1_3genE5ELNS1_11target_archE942ELNS1_3gpuE9ELNS1_3repE0EEENS1_30default_config_static_selectorELNS0_4arch9wavefront6targetE0EEEvT1_
    .private_segment_fixed_size: 0
    .sgpr_count:     0
    .sgpr_spill_count: 0
    .symbol:         _ZN7rocprim17ROCPRIM_400000_NS6detail17trampoline_kernelINS0_14default_configENS1_35adjacent_difference_config_selectorILb0ExEEZNS1_24adjacent_difference_implIS3_Lb0ELb0EPxS7_N6thrust23THRUST_200600_302600_NS4plusIxEEEE10hipError_tPvRmT2_T3_mT4_P12ihipStream_tbEUlT_E_NS1_11comp_targetILNS1_3genE5ELNS1_11target_archE942ELNS1_3gpuE9ELNS1_3repE0EEENS1_30default_config_static_selectorELNS0_4arch9wavefront6targetE0EEEvT1_.kd
    .uniform_work_group_size: 1
    .uses_dynamic_stack: false
    .vgpr_count:     0
    .vgpr_spill_count: 0
    .wavefront_size: 32
    .workgroup_processor_mode: 1
  - .args:
      - .offset:         0
        .size:           56
        .value_kind:     by_value
    .group_segment_fixed_size: 0
    .kernarg_segment_align: 8
    .kernarg_segment_size: 56
    .language:       OpenCL C
    .language_version:
      - 2
      - 0
    .max_flat_workgroup_size: 256
    .name:           _ZN7rocprim17ROCPRIM_400000_NS6detail17trampoline_kernelINS0_14default_configENS1_35adjacent_difference_config_selectorILb0ExEEZNS1_24adjacent_difference_implIS3_Lb0ELb0EPxS7_N6thrust23THRUST_200600_302600_NS4plusIxEEEE10hipError_tPvRmT2_T3_mT4_P12ihipStream_tbEUlT_E_NS1_11comp_targetILNS1_3genE4ELNS1_11target_archE910ELNS1_3gpuE8ELNS1_3repE0EEENS1_30default_config_static_selectorELNS0_4arch9wavefront6targetE0EEEvT1_
    .private_segment_fixed_size: 0
    .sgpr_count:     0
    .sgpr_spill_count: 0
    .symbol:         _ZN7rocprim17ROCPRIM_400000_NS6detail17trampoline_kernelINS0_14default_configENS1_35adjacent_difference_config_selectorILb0ExEEZNS1_24adjacent_difference_implIS3_Lb0ELb0EPxS7_N6thrust23THRUST_200600_302600_NS4plusIxEEEE10hipError_tPvRmT2_T3_mT4_P12ihipStream_tbEUlT_E_NS1_11comp_targetILNS1_3genE4ELNS1_11target_archE910ELNS1_3gpuE8ELNS1_3repE0EEENS1_30default_config_static_selectorELNS0_4arch9wavefront6targetE0EEEvT1_.kd
    .uniform_work_group_size: 1
    .uses_dynamic_stack: false
    .vgpr_count:     0
    .vgpr_spill_count: 0
    .wavefront_size: 32
    .workgroup_processor_mode: 1
  - .args:
      - .offset:         0
        .size:           56
        .value_kind:     by_value
    .group_segment_fixed_size: 0
    .kernarg_segment_align: 8
    .kernarg_segment_size: 56
    .language:       OpenCL C
    .language_version:
      - 2
      - 0
    .max_flat_workgroup_size: 128
    .name:           _ZN7rocprim17ROCPRIM_400000_NS6detail17trampoline_kernelINS0_14default_configENS1_35adjacent_difference_config_selectorILb0ExEEZNS1_24adjacent_difference_implIS3_Lb0ELb0EPxS7_N6thrust23THRUST_200600_302600_NS4plusIxEEEE10hipError_tPvRmT2_T3_mT4_P12ihipStream_tbEUlT_E_NS1_11comp_targetILNS1_3genE3ELNS1_11target_archE908ELNS1_3gpuE7ELNS1_3repE0EEENS1_30default_config_static_selectorELNS0_4arch9wavefront6targetE0EEEvT1_
    .private_segment_fixed_size: 0
    .sgpr_count:     0
    .sgpr_spill_count: 0
    .symbol:         _ZN7rocprim17ROCPRIM_400000_NS6detail17trampoline_kernelINS0_14default_configENS1_35adjacent_difference_config_selectorILb0ExEEZNS1_24adjacent_difference_implIS3_Lb0ELb0EPxS7_N6thrust23THRUST_200600_302600_NS4plusIxEEEE10hipError_tPvRmT2_T3_mT4_P12ihipStream_tbEUlT_E_NS1_11comp_targetILNS1_3genE3ELNS1_11target_archE908ELNS1_3gpuE7ELNS1_3repE0EEENS1_30default_config_static_selectorELNS0_4arch9wavefront6targetE0EEEvT1_.kd
    .uniform_work_group_size: 1
    .uses_dynamic_stack: false
    .vgpr_count:     0
    .vgpr_spill_count: 0
    .wavefront_size: 32
    .workgroup_processor_mode: 1
  - .args:
      - .offset:         0
        .size:           56
        .value_kind:     by_value
    .group_segment_fixed_size: 0
    .kernarg_segment_align: 8
    .kernarg_segment_size: 56
    .language:       OpenCL C
    .language_version:
      - 2
      - 0
    .max_flat_workgroup_size: 128
    .name:           _ZN7rocprim17ROCPRIM_400000_NS6detail17trampoline_kernelINS0_14default_configENS1_35adjacent_difference_config_selectorILb0ExEEZNS1_24adjacent_difference_implIS3_Lb0ELb0EPxS7_N6thrust23THRUST_200600_302600_NS4plusIxEEEE10hipError_tPvRmT2_T3_mT4_P12ihipStream_tbEUlT_E_NS1_11comp_targetILNS1_3genE2ELNS1_11target_archE906ELNS1_3gpuE6ELNS1_3repE0EEENS1_30default_config_static_selectorELNS0_4arch9wavefront6targetE0EEEvT1_
    .private_segment_fixed_size: 0
    .sgpr_count:     0
    .sgpr_spill_count: 0
    .symbol:         _ZN7rocprim17ROCPRIM_400000_NS6detail17trampoline_kernelINS0_14default_configENS1_35adjacent_difference_config_selectorILb0ExEEZNS1_24adjacent_difference_implIS3_Lb0ELb0EPxS7_N6thrust23THRUST_200600_302600_NS4plusIxEEEE10hipError_tPvRmT2_T3_mT4_P12ihipStream_tbEUlT_E_NS1_11comp_targetILNS1_3genE2ELNS1_11target_archE906ELNS1_3gpuE6ELNS1_3repE0EEENS1_30default_config_static_selectorELNS0_4arch9wavefront6targetE0EEEvT1_.kd
    .uniform_work_group_size: 1
    .uses_dynamic_stack: false
    .vgpr_count:     0
    .vgpr_spill_count: 0
    .wavefront_size: 32
    .workgroup_processor_mode: 1
  - .args:
      - .offset:         0
        .size:           56
        .value_kind:     by_value
    .group_segment_fixed_size: 8192
    .kernarg_segment_align: 8
    .kernarg_segment_size: 56
    .language:       OpenCL C
    .language_version:
      - 2
      - 0
    .max_flat_workgroup_size: 512
    .name:           _ZN7rocprim17ROCPRIM_400000_NS6detail17trampoline_kernelINS0_14default_configENS1_35adjacent_difference_config_selectorILb0ExEEZNS1_24adjacent_difference_implIS3_Lb0ELb0EPxS7_N6thrust23THRUST_200600_302600_NS4plusIxEEEE10hipError_tPvRmT2_T3_mT4_P12ihipStream_tbEUlT_E_NS1_11comp_targetILNS1_3genE9ELNS1_11target_archE1100ELNS1_3gpuE3ELNS1_3repE0EEENS1_30default_config_static_selectorELNS0_4arch9wavefront6targetE0EEEvT1_
    .private_segment_fixed_size: 0
    .sgpr_count:     22
    .sgpr_spill_count: 0
    .symbol:         _ZN7rocprim17ROCPRIM_400000_NS6detail17trampoline_kernelINS0_14default_configENS1_35adjacent_difference_config_selectorILb0ExEEZNS1_24adjacent_difference_implIS3_Lb0ELb0EPxS7_N6thrust23THRUST_200600_302600_NS4plusIxEEEE10hipError_tPvRmT2_T3_mT4_P12ihipStream_tbEUlT_E_NS1_11comp_targetILNS1_3genE9ELNS1_11target_archE1100ELNS1_3gpuE3ELNS1_3repE0EEENS1_30default_config_static_selectorELNS0_4arch9wavefront6targetE0EEEvT1_.kd
    .uniform_work_group_size: 1
    .uses_dynamic_stack: false
    .vgpr_count:     6
    .vgpr_spill_count: 0
    .wavefront_size: 32
    .workgroup_processor_mode: 1
  - .args:
      - .offset:         0
        .size:           56
        .value_kind:     by_value
    .group_segment_fixed_size: 0
    .kernarg_segment_align: 8
    .kernarg_segment_size: 56
    .language:       OpenCL C
    .language_version:
      - 2
      - 0
    .max_flat_workgroup_size: 1024
    .name:           _ZN7rocprim17ROCPRIM_400000_NS6detail17trampoline_kernelINS0_14default_configENS1_35adjacent_difference_config_selectorILb0ExEEZNS1_24adjacent_difference_implIS3_Lb0ELb0EPxS7_N6thrust23THRUST_200600_302600_NS4plusIxEEEE10hipError_tPvRmT2_T3_mT4_P12ihipStream_tbEUlT_E_NS1_11comp_targetILNS1_3genE8ELNS1_11target_archE1030ELNS1_3gpuE2ELNS1_3repE0EEENS1_30default_config_static_selectorELNS0_4arch9wavefront6targetE0EEEvT1_
    .private_segment_fixed_size: 0
    .sgpr_count:     0
    .sgpr_spill_count: 0
    .symbol:         _ZN7rocprim17ROCPRIM_400000_NS6detail17trampoline_kernelINS0_14default_configENS1_35adjacent_difference_config_selectorILb0ExEEZNS1_24adjacent_difference_implIS3_Lb0ELb0EPxS7_N6thrust23THRUST_200600_302600_NS4plusIxEEEE10hipError_tPvRmT2_T3_mT4_P12ihipStream_tbEUlT_E_NS1_11comp_targetILNS1_3genE8ELNS1_11target_archE1030ELNS1_3gpuE2ELNS1_3repE0EEENS1_30default_config_static_selectorELNS0_4arch9wavefront6targetE0EEEvT1_.kd
    .uniform_work_group_size: 1
    .uses_dynamic_stack: false
    .vgpr_count:     0
    .vgpr_spill_count: 0
    .wavefront_size: 32
    .workgroup_processor_mode: 1
  - .args:
      - .offset:         0
        .size:           56
        .value_kind:     by_value
    .group_segment_fixed_size: 0
    .kernarg_segment_align: 8
    .kernarg_segment_size: 56
    .language:       OpenCL C
    .language_version:
      - 2
      - 0
    .max_flat_workgroup_size: 128
    .name:           _ZN7rocprim17ROCPRIM_400000_NS6detail17trampoline_kernelINS0_14default_configENS1_25transform_config_selectorIxLb0EEEZNS1_14transform_implILb0ES3_S5_NS0_18transform_iteratorINS0_17counting_iteratorImlEEZNS1_24adjacent_difference_implIS3_Lb1ELb0EPxSB_N6thrust23THRUST_200600_302600_NS4plusIxEEEE10hipError_tPvRmT2_T3_mT4_P12ihipStream_tbEUlmE_xEESB_NS0_8identityIvEEEESG_SJ_SK_mSL_SN_bEUlT_E_NS1_11comp_targetILNS1_3genE0ELNS1_11target_archE4294967295ELNS1_3gpuE0ELNS1_3repE0EEENS1_30default_config_static_selectorELNS0_4arch9wavefront6targetE0EEEvT1_
    .private_segment_fixed_size: 0
    .sgpr_count:     0
    .sgpr_spill_count: 0
    .symbol:         _ZN7rocprim17ROCPRIM_400000_NS6detail17trampoline_kernelINS0_14default_configENS1_25transform_config_selectorIxLb0EEEZNS1_14transform_implILb0ES3_S5_NS0_18transform_iteratorINS0_17counting_iteratorImlEEZNS1_24adjacent_difference_implIS3_Lb1ELb0EPxSB_N6thrust23THRUST_200600_302600_NS4plusIxEEEE10hipError_tPvRmT2_T3_mT4_P12ihipStream_tbEUlmE_xEESB_NS0_8identityIvEEEESG_SJ_SK_mSL_SN_bEUlT_E_NS1_11comp_targetILNS1_3genE0ELNS1_11target_archE4294967295ELNS1_3gpuE0ELNS1_3repE0EEENS1_30default_config_static_selectorELNS0_4arch9wavefront6targetE0EEEvT1_.kd
    .uniform_work_group_size: 1
    .uses_dynamic_stack: false
    .vgpr_count:     0
    .vgpr_spill_count: 0
    .wavefront_size: 32
    .workgroup_processor_mode: 1
  - .args:
      - .offset:         0
        .size:           56
        .value_kind:     by_value
    .group_segment_fixed_size: 0
    .kernarg_segment_align: 8
    .kernarg_segment_size: 56
    .language:       OpenCL C
    .language_version:
      - 2
      - 0
    .max_flat_workgroup_size: 512
    .name:           _ZN7rocprim17ROCPRIM_400000_NS6detail17trampoline_kernelINS0_14default_configENS1_25transform_config_selectorIxLb0EEEZNS1_14transform_implILb0ES3_S5_NS0_18transform_iteratorINS0_17counting_iteratorImlEEZNS1_24adjacent_difference_implIS3_Lb1ELb0EPxSB_N6thrust23THRUST_200600_302600_NS4plusIxEEEE10hipError_tPvRmT2_T3_mT4_P12ihipStream_tbEUlmE_xEESB_NS0_8identityIvEEEESG_SJ_SK_mSL_SN_bEUlT_E_NS1_11comp_targetILNS1_3genE5ELNS1_11target_archE942ELNS1_3gpuE9ELNS1_3repE0EEENS1_30default_config_static_selectorELNS0_4arch9wavefront6targetE0EEEvT1_
    .private_segment_fixed_size: 0
    .sgpr_count:     0
    .sgpr_spill_count: 0
    .symbol:         _ZN7rocprim17ROCPRIM_400000_NS6detail17trampoline_kernelINS0_14default_configENS1_25transform_config_selectorIxLb0EEEZNS1_14transform_implILb0ES3_S5_NS0_18transform_iteratorINS0_17counting_iteratorImlEEZNS1_24adjacent_difference_implIS3_Lb1ELb0EPxSB_N6thrust23THRUST_200600_302600_NS4plusIxEEEE10hipError_tPvRmT2_T3_mT4_P12ihipStream_tbEUlmE_xEESB_NS0_8identityIvEEEESG_SJ_SK_mSL_SN_bEUlT_E_NS1_11comp_targetILNS1_3genE5ELNS1_11target_archE942ELNS1_3gpuE9ELNS1_3repE0EEENS1_30default_config_static_selectorELNS0_4arch9wavefront6targetE0EEEvT1_.kd
    .uniform_work_group_size: 1
    .uses_dynamic_stack: false
    .vgpr_count:     0
    .vgpr_spill_count: 0
    .wavefront_size: 32
    .workgroup_processor_mode: 1
  - .args:
      - .offset:         0
        .size:           56
        .value_kind:     by_value
    .group_segment_fixed_size: 0
    .kernarg_segment_align: 8
    .kernarg_segment_size: 56
    .language:       OpenCL C
    .language_version:
      - 2
      - 0
    .max_flat_workgroup_size: 256
    .name:           _ZN7rocprim17ROCPRIM_400000_NS6detail17trampoline_kernelINS0_14default_configENS1_25transform_config_selectorIxLb0EEEZNS1_14transform_implILb0ES3_S5_NS0_18transform_iteratorINS0_17counting_iteratorImlEEZNS1_24adjacent_difference_implIS3_Lb1ELb0EPxSB_N6thrust23THRUST_200600_302600_NS4plusIxEEEE10hipError_tPvRmT2_T3_mT4_P12ihipStream_tbEUlmE_xEESB_NS0_8identityIvEEEESG_SJ_SK_mSL_SN_bEUlT_E_NS1_11comp_targetILNS1_3genE4ELNS1_11target_archE910ELNS1_3gpuE8ELNS1_3repE0EEENS1_30default_config_static_selectorELNS0_4arch9wavefront6targetE0EEEvT1_
    .private_segment_fixed_size: 0
    .sgpr_count:     0
    .sgpr_spill_count: 0
    .symbol:         _ZN7rocprim17ROCPRIM_400000_NS6detail17trampoline_kernelINS0_14default_configENS1_25transform_config_selectorIxLb0EEEZNS1_14transform_implILb0ES3_S5_NS0_18transform_iteratorINS0_17counting_iteratorImlEEZNS1_24adjacent_difference_implIS3_Lb1ELb0EPxSB_N6thrust23THRUST_200600_302600_NS4plusIxEEEE10hipError_tPvRmT2_T3_mT4_P12ihipStream_tbEUlmE_xEESB_NS0_8identityIvEEEESG_SJ_SK_mSL_SN_bEUlT_E_NS1_11comp_targetILNS1_3genE4ELNS1_11target_archE910ELNS1_3gpuE8ELNS1_3repE0EEENS1_30default_config_static_selectorELNS0_4arch9wavefront6targetE0EEEvT1_.kd
    .uniform_work_group_size: 1
    .uses_dynamic_stack: false
    .vgpr_count:     0
    .vgpr_spill_count: 0
    .wavefront_size: 32
    .workgroup_processor_mode: 1
  - .args:
      - .offset:         0
        .size:           56
        .value_kind:     by_value
    .group_segment_fixed_size: 0
    .kernarg_segment_align: 8
    .kernarg_segment_size: 56
    .language:       OpenCL C
    .language_version:
      - 2
      - 0
    .max_flat_workgroup_size: 128
    .name:           _ZN7rocprim17ROCPRIM_400000_NS6detail17trampoline_kernelINS0_14default_configENS1_25transform_config_selectorIxLb0EEEZNS1_14transform_implILb0ES3_S5_NS0_18transform_iteratorINS0_17counting_iteratorImlEEZNS1_24adjacent_difference_implIS3_Lb1ELb0EPxSB_N6thrust23THRUST_200600_302600_NS4plusIxEEEE10hipError_tPvRmT2_T3_mT4_P12ihipStream_tbEUlmE_xEESB_NS0_8identityIvEEEESG_SJ_SK_mSL_SN_bEUlT_E_NS1_11comp_targetILNS1_3genE3ELNS1_11target_archE908ELNS1_3gpuE7ELNS1_3repE0EEENS1_30default_config_static_selectorELNS0_4arch9wavefront6targetE0EEEvT1_
    .private_segment_fixed_size: 0
    .sgpr_count:     0
    .sgpr_spill_count: 0
    .symbol:         _ZN7rocprim17ROCPRIM_400000_NS6detail17trampoline_kernelINS0_14default_configENS1_25transform_config_selectorIxLb0EEEZNS1_14transform_implILb0ES3_S5_NS0_18transform_iteratorINS0_17counting_iteratorImlEEZNS1_24adjacent_difference_implIS3_Lb1ELb0EPxSB_N6thrust23THRUST_200600_302600_NS4plusIxEEEE10hipError_tPvRmT2_T3_mT4_P12ihipStream_tbEUlmE_xEESB_NS0_8identityIvEEEESG_SJ_SK_mSL_SN_bEUlT_E_NS1_11comp_targetILNS1_3genE3ELNS1_11target_archE908ELNS1_3gpuE7ELNS1_3repE0EEENS1_30default_config_static_selectorELNS0_4arch9wavefront6targetE0EEEvT1_.kd
    .uniform_work_group_size: 1
    .uses_dynamic_stack: false
    .vgpr_count:     0
    .vgpr_spill_count: 0
    .wavefront_size: 32
    .workgroup_processor_mode: 1
  - .args:
      - .offset:         0
        .size:           56
        .value_kind:     by_value
    .group_segment_fixed_size: 0
    .kernarg_segment_align: 8
    .kernarg_segment_size: 56
    .language:       OpenCL C
    .language_version:
      - 2
      - 0
    .max_flat_workgroup_size: 512
    .name:           _ZN7rocprim17ROCPRIM_400000_NS6detail17trampoline_kernelINS0_14default_configENS1_25transform_config_selectorIxLb0EEEZNS1_14transform_implILb0ES3_S5_NS0_18transform_iteratorINS0_17counting_iteratorImlEEZNS1_24adjacent_difference_implIS3_Lb1ELb0EPxSB_N6thrust23THRUST_200600_302600_NS4plusIxEEEE10hipError_tPvRmT2_T3_mT4_P12ihipStream_tbEUlmE_xEESB_NS0_8identityIvEEEESG_SJ_SK_mSL_SN_bEUlT_E_NS1_11comp_targetILNS1_3genE2ELNS1_11target_archE906ELNS1_3gpuE6ELNS1_3repE0EEENS1_30default_config_static_selectorELNS0_4arch9wavefront6targetE0EEEvT1_
    .private_segment_fixed_size: 0
    .sgpr_count:     0
    .sgpr_spill_count: 0
    .symbol:         _ZN7rocprim17ROCPRIM_400000_NS6detail17trampoline_kernelINS0_14default_configENS1_25transform_config_selectorIxLb0EEEZNS1_14transform_implILb0ES3_S5_NS0_18transform_iteratorINS0_17counting_iteratorImlEEZNS1_24adjacent_difference_implIS3_Lb1ELb0EPxSB_N6thrust23THRUST_200600_302600_NS4plusIxEEEE10hipError_tPvRmT2_T3_mT4_P12ihipStream_tbEUlmE_xEESB_NS0_8identityIvEEEESG_SJ_SK_mSL_SN_bEUlT_E_NS1_11comp_targetILNS1_3genE2ELNS1_11target_archE906ELNS1_3gpuE6ELNS1_3repE0EEENS1_30default_config_static_selectorELNS0_4arch9wavefront6targetE0EEEvT1_.kd
    .uniform_work_group_size: 1
    .uses_dynamic_stack: false
    .vgpr_count:     0
    .vgpr_spill_count: 0
    .wavefront_size: 32
    .workgroup_processor_mode: 1
  - .args:
      - .offset:         0
        .size:           56
        .value_kind:     by_value
    .group_segment_fixed_size: 0
    .kernarg_segment_align: 8
    .kernarg_segment_size: 56
    .language:       OpenCL C
    .language_version:
      - 2
      - 0
    .max_flat_workgroup_size: 1024
    .name:           _ZN7rocprim17ROCPRIM_400000_NS6detail17trampoline_kernelINS0_14default_configENS1_25transform_config_selectorIxLb0EEEZNS1_14transform_implILb0ES3_S5_NS0_18transform_iteratorINS0_17counting_iteratorImlEEZNS1_24adjacent_difference_implIS3_Lb1ELb0EPxSB_N6thrust23THRUST_200600_302600_NS4plusIxEEEE10hipError_tPvRmT2_T3_mT4_P12ihipStream_tbEUlmE_xEESB_NS0_8identityIvEEEESG_SJ_SK_mSL_SN_bEUlT_E_NS1_11comp_targetILNS1_3genE10ELNS1_11target_archE1201ELNS1_3gpuE5ELNS1_3repE0EEENS1_30default_config_static_selectorELNS0_4arch9wavefront6targetE0EEEvT1_
    .private_segment_fixed_size: 0
    .sgpr_count:     0
    .sgpr_spill_count: 0
    .symbol:         _ZN7rocprim17ROCPRIM_400000_NS6detail17trampoline_kernelINS0_14default_configENS1_25transform_config_selectorIxLb0EEEZNS1_14transform_implILb0ES3_S5_NS0_18transform_iteratorINS0_17counting_iteratorImlEEZNS1_24adjacent_difference_implIS3_Lb1ELb0EPxSB_N6thrust23THRUST_200600_302600_NS4plusIxEEEE10hipError_tPvRmT2_T3_mT4_P12ihipStream_tbEUlmE_xEESB_NS0_8identityIvEEEESG_SJ_SK_mSL_SN_bEUlT_E_NS1_11comp_targetILNS1_3genE10ELNS1_11target_archE1201ELNS1_3gpuE5ELNS1_3repE0EEENS1_30default_config_static_selectorELNS0_4arch9wavefront6targetE0EEEvT1_.kd
    .uniform_work_group_size: 1
    .uses_dynamic_stack: false
    .vgpr_count:     0
    .vgpr_spill_count: 0
    .wavefront_size: 32
    .workgroup_processor_mode: 1
  - .args:
      - .offset:         0
        .size:           56
        .value_kind:     by_value
    .group_segment_fixed_size: 0
    .kernarg_segment_align: 8
    .kernarg_segment_size: 56
    .language:       OpenCL C
    .language_version:
      - 2
      - 0
    .max_flat_workgroup_size: 512
    .name:           _ZN7rocprim17ROCPRIM_400000_NS6detail17trampoline_kernelINS0_14default_configENS1_25transform_config_selectorIxLb0EEEZNS1_14transform_implILb0ES3_S5_NS0_18transform_iteratorINS0_17counting_iteratorImlEEZNS1_24adjacent_difference_implIS3_Lb1ELb0EPxSB_N6thrust23THRUST_200600_302600_NS4plusIxEEEE10hipError_tPvRmT2_T3_mT4_P12ihipStream_tbEUlmE_xEESB_NS0_8identityIvEEEESG_SJ_SK_mSL_SN_bEUlT_E_NS1_11comp_targetILNS1_3genE10ELNS1_11target_archE1200ELNS1_3gpuE4ELNS1_3repE0EEENS1_30default_config_static_selectorELNS0_4arch9wavefront6targetE0EEEvT1_
    .private_segment_fixed_size: 0
    .sgpr_count:     0
    .sgpr_spill_count: 0
    .symbol:         _ZN7rocprim17ROCPRIM_400000_NS6detail17trampoline_kernelINS0_14default_configENS1_25transform_config_selectorIxLb0EEEZNS1_14transform_implILb0ES3_S5_NS0_18transform_iteratorINS0_17counting_iteratorImlEEZNS1_24adjacent_difference_implIS3_Lb1ELb0EPxSB_N6thrust23THRUST_200600_302600_NS4plusIxEEEE10hipError_tPvRmT2_T3_mT4_P12ihipStream_tbEUlmE_xEESB_NS0_8identityIvEEEESG_SJ_SK_mSL_SN_bEUlT_E_NS1_11comp_targetILNS1_3genE10ELNS1_11target_archE1200ELNS1_3gpuE4ELNS1_3repE0EEENS1_30default_config_static_selectorELNS0_4arch9wavefront6targetE0EEEvT1_.kd
    .uniform_work_group_size: 1
    .uses_dynamic_stack: false
    .vgpr_count:     0
    .vgpr_spill_count: 0
    .wavefront_size: 32
    .workgroup_processor_mode: 1
  - .args:
      - .offset:         0
        .size:           56
        .value_kind:     by_value
      - .offset:         56
        .size:           4
        .value_kind:     hidden_block_count_x
      - .offset:         60
        .size:           4
        .value_kind:     hidden_block_count_y
      - .offset:         64
        .size:           4
        .value_kind:     hidden_block_count_z
      - .offset:         68
        .size:           2
        .value_kind:     hidden_group_size_x
      - .offset:         70
        .size:           2
        .value_kind:     hidden_group_size_y
      - .offset:         72
        .size:           2
        .value_kind:     hidden_group_size_z
      - .offset:         74
        .size:           2
        .value_kind:     hidden_remainder_x
      - .offset:         76
        .size:           2
        .value_kind:     hidden_remainder_y
      - .offset:         78
        .size:           2
        .value_kind:     hidden_remainder_z
      - .offset:         96
        .size:           8
        .value_kind:     hidden_global_offset_x
      - .offset:         104
        .size:           8
        .value_kind:     hidden_global_offset_y
      - .offset:         112
        .size:           8
        .value_kind:     hidden_global_offset_z
      - .offset:         120
        .size:           2
        .value_kind:     hidden_grid_dims
    .group_segment_fixed_size: 0
    .kernarg_segment_align: 8
    .kernarg_segment_size: 312
    .language:       OpenCL C
    .language_version:
      - 2
      - 0
    .max_flat_workgroup_size: 512
    .name:           _ZN7rocprim17ROCPRIM_400000_NS6detail17trampoline_kernelINS0_14default_configENS1_25transform_config_selectorIxLb0EEEZNS1_14transform_implILb0ES3_S5_NS0_18transform_iteratorINS0_17counting_iteratorImlEEZNS1_24adjacent_difference_implIS3_Lb1ELb0EPxSB_N6thrust23THRUST_200600_302600_NS4plusIxEEEE10hipError_tPvRmT2_T3_mT4_P12ihipStream_tbEUlmE_xEESB_NS0_8identityIvEEEESG_SJ_SK_mSL_SN_bEUlT_E_NS1_11comp_targetILNS1_3genE9ELNS1_11target_archE1100ELNS1_3gpuE3ELNS1_3repE0EEENS1_30default_config_static_selectorELNS0_4arch9wavefront6targetE0EEEvT1_
    .private_segment_fixed_size: 0
    .sgpr_count:     18
    .sgpr_spill_count: 0
    .symbol:         _ZN7rocprim17ROCPRIM_400000_NS6detail17trampoline_kernelINS0_14default_configENS1_25transform_config_selectorIxLb0EEEZNS1_14transform_implILb0ES3_S5_NS0_18transform_iteratorINS0_17counting_iteratorImlEEZNS1_24adjacent_difference_implIS3_Lb1ELb0EPxSB_N6thrust23THRUST_200600_302600_NS4plusIxEEEE10hipError_tPvRmT2_T3_mT4_P12ihipStream_tbEUlmE_xEESB_NS0_8identityIvEEEESG_SJ_SK_mSL_SN_bEUlT_E_NS1_11comp_targetILNS1_3genE9ELNS1_11target_archE1100ELNS1_3gpuE3ELNS1_3repE0EEENS1_30default_config_static_selectorELNS0_4arch9wavefront6targetE0EEEvT1_.kd
    .uniform_work_group_size: 1
    .uses_dynamic_stack: false
    .vgpr_count:     6
    .vgpr_spill_count: 0
    .wavefront_size: 32
    .workgroup_processor_mode: 1
  - .args:
      - .offset:         0
        .size:           56
        .value_kind:     by_value
    .group_segment_fixed_size: 0
    .kernarg_segment_align: 8
    .kernarg_segment_size: 56
    .language:       OpenCL C
    .language_version:
      - 2
      - 0
    .max_flat_workgroup_size: 512
    .name:           _ZN7rocprim17ROCPRIM_400000_NS6detail17trampoline_kernelINS0_14default_configENS1_25transform_config_selectorIxLb0EEEZNS1_14transform_implILb0ES3_S5_NS0_18transform_iteratorINS0_17counting_iteratorImlEEZNS1_24adjacent_difference_implIS3_Lb1ELb0EPxSB_N6thrust23THRUST_200600_302600_NS4plusIxEEEE10hipError_tPvRmT2_T3_mT4_P12ihipStream_tbEUlmE_xEESB_NS0_8identityIvEEEESG_SJ_SK_mSL_SN_bEUlT_E_NS1_11comp_targetILNS1_3genE8ELNS1_11target_archE1030ELNS1_3gpuE2ELNS1_3repE0EEENS1_30default_config_static_selectorELNS0_4arch9wavefront6targetE0EEEvT1_
    .private_segment_fixed_size: 0
    .sgpr_count:     0
    .sgpr_spill_count: 0
    .symbol:         _ZN7rocprim17ROCPRIM_400000_NS6detail17trampoline_kernelINS0_14default_configENS1_25transform_config_selectorIxLb0EEEZNS1_14transform_implILb0ES3_S5_NS0_18transform_iteratorINS0_17counting_iteratorImlEEZNS1_24adjacent_difference_implIS3_Lb1ELb0EPxSB_N6thrust23THRUST_200600_302600_NS4plusIxEEEE10hipError_tPvRmT2_T3_mT4_P12ihipStream_tbEUlmE_xEESB_NS0_8identityIvEEEESG_SJ_SK_mSL_SN_bEUlT_E_NS1_11comp_targetILNS1_3genE8ELNS1_11target_archE1030ELNS1_3gpuE2ELNS1_3repE0EEENS1_30default_config_static_selectorELNS0_4arch9wavefront6targetE0EEEvT1_.kd
    .uniform_work_group_size: 1
    .uses_dynamic_stack: false
    .vgpr_count:     0
    .vgpr_spill_count: 0
    .wavefront_size: 32
    .workgroup_processor_mode: 1
  - .args:
      - .offset:         0
        .size:           56
        .value_kind:     by_value
    .group_segment_fixed_size: 0
    .kernarg_segment_align: 8
    .kernarg_segment_size: 56
    .language:       OpenCL C
    .language_version:
      - 2
      - 0
    .max_flat_workgroup_size: 512
    .name:           _ZN7rocprim17ROCPRIM_400000_NS6detail17trampoline_kernelINS0_14default_configENS1_35adjacent_difference_config_selectorILb1ExEEZNS1_24adjacent_difference_implIS3_Lb1ELb0EPxS7_N6thrust23THRUST_200600_302600_NS4plusIxEEEE10hipError_tPvRmT2_T3_mT4_P12ihipStream_tbEUlT_E_NS1_11comp_targetILNS1_3genE0ELNS1_11target_archE4294967295ELNS1_3gpuE0ELNS1_3repE0EEENS1_30default_config_static_selectorELNS0_4arch9wavefront6targetE0EEEvT1_
    .private_segment_fixed_size: 0
    .sgpr_count:     0
    .sgpr_spill_count: 0
    .symbol:         _ZN7rocprim17ROCPRIM_400000_NS6detail17trampoline_kernelINS0_14default_configENS1_35adjacent_difference_config_selectorILb1ExEEZNS1_24adjacent_difference_implIS3_Lb1ELb0EPxS7_N6thrust23THRUST_200600_302600_NS4plusIxEEEE10hipError_tPvRmT2_T3_mT4_P12ihipStream_tbEUlT_E_NS1_11comp_targetILNS1_3genE0ELNS1_11target_archE4294967295ELNS1_3gpuE0ELNS1_3repE0EEENS1_30default_config_static_selectorELNS0_4arch9wavefront6targetE0EEEvT1_.kd
    .uniform_work_group_size: 1
    .uses_dynamic_stack: false
    .vgpr_count:     0
    .vgpr_spill_count: 0
    .wavefront_size: 32
    .workgroup_processor_mode: 1
  - .args:
      - .offset:         0
        .size:           56
        .value_kind:     by_value
    .group_segment_fixed_size: 0
    .kernarg_segment_align: 8
    .kernarg_segment_size: 56
    .language:       OpenCL C
    .language_version:
      - 2
      - 0
    .max_flat_workgroup_size: 32
    .name:           _ZN7rocprim17ROCPRIM_400000_NS6detail17trampoline_kernelINS0_14default_configENS1_35adjacent_difference_config_selectorILb1ExEEZNS1_24adjacent_difference_implIS3_Lb1ELb0EPxS7_N6thrust23THRUST_200600_302600_NS4plusIxEEEE10hipError_tPvRmT2_T3_mT4_P12ihipStream_tbEUlT_E_NS1_11comp_targetILNS1_3genE10ELNS1_11target_archE1201ELNS1_3gpuE5ELNS1_3repE0EEENS1_30default_config_static_selectorELNS0_4arch9wavefront6targetE0EEEvT1_
    .private_segment_fixed_size: 0
    .sgpr_count:     0
    .sgpr_spill_count: 0
    .symbol:         _ZN7rocprim17ROCPRIM_400000_NS6detail17trampoline_kernelINS0_14default_configENS1_35adjacent_difference_config_selectorILb1ExEEZNS1_24adjacent_difference_implIS3_Lb1ELb0EPxS7_N6thrust23THRUST_200600_302600_NS4plusIxEEEE10hipError_tPvRmT2_T3_mT4_P12ihipStream_tbEUlT_E_NS1_11comp_targetILNS1_3genE10ELNS1_11target_archE1201ELNS1_3gpuE5ELNS1_3repE0EEENS1_30default_config_static_selectorELNS0_4arch9wavefront6targetE0EEEvT1_.kd
    .uniform_work_group_size: 1
    .uses_dynamic_stack: false
    .vgpr_count:     0
    .vgpr_spill_count: 0
    .wavefront_size: 32
    .workgroup_processor_mode: 1
  - .args:
      - .offset:         0
        .size:           56
        .value_kind:     by_value
    .group_segment_fixed_size: 0
    .kernarg_segment_align: 8
    .kernarg_segment_size: 56
    .language:       OpenCL C
    .language_version:
      - 2
      - 0
    .max_flat_workgroup_size: 256
    .name:           _ZN7rocprim17ROCPRIM_400000_NS6detail17trampoline_kernelINS0_14default_configENS1_35adjacent_difference_config_selectorILb1ExEEZNS1_24adjacent_difference_implIS3_Lb1ELb0EPxS7_N6thrust23THRUST_200600_302600_NS4plusIxEEEE10hipError_tPvRmT2_T3_mT4_P12ihipStream_tbEUlT_E_NS1_11comp_targetILNS1_3genE5ELNS1_11target_archE942ELNS1_3gpuE9ELNS1_3repE0EEENS1_30default_config_static_selectorELNS0_4arch9wavefront6targetE0EEEvT1_
    .private_segment_fixed_size: 0
    .sgpr_count:     0
    .sgpr_spill_count: 0
    .symbol:         _ZN7rocprim17ROCPRIM_400000_NS6detail17trampoline_kernelINS0_14default_configENS1_35adjacent_difference_config_selectorILb1ExEEZNS1_24adjacent_difference_implIS3_Lb1ELb0EPxS7_N6thrust23THRUST_200600_302600_NS4plusIxEEEE10hipError_tPvRmT2_T3_mT4_P12ihipStream_tbEUlT_E_NS1_11comp_targetILNS1_3genE5ELNS1_11target_archE942ELNS1_3gpuE9ELNS1_3repE0EEENS1_30default_config_static_selectorELNS0_4arch9wavefront6targetE0EEEvT1_.kd
    .uniform_work_group_size: 1
    .uses_dynamic_stack: false
    .vgpr_count:     0
    .vgpr_spill_count: 0
    .wavefront_size: 32
    .workgroup_processor_mode: 1
  - .args:
      - .offset:         0
        .size:           56
        .value_kind:     by_value
    .group_segment_fixed_size: 0
    .kernarg_segment_align: 8
    .kernarg_segment_size: 56
    .language:       OpenCL C
    .language_version:
      - 2
      - 0
    .max_flat_workgroup_size: 512
    .name:           _ZN7rocprim17ROCPRIM_400000_NS6detail17trampoline_kernelINS0_14default_configENS1_35adjacent_difference_config_selectorILb1ExEEZNS1_24adjacent_difference_implIS3_Lb1ELb0EPxS7_N6thrust23THRUST_200600_302600_NS4plusIxEEEE10hipError_tPvRmT2_T3_mT4_P12ihipStream_tbEUlT_E_NS1_11comp_targetILNS1_3genE4ELNS1_11target_archE910ELNS1_3gpuE8ELNS1_3repE0EEENS1_30default_config_static_selectorELNS0_4arch9wavefront6targetE0EEEvT1_
    .private_segment_fixed_size: 0
    .sgpr_count:     0
    .sgpr_spill_count: 0
    .symbol:         _ZN7rocprim17ROCPRIM_400000_NS6detail17trampoline_kernelINS0_14default_configENS1_35adjacent_difference_config_selectorILb1ExEEZNS1_24adjacent_difference_implIS3_Lb1ELb0EPxS7_N6thrust23THRUST_200600_302600_NS4plusIxEEEE10hipError_tPvRmT2_T3_mT4_P12ihipStream_tbEUlT_E_NS1_11comp_targetILNS1_3genE4ELNS1_11target_archE910ELNS1_3gpuE8ELNS1_3repE0EEENS1_30default_config_static_selectorELNS0_4arch9wavefront6targetE0EEEvT1_.kd
    .uniform_work_group_size: 1
    .uses_dynamic_stack: false
    .vgpr_count:     0
    .vgpr_spill_count: 0
    .wavefront_size: 32
    .workgroup_processor_mode: 1
  - .args:
      - .offset:         0
        .size:           56
        .value_kind:     by_value
    .group_segment_fixed_size: 0
    .kernarg_segment_align: 8
    .kernarg_segment_size: 56
    .language:       OpenCL C
    .language_version:
      - 2
      - 0
    .max_flat_workgroup_size: 512
    .name:           _ZN7rocprim17ROCPRIM_400000_NS6detail17trampoline_kernelINS0_14default_configENS1_35adjacent_difference_config_selectorILb1ExEEZNS1_24adjacent_difference_implIS3_Lb1ELb0EPxS7_N6thrust23THRUST_200600_302600_NS4plusIxEEEE10hipError_tPvRmT2_T3_mT4_P12ihipStream_tbEUlT_E_NS1_11comp_targetILNS1_3genE3ELNS1_11target_archE908ELNS1_3gpuE7ELNS1_3repE0EEENS1_30default_config_static_selectorELNS0_4arch9wavefront6targetE0EEEvT1_
    .private_segment_fixed_size: 0
    .sgpr_count:     0
    .sgpr_spill_count: 0
    .symbol:         _ZN7rocprim17ROCPRIM_400000_NS6detail17trampoline_kernelINS0_14default_configENS1_35adjacent_difference_config_selectorILb1ExEEZNS1_24adjacent_difference_implIS3_Lb1ELb0EPxS7_N6thrust23THRUST_200600_302600_NS4plusIxEEEE10hipError_tPvRmT2_T3_mT4_P12ihipStream_tbEUlT_E_NS1_11comp_targetILNS1_3genE3ELNS1_11target_archE908ELNS1_3gpuE7ELNS1_3repE0EEENS1_30default_config_static_selectorELNS0_4arch9wavefront6targetE0EEEvT1_.kd
    .uniform_work_group_size: 1
    .uses_dynamic_stack: false
    .vgpr_count:     0
    .vgpr_spill_count: 0
    .wavefront_size: 32
    .workgroup_processor_mode: 1
  - .args:
      - .offset:         0
        .size:           56
        .value_kind:     by_value
    .group_segment_fixed_size: 0
    .kernarg_segment_align: 8
    .kernarg_segment_size: 56
    .language:       OpenCL C
    .language_version:
      - 2
      - 0
    .max_flat_workgroup_size: 128
    .name:           _ZN7rocprim17ROCPRIM_400000_NS6detail17trampoline_kernelINS0_14default_configENS1_35adjacent_difference_config_selectorILb1ExEEZNS1_24adjacent_difference_implIS3_Lb1ELb0EPxS7_N6thrust23THRUST_200600_302600_NS4plusIxEEEE10hipError_tPvRmT2_T3_mT4_P12ihipStream_tbEUlT_E_NS1_11comp_targetILNS1_3genE2ELNS1_11target_archE906ELNS1_3gpuE6ELNS1_3repE0EEENS1_30default_config_static_selectorELNS0_4arch9wavefront6targetE0EEEvT1_
    .private_segment_fixed_size: 0
    .sgpr_count:     0
    .sgpr_spill_count: 0
    .symbol:         _ZN7rocprim17ROCPRIM_400000_NS6detail17trampoline_kernelINS0_14default_configENS1_35adjacent_difference_config_selectorILb1ExEEZNS1_24adjacent_difference_implIS3_Lb1ELb0EPxS7_N6thrust23THRUST_200600_302600_NS4plusIxEEEE10hipError_tPvRmT2_T3_mT4_P12ihipStream_tbEUlT_E_NS1_11comp_targetILNS1_3genE2ELNS1_11target_archE906ELNS1_3gpuE6ELNS1_3repE0EEENS1_30default_config_static_selectorELNS0_4arch9wavefront6targetE0EEEvT1_.kd
    .uniform_work_group_size: 1
    .uses_dynamic_stack: false
    .vgpr_count:     0
    .vgpr_spill_count: 0
    .wavefront_size: 32
    .workgroup_processor_mode: 1
  - .args:
      - .offset:         0
        .size:           56
        .value_kind:     by_value
    .group_segment_fixed_size: 29696
    .kernarg_segment_align: 8
    .kernarg_segment_size: 56
    .language:       OpenCL C
    .language_version:
      - 2
      - 0
    .max_flat_workgroup_size: 128
    .name:           _ZN7rocprim17ROCPRIM_400000_NS6detail17trampoline_kernelINS0_14default_configENS1_35adjacent_difference_config_selectorILb1ExEEZNS1_24adjacent_difference_implIS3_Lb1ELb0EPxS7_N6thrust23THRUST_200600_302600_NS4plusIxEEEE10hipError_tPvRmT2_T3_mT4_P12ihipStream_tbEUlT_E_NS1_11comp_targetILNS1_3genE9ELNS1_11target_archE1100ELNS1_3gpuE3ELNS1_3repE0EEENS1_30default_config_static_selectorELNS0_4arch9wavefront6targetE0EEEvT1_
    .private_segment_fixed_size: 0
    .sgpr_count:     28
    .sgpr_spill_count: 0
    .symbol:         _ZN7rocprim17ROCPRIM_400000_NS6detail17trampoline_kernelINS0_14default_configENS1_35adjacent_difference_config_selectorILb1ExEEZNS1_24adjacent_difference_implIS3_Lb1ELb0EPxS7_N6thrust23THRUST_200600_302600_NS4plusIxEEEE10hipError_tPvRmT2_T3_mT4_P12ihipStream_tbEUlT_E_NS1_11comp_targetILNS1_3genE9ELNS1_11target_archE1100ELNS1_3gpuE3ELNS1_3repE0EEENS1_30default_config_static_selectorELNS0_4arch9wavefront6targetE0EEEvT1_.kd
    .uniform_work_group_size: 1
    .uses_dynamic_stack: false
    .vgpr_count:     122
    .vgpr_spill_count: 0
    .wavefront_size: 32
    .workgroup_processor_mode: 1
  - .args:
      - .offset:         0
        .size:           56
        .value_kind:     by_value
    .group_segment_fixed_size: 0
    .kernarg_segment_align: 8
    .kernarg_segment_size: 56
    .language:       OpenCL C
    .language_version:
      - 2
      - 0
    .max_flat_workgroup_size: 32
    .name:           _ZN7rocprim17ROCPRIM_400000_NS6detail17trampoline_kernelINS0_14default_configENS1_35adjacent_difference_config_selectorILb1ExEEZNS1_24adjacent_difference_implIS3_Lb1ELb0EPxS7_N6thrust23THRUST_200600_302600_NS4plusIxEEEE10hipError_tPvRmT2_T3_mT4_P12ihipStream_tbEUlT_E_NS1_11comp_targetILNS1_3genE8ELNS1_11target_archE1030ELNS1_3gpuE2ELNS1_3repE0EEENS1_30default_config_static_selectorELNS0_4arch9wavefront6targetE0EEEvT1_
    .private_segment_fixed_size: 0
    .sgpr_count:     0
    .sgpr_spill_count: 0
    .symbol:         _ZN7rocprim17ROCPRIM_400000_NS6detail17trampoline_kernelINS0_14default_configENS1_35adjacent_difference_config_selectorILb1ExEEZNS1_24adjacent_difference_implIS3_Lb1ELb0EPxS7_N6thrust23THRUST_200600_302600_NS4plusIxEEEE10hipError_tPvRmT2_T3_mT4_P12ihipStream_tbEUlT_E_NS1_11comp_targetILNS1_3genE8ELNS1_11target_archE1030ELNS1_3gpuE2ELNS1_3repE0EEENS1_30default_config_static_selectorELNS0_4arch9wavefront6targetE0EEEvT1_.kd
    .uniform_work_group_size: 1
    .uses_dynamic_stack: false
    .vgpr_count:     0
    .vgpr_spill_count: 0
    .wavefront_size: 32
    .workgroup_processor_mode: 1
  - .args:
      - .offset:         0
        .size:           56
        .value_kind:     by_value
    .group_segment_fixed_size: 0
    .kernarg_segment_align: 8
    .kernarg_segment_size: 56
    .language:       OpenCL C
    .language_version:
      - 2
      - 0
    .max_flat_workgroup_size: 128
    .name:           _ZN7rocprim17ROCPRIM_400000_NS6detail17trampoline_kernelINS0_14default_configENS1_35adjacent_difference_config_selectorILb0EiEEZNS1_24adjacent_difference_implIS3_Lb0ELb0EPiS7_N6thrust23THRUST_200600_302600_NS5minusIiEEEE10hipError_tPvRmT2_T3_mT4_P12ihipStream_tbEUlT_E_NS1_11comp_targetILNS1_3genE0ELNS1_11target_archE4294967295ELNS1_3gpuE0ELNS1_3repE0EEENS1_30default_config_static_selectorELNS0_4arch9wavefront6targetE0EEEvT1_
    .private_segment_fixed_size: 0
    .sgpr_count:     0
    .sgpr_spill_count: 0
    .symbol:         _ZN7rocprim17ROCPRIM_400000_NS6detail17trampoline_kernelINS0_14default_configENS1_35adjacent_difference_config_selectorILb0EiEEZNS1_24adjacent_difference_implIS3_Lb0ELb0EPiS7_N6thrust23THRUST_200600_302600_NS5minusIiEEEE10hipError_tPvRmT2_T3_mT4_P12ihipStream_tbEUlT_E_NS1_11comp_targetILNS1_3genE0ELNS1_11target_archE4294967295ELNS1_3gpuE0ELNS1_3repE0EEENS1_30default_config_static_selectorELNS0_4arch9wavefront6targetE0EEEvT1_.kd
    .uniform_work_group_size: 1
    .uses_dynamic_stack: false
    .vgpr_count:     0
    .vgpr_spill_count: 0
    .wavefront_size: 32
    .workgroup_processor_mode: 1
  - .args:
      - .offset:         0
        .size:           56
        .value_kind:     by_value
    .group_segment_fixed_size: 0
    .kernarg_segment_align: 8
    .kernarg_segment_size: 56
    .language:       OpenCL C
    .language_version:
      - 2
      - 0
    .max_flat_workgroup_size: 128
    .name:           _ZN7rocprim17ROCPRIM_400000_NS6detail17trampoline_kernelINS0_14default_configENS1_35adjacent_difference_config_selectorILb0EiEEZNS1_24adjacent_difference_implIS3_Lb0ELb0EPiS7_N6thrust23THRUST_200600_302600_NS5minusIiEEEE10hipError_tPvRmT2_T3_mT4_P12ihipStream_tbEUlT_E_NS1_11comp_targetILNS1_3genE10ELNS1_11target_archE1201ELNS1_3gpuE5ELNS1_3repE0EEENS1_30default_config_static_selectorELNS0_4arch9wavefront6targetE0EEEvT1_
    .private_segment_fixed_size: 0
    .sgpr_count:     0
    .sgpr_spill_count: 0
    .symbol:         _ZN7rocprim17ROCPRIM_400000_NS6detail17trampoline_kernelINS0_14default_configENS1_35adjacent_difference_config_selectorILb0EiEEZNS1_24adjacent_difference_implIS3_Lb0ELb0EPiS7_N6thrust23THRUST_200600_302600_NS5minusIiEEEE10hipError_tPvRmT2_T3_mT4_P12ihipStream_tbEUlT_E_NS1_11comp_targetILNS1_3genE10ELNS1_11target_archE1201ELNS1_3gpuE5ELNS1_3repE0EEENS1_30default_config_static_selectorELNS0_4arch9wavefront6targetE0EEEvT1_.kd
    .uniform_work_group_size: 1
    .uses_dynamic_stack: false
    .vgpr_count:     0
    .vgpr_spill_count: 0
    .wavefront_size: 32
    .workgroup_processor_mode: 1
  - .args:
      - .offset:         0
        .size:           56
        .value_kind:     by_value
    .group_segment_fixed_size: 0
    .kernarg_segment_align: 8
    .kernarg_segment_size: 56
    .language:       OpenCL C
    .language_version:
      - 2
      - 0
    .max_flat_workgroup_size: 64
    .name:           _ZN7rocprim17ROCPRIM_400000_NS6detail17trampoline_kernelINS0_14default_configENS1_35adjacent_difference_config_selectorILb0EiEEZNS1_24adjacent_difference_implIS3_Lb0ELb0EPiS7_N6thrust23THRUST_200600_302600_NS5minusIiEEEE10hipError_tPvRmT2_T3_mT4_P12ihipStream_tbEUlT_E_NS1_11comp_targetILNS1_3genE5ELNS1_11target_archE942ELNS1_3gpuE9ELNS1_3repE0EEENS1_30default_config_static_selectorELNS0_4arch9wavefront6targetE0EEEvT1_
    .private_segment_fixed_size: 0
    .sgpr_count:     0
    .sgpr_spill_count: 0
    .symbol:         _ZN7rocprim17ROCPRIM_400000_NS6detail17trampoline_kernelINS0_14default_configENS1_35adjacent_difference_config_selectorILb0EiEEZNS1_24adjacent_difference_implIS3_Lb0ELb0EPiS7_N6thrust23THRUST_200600_302600_NS5minusIiEEEE10hipError_tPvRmT2_T3_mT4_P12ihipStream_tbEUlT_E_NS1_11comp_targetILNS1_3genE5ELNS1_11target_archE942ELNS1_3gpuE9ELNS1_3repE0EEENS1_30default_config_static_selectorELNS0_4arch9wavefront6targetE0EEEvT1_.kd
    .uniform_work_group_size: 1
    .uses_dynamic_stack: false
    .vgpr_count:     0
    .vgpr_spill_count: 0
    .wavefront_size: 32
    .workgroup_processor_mode: 1
  - .args:
      - .offset:         0
        .size:           56
        .value_kind:     by_value
    .group_segment_fixed_size: 0
    .kernarg_segment_align: 8
    .kernarg_segment_size: 56
    .language:       OpenCL C
    .language_version:
      - 2
      - 0
    .max_flat_workgroup_size: 512
    .name:           _ZN7rocprim17ROCPRIM_400000_NS6detail17trampoline_kernelINS0_14default_configENS1_35adjacent_difference_config_selectorILb0EiEEZNS1_24adjacent_difference_implIS3_Lb0ELb0EPiS7_N6thrust23THRUST_200600_302600_NS5minusIiEEEE10hipError_tPvRmT2_T3_mT4_P12ihipStream_tbEUlT_E_NS1_11comp_targetILNS1_3genE4ELNS1_11target_archE910ELNS1_3gpuE8ELNS1_3repE0EEENS1_30default_config_static_selectorELNS0_4arch9wavefront6targetE0EEEvT1_
    .private_segment_fixed_size: 0
    .sgpr_count:     0
    .sgpr_spill_count: 0
    .symbol:         _ZN7rocprim17ROCPRIM_400000_NS6detail17trampoline_kernelINS0_14default_configENS1_35adjacent_difference_config_selectorILb0EiEEZNS1_24adjacent_difference_implIS3_Lb0ELb0EPiS7_N6thrust23THRUST_200600_302600_NS5minusIiEEEE10hipError_tPvRmT2_T3_mT4_P12ihipStream_tbEUlT_E_NS1_11comp_targetILNS1_3genE4ELNS1_11target_archE910ELNS1_3gpuE8ELNS1_3repE0EEENS1_30default_config_static_selectorELNS0_4arch9wavefront6targetE0EEEvT1_.kd
    .uniform_work_group_size: 1
    .uses_dynamic_stack: false
    .vgpr_count:     0
    .vgpr_spill_count: 0
    .wavefront_size: 32
    .workgroup_processor_mode: 1
  - .args:
      - .offset:         0
        .size:           56
        .value_kind:     by_value
    .group_segment_fixed_size: 0
    .kernarg_segment_align: 8
    .kernarg_segment_size: 56
    .language:       OpenCL C
    .language_version:
      - 2
      - 0
    .max_flat_workgroup_size: 128
    .name:           _ZN7rocprim17ROCPRIM_400000_NS6detail17trampoline_kernelINS0_14default_configENS1_35adjacent_difference_config_selectorILb0EiEEZNS1_24adjacent_difference_implIS3_Lb0ELb0EPiS7_N6thrust23THRUST_200600_302600_NS5minusIiEEEE10hipError_tPvRmT2_T3_mT4_P12ihipStream_tbEUlT_E_NS1_11comp_targetILNS1_3genE3ELNS1_11target_archE908ELNS1_3gpuE7ELNS1_3repE0EEENS1_30default_config_static_selectorELNS0_4arch9wavefront6targetE0EEEvT1_
    .private_segment_fixed_size: 0
    .sgpr_count:     0
    .sgpr_spill_count: 0
    .symbol:         _ZN7rocprim17ROCPRIM_400000_NS6detail17trampoline_kernelINS0_14default_configENS1_35adjacent_difference_config_selectorILb0EiEEZNS1_24adjacent_difference_implIS3_Lb0ELb0EPiS7_N6thrust23THRUST_200600_302600_NS5minusIiEEEE10hipError_tPvRmT2_T3_mT4_P12ihipStream_tbEUlT_E_NS1_11comp_targetILNS1_3genE3ELNS1_11target_archE908ELNS1_3gpuE7ELNS1_3repE0EEENS1_30default_config_static_selectorELNS0_4arch9wavefront6targetE0EEEvT1_.kd
    .uniform_work_group_size: 1
    .uses_dynamic_stack: false
    .vgpr_count:     0
    .vgpr_spill_count: 0
    .wavefront_size: 32
    .workgroup_processor_mode: 1
  - .args:
      - .offset:         0
        .size:           56
        .value_kind:     by_value
    .group_segment_fixed_size: 0
    .kernarg_segment_align: 8
    .kernarg_segment_size: 56
    .language:       OpenCL C
    .language_version:
      - 2
      - 0
    .max_flat_workgroup_size: 1024
    .name:           _ZN7rocprim17ROCPRIM_400000_NS6detail17trampoline_kernelINS0_14default_configENS1_35adjacent_difference_config_selectorILb0EiEEZNS1_24adjacent_difference_implIS3_Lb0ELb0EPiS7_N6thrust23THRUST_200600_302600_NS5minusIiEEEE10hipError_tPvRmT2_T3_mT4_P12ihipStream_tbEUlT_E_NS1_11comp_targetILNS1_3genE2ELNS1_11target_archE906ELNS1_3gpuE6ELNS1_3repE0EEENS1_30default_config_static_selectorELNS0_4arch9wavefront6targetE0EEEvT1_
    .private_segment_fixed_size: 0
    .sgpr_count:     0
    .sgpr_spill_count: 0
    .symbol:         _ZN7rocprim17ROCPRIM_400000_NS6detail17trampoline_kernelINS0_14default_configENS1_35adjacent_difference_config_selectorILb0EiEEZNS1_24adjacent_difference_implIS3_Lb0ELb0EPiS7_N6thrust23THRUST_200600_302600_NS5minusIiEEEE10hipError_tPvRmT2_T3_mT4_P12ihipStream_tbEUlT_E_NS1_11comp_targetILNS1_3genE2ELNS1_11target_archE906ELNS1_3gpuE6ELNS1_3repE0EEENS1_30default_config_static_selectorELNS0_4arch9wavefront6targetE0EEEvT1_.kd
    .uniform_work_group_size: 1
    .uses_dynamic_stack: false
    .vgpr_count:     0
    .vgpr_spill_count: 0
    .wavefront_size: 32
    .workgroup_processor_mode: 1
  - .args:
      - .offset:         0
        .size:           56
        .value_kind:     by_value
    .group_segment_fixed_size: 20480
    .kernarg_segment_align: 8
    .kernarg_segment_size: 56
    .language:       OpenCL C
    .language_version:
      - 2
      - 0
    .max_flat_workgroup_size: 1024
    .name:           _ZN7rocprim17ROCPRIM_400000_NS6detail17trampoline_kernelINS0_14default_configENS1_35adjacent_difference_config_selectorILb0EiEEZNS1_24adjacent_difference_implIS3_Lb0ELb0EPiS7_N6thrust23THRUST_200600_302600_NS5minusIiEEEE10hipError_tPvRmT2_T3_mT4_P12ihipStream_tbEUlT_E_NS1_11comp_targetILNS1_3genE9ELNS1_11target_archE1100ELNS1_3gpuE3ELNS1_3repE0EEENS1_30default_config_static_selectorELNS0_4arch9wavefront6targetE0EEEvT1_
    .private_segment_fixed_size: 0
    .sgpr_count:     23
    .sgpr_spill_count: 0
    .symbol:         _ZN7rocprim17ROCPRIM_400000_NS6detail17trampoline_kernelINS0_14default_configENS1_35adjacent_difference_config_selectorILb0EiEEZNS1_24adjacent_difference_implIS3_Lb0ELb0EPiS7_N6thrust23THRUST_200600_302600_NS5minusIiEEEE10hipError_tPvRmT2_T3_mT4_P12ihipStream_tbEUlT_E_NS1_11comp_targetILNS1_3genE9ELNS1_11target_archE1100ELNS1_3gpuE3ELNS1_3repE0EEENS1_30default_config_static_selectorELNS0_4arch9wavefront6targetE0EEEvT1_.kd
    .uniform_work_group_size: 1
    .uses_dynamic_stack: false
    .vgpr_count:     17
    .vgpr_spill_count: 0
    .wavefront_size: 32
    .workgroup_processor_mode: 1
  - .args:
      - .offset:         0
        .size:           56
        .value_kind:     by_value
    .group_segment_fixed_size: 0
    .kernarg_segment_align: 8
    .kernarg_segment_size: 56
    .language:       OpenCL C
    .language_version:
      - 2
      - 0
    .max_flat_workgroup_size: 1024
    .name:           _ZN7rocprim17ROCPRIM_400000_NS6detail17trampoline_kernelINS0_14default_configENS1_35adjacent_difference_config_selectorILb0EiEEZNS1_24adjacent_difference_implIS3_Lb0ELb0EPiS7_N6thrust23THRUST_200600_302600_NS5minusIiEEEE10hipError_tPvRmT2_T3_mT4_P12ihipStream_tbEUlT_E_NS1_11comp_targetILNS1_3genE8ELNS1_11target_archE1030ELNS1_3gpuE2ELNS1_3repE0EEENS1_30default_config_static_selectorELNS0_4arch9wavefront6targetE0EEEvT1_
    .private_segment_fixed_size: 0
    .sgpr_count:     0
    .sgpr_spill_count: 0
    .symbol:         _ZN7rocprim17ROCPRIM_400000_NS6detail17trampoline_kernelINS0_14default_configENS1_35adjacent_difference_config_selectorILb0EiEEZNS1_24adjacent_difference_implIS3_Lb0ELb0EPiS7_N6thrust23THRUST_200600_302600_NS5minusIiEEEE10hipError_tPvRmT2_T3_mT4_P12ihipStream_tbEUlT_E_NS1_11comp_targetILNS1_3genE8ELNS1_11target_archE1030ELNS1_3gpuE2ELNS1_3repE0EEENS1_30default_config_static_selectorELNS0_4arch9wavefront6targetE0EEEvT1_.kd
    .uniform_work_group_size: 1
    .uses_dynamic_stack: false
    .vgpr_count:     0
    .vgpr_spill_count: 0
    .wavefront_size: 32
    .workgroup_processor_mode: 1
  - .args:
      - .offset:         0
        .size:           56
        .value_kind:     by_value
    .group_segment_fixed_size: 0
    .kernarg_segment_align: 8
    .kernarg_segment_size: 56
    .language:       OpenCL C
    .language_version:
      - 2
      - 0
    .max_flat_workgroup_size: 128
    .name:           _ZN7rocprim17ROCPRIM_400000_NS6detail17trampoline_kernelINS0_14default_configENS1_25transform_config_selectorIiLb0EEEZNS1_14transform_implILb0ES3_S5_NS0_18transform_iteratorINS0_17counting_iteratorImlEEZNS1_24adjacent_difference_implIS3_Lb1ELb0EPiSB_N6thrust23THRUST_200600_302600_NS5minusIiEEEE10hipError_tPvRmT2_T3_mT4_P12ihipStream_tbEUlmE_iEESB_NS0_8identityIvEEEESG_SJ_SK_mSL_SN_bEUlT_E_NS1_11comp_targetILNS1_3genE0ELNS1_11target_archE4294967295ELNS1_3gpuE0ELNS1_3repE0EEENS1_30default_config_static_selectorELNS0_4arch9wavefront6targetE0EEEvT1_
    .private_segment_fixed_size: 0
    .sgpr_count:     0
    .sgpr_spill_count: 0
    .symbol:         _ZN7rocprim17ROCPRIM_400000_NS6detail17trampoline_kernelINS0_14default_configENS1_25transform_config_selectorIiLb0EEEZNS1_14transform_implILb0ES3_S5_NS0_18transform_iteratorINS0_17counting_iteratorImlEEZNS1_24adjacent_difference_implIS3_Lb1ELb0EPiSB_N6thrust23THRUST_200600_302600_NS5minusIiEEEE10hipError_tPvRmT2_T3_mT4_P12ihipStream_tbEUlmE_iEESB_NS0_8identityIvEEEESG_SJ_SK_mSL_SN_bEUlT_E_NS1_11comp_targetILNS1_3genE0ELNS1_11target_archE4294967295ELNS1_3gpuE0ELNS1_3repE0EEENS1_30default_config_static_selectorELNS0_4arch9wavefront6targetE0EEEvT1_.kd
    .uniform_work_group_size: 1
    .uses_dynamic_stack: false
    .vgpr_count:     0
    .vgpr_spill_count: 0
    .wavefront_size: 32
    .workgroup_processor_mode: 1
  - .args:
      - .offset:         0
        .size:           56
        .value_kind:     by_value
    .group_segment_fixed_size: 0
    .kernarg_segment_align: 8
    .kernarg_segment_size: 56
    .language:       OpenCL C
    .language_version:
      - 2
      - 0
    .max_flat_workgroup_size: 512
    .name:           _ZN7rocprim17ROCPRIM_400000_NS6detail17trampoline_kernelINS0_14default_configENS1_25transform_config_selectorIiLb0EEEZNS1_14transform_implILb0ES3_S5_NS0_18transform_iteratorINS0_17counting_iteratorImlEEZNS1_24adjacent_difference_implIS3_Lb1ELb0EPiSB_N6thrust23THRUST_200600_302600_NS5minusIiEEEE10hipError_tPvRmT2_T3_mT4_P12ihipStream_tbEUlmE_iEESB_NS0_8identityIvEEEESG_SJ_SK_mSL_SN_bEUlT_E_NS1_11comp_targetILNS1_3genE5ELNS1_11target_archE942ELNS1_3gpuE9ELNS1_3repE0EEENS1_30default_config_static_selectorELNS0_4arch9wavefront6targetE0EEEvT1_
    .private_segment_fixed_size: 0
    .sgpr_count:     0
    .sgpr_spill_count: 0
    .symbol:         _ZN7rocprim17ROCPRIM_400000_NS6detail17trampoline_kernelINS0_14default_configENS1_25transform_config_selectorIiLb0EEEZNS1_14transform_implILb0ES3_S5_NS0_18transform_iteratorINS0_17counting_iteratorImlEEZNS1_24adjacent_difference_implIS3_Lb1ELb0EPiSB_N6thrust23THRUST_200600_302600_NS5minusIiEEEE10hipError_tPvRmT2_T3_mT4_P12ihipStream_tbEUlmE_iEESB_NS0_8identityIvEEEESG_SJ_SK_mSL_SN_bEUlT_E_NS1_11comp_targetILNS1_3genE5ELNS1_11target_archE942ELNS1_3gpuE9ELNS1_3repE0EEENS1_30default_config_static_selectorELNS0_4arch9wavefront6targetE0EEEvT1_.kd
    .uniform_work_group_size: 1
    .uses_dynamic_stack: false
    .vgpr_count:     0
    .vgpr_spill_count: 0
    .wavefront_size: 32
    .workgroup_processor_mode: 1
  - .args:
      - .offset:         0
        .size:           56
        .value_kind:     by_value
    .group_segment_fixed_size: 0
    .kernarg_segment_align: 8
    .kernarg_segment_size: 56
    .language:       OpenCL C
    .language_version:
      - 2
      - 0
    .max_flat_workgroup_size: 1024
    .name:           _ZN7rocprim17ROCPRIM_400000_NS6detail17trampoline_kernelINS0_14default_configENS1_25transform_config_selectorIiLb0EEEZNS1_14transform_implILb0ES3_S5_NS0_18transform_iteratorINS0_17counting_iteratorImlEEZNS1_24adjacent_difference_implIS3_Lb1ELb0EPiSB_N6thrust23THRUST_200600_302600_NS5minusIiEEEE10hipError_tPvRmT2_T3_mT4_P12ihipStream_tbEUlmE_iEESB_NS0_8identityIvEEEESG_SJ_SK_mSL_SN_bEUlT_E_NS1_11comp_targetILNS1_3genE4ELNS1_11target_archE910ELNS1_3gpuE8ELNS1_3repE0EEENS1_30default_config_static_selectorELNS0_4arch9wavefront6targetE0EEEvT1_
    .private_segment_fixed_size: 0
    .sgpr_count:     0
    .sgpr_spill_count: 0
    .symbol:         _ZN7rocprim17ROCPRIM_400000_NS6detail17trampoline_kernelINS0_14default_configENS1_25transform_config_selectorIiLb0EEEZNS1_14transform_implILb0ES3_S5_NS0_18transform_iteratorINS0_17counting_iteratorImlEEZNS1_24adjacent_difference_implIS3_Lb1ELb0EPiSB_N6thrust23THRUST_200600_302600_NS5minusIiEEEE10hipError_tPvRmT2_T3_mT4_P12ihipStream_tbEUlmE_iEESB_NS0_8identityIvEEEESG_SJ_SK_mSL_SN_bEUlT_E_NS1_11comp_targetILNS1_3genE4ELNS1_11target_archE910ELNS1_3gpuE8ELNS1_3repE0EEENS1_30default_config_static_selectorELNS0_4arch9wavefront6targetE0EEEvT1_.kd
    .uniform_work_group_size: 1
    .uses_dynamic_stack: false
    .vgpr_count:     0
    .vgpr_spill_count: 0
    .wavefront_size: 32
    .workgroup_processor_mode: 1
  - .args:
      - .offset:         0
        .size:           56
        .value_kind:     by_value
    .group_segment_fixed_size: 0
    .kernarg_segment_align: 8
    .kernarg_segment_size: 56
    .language:       OpenCL C
    .language_version:
      - 2
      - 0
    .max_flat_workgroup_size: 128
    .name:           _ZN7rocprim17ROCPRIM_400000_NS6detail17trampoline_kernelINS0_14default_configENS1_25transform_config_selectorIiLb0EEEZNS1_14transform_implILb0ES3_S5_NS0_18transform_iteratorINS0_17counting_iteratorImlEEZNS1_24adjacent_difference_implIS3_Lb1ELb0EPiSB_N6thrust23THRUST_200600_302600_NS5minusIiEEEE10hipError_tPvRmT2_T3_mT4_P12ihipStream_tbEUlmE_iEESB_NS0_8identityIvEEEESG_SJ_SK_mSL_SN_bEUlT_E_NS1_11comp_targetILNS1_3genE3ELNS1_11target_archE908ELNS1_3gpuE7ELNS1_3repE0EEENS1_30default_config_static_selectorELNS0_4arch9wavefront6targetE0EEEvT1_
    .private_segment_fixed_size: 0
    .sgpr_count:     0
    .sgpr_spill_count: 0
    .symbol:         _ZN7rocprim17ROCPRIM_400000_NS6detail17trampoline_kernelINS0_14default_configENS1_25transform_config_selectorIiLb0EEEZNS1_14transform_implILb0ES3_S5_NS0_18transform_iteratorINS0_17counting_iteratorImlEEZNS1_24adjacent_difference_implIS3_Lb1ELb0EPiSB_N6thrust23THRUST_200600_302600_NS5minusIiEEEE10hipError_tPvRmT2_T3_mT4_P12ihipStream_tbEUlmE_iEESB_NS0_8identityIvEEEESG_SJ_SK_mSL_SN_bEUlT_E_NS1_11comp_targetILNS1_3genE3ELNS1_11target_archE908ELNS1_3gpuE7ELNS1_3repE0EEENS1_30default_config_static_selectorELNS0_4arch9wavefront6targetE0EEEvT1_.kd
    .uniform_work_group_size: 1
    .uses_dynamic_stack: false
    .vgpr_count:     0
    .vgpr_spill_count: 0
    .wavefront_size: 32
    .workgroup_processor_mode: 1
  - .args:
      - .offset:         0
        .size:           56
        .value_kind:     by_value
    .group_segment_fixed_size: 0
    .kernarg_segment_align: 8
    .kernarg_segment_size: 56
    .language:       OpenCL C
    .language_version:
      - 2
      - 0
    .max_flat_workgroup_size: 1024
    .name:           _ZN7rocprim17ROCPRIM_400000_NS6detail17trampoline_kernelINS0_14default_configENS1_25transform_config_selectorIiLb0EEEZNS1_14transform_implILb0ES3_S5_NS0_18transform_iteratorINS0_17counting_iteratorImlEEZNS1_24adjacent_difference_implIS3_Lb1ELb0EPiSB_N6thrust23THRUST_200600_302600_NS5minusIiEEEE10hipError_tPvRmT2_T3_mT4_P12ihipStream_tbEUlmE_iEESB_NS0_8identityIvEEEESG_SJ_SK_mSL_SN_bEUlT_E_NS1_11comp_targetILNS1_3genE2ELNS1_11target_archE906ELNS1_3gpuE6ELNS1_3repE0EEENS1_30default_config_static_selectorELNS0_4arch9wavefront6targetE0EEEvT1_
    .private_segment_fixed_size: 0
    .sgpr_count:     0
    .sgpr_spill_count: 0
    .symbol:         _ZN7rocprim17ROCPRIM_400000_NS6detail17trampoline_kernelINS0_14default_configENS1_25transform_config_selectorIiLb0EEEZNS1_14transform_implILb0ES3_S5_NS0_18transform_iteratorINS0_17counting_iteratorImlEEZNS1_24adjacent_difference_implIS3_Lb1ELb0EPiSB_N6thrust23THRUST_200600_302600_NS5minusIiEEEE10hipError_tPvRmT2_T3_mT4_P12ihipStream_tbEUlmE_iEESB_NS0_8identityIvEEEESG_SJ_SK_mSL_SN_bEUlT_E_NS1_11comp_targetILNS1_3genE2ELNS1_11target_archE906ELNS1_3gpuE6ELNS1_3repE0EEENS1_30default_config_static_selectorELNS0_4arch9wavefront6targetE0EEEvT1_.kd
    .uniform_work_group_size: 1
    .uses_dynamic_stack: false
    .vgpr_count:     0
    .vgpr_spill_count: 0
    .wavefront_size: 32
    .workgroup_processor_mode: 1
  - .args:
      - .offset:         0
        .size:           56
        .value_kind:     by_value
    .group_segment_fixed_size: 0
    .kernarg_segment_align: 8
    .kernarg_segment_size: 56
    .language:       OpenCL C
    .language_version:
      - 2
      - 0
    .max_flat_workgroup_size: 1024
    .name:           _ZN7rocprim17ROCPRIM_400000_NS6detail17trampoline_kernelINS0_14default_configENS1_25transform_config_selectorIiLb0EEEZNS1_14transform_implILb0ES3_S5_NS0_18transform_iteratorINS0_17counting_iteratorImlEEZNS1_24adjacent_difference_implIS3_Lb1ELb0EPiSB_N6thrust23THRUST_200600_302600_NS5minusIiEEEE10hipError_tPvRmT2_T3_mT4_P12ihipStream_tbEUlmE_iEESB_NS0_8identityIvEEEESG_SJ_SK_mSL_SN_bEUlT_E_NS1_11comp_targetILNS1_3genE10ELNS1_11target_archE1201ELNS1_3gpuE5ELNS1_3repE0EEENS1_30default_config_static_selectorELNS0_4arch9wavefront6targetE0EEEvT1_
    .private_segment_fixed_size: 0
    .sgpr_count:     0
    .sgpr_spill_count: 0
    .symbol:         _ZN7rocprim17ROCPRIM_400000_NS6detail17trampoline_kernelINS0_14default_configENS1_25transform_config_selectorIiLb0EEEZNS1_14transform_implILb0ES3_S5_NS0_18transform_iteratorINS0_17counting_iteratorImlEEZNS1_24adjacent_difference_implIS3_Lb1ELb0EPiSB_N6thrust23THRUST_200600_302600_NS5minusIiEEEE10hipError_tPvRmT2_T3_mT4_P12ihipStream_tbEUlmE_iEESB_NS0_8identityIvEEEESG_SJ_SK_mSL_SN_bEUlT_E_NS1_11comp_targetILNS1_3genE10ELNS1_11target_archE1201ELNS1_3gpuE5ELNS1_3repE0EEENS1_30default_config_static_selectorELNS0_4arch9wavefront6targetE0EEEvT1_.kd
    .uniform_work_group_size: 1
    .uses_dynamic_stack: false
    .vgpr_count:     0
    .vgpr_spill_count: 0
    .wavefront_size: 32
    .workgroup_processor_mode: 1
  - .args:
      - .offset:         0
        .size:           56
        .value_kind:     by_value
    .group_segment_fixed_size: 0
    .kernarg_segment_align: 8
    .kernarg_segment_size: 56
    .language:       OpenCL C
    .language_version:
      - 2
      - 0
    .max_flat_workgroup_size: 512
    .name:           _ZN7rocprim17ROCPRIM_400000_NS6detail17trampoline_kernelINS0_14default_configENS1_25transform_config_selectorIiLb0EEEZNS1_14transform_implILb0ES3_S5_NS0_18transform_iteratorINS0_17counting_iteratorImlEEZNS1_24adjacent_difference_implIS3_Lb1ELb0EPiSB_N6thrust23THRUST_200600_302600_NS5minusIiEEEE10hipError_tPvRmT2_T3_mT4_P12ihipStream_tbEUlmE_iEESB_NS0_8identityIvEEEESG_SJ_SK_mSL_SN_bEUlT_E_NS1_11comp_targetILNS1_3genE10ELNS1_11target_archE1200ELNS1_3gpuE4ELNS1_3repE0EEENS1_30default_config_static_selectorELNS0_4arch9wavefront6targetE0EEEvT1_
    .private_segment_fixed_size: 0
    .sgpr_count:     0
    .sgpr_spill_count: 0
    .symbol:         _ZN7rocprim17ROCPRIM_400000_NS6detail17trampoline_kernelINS0_14default_configENS1_25transform_config_selectorIiLb0EEEZNS1_14transform_implILb0ES3_S5_NS0_18transform_iteratorINS0_17counting_iteratorImlEEZNS1_24adjacent_difference_implIS3_Lb1ELb0EPiSB_N6thrust23THRUST_200600_302600_NS5minusIiEEEE10hipError_tPvRmT2_T3_mT4_P12ihipStream_tbEUlmE_iEESB_NS0_8identityIvEEEESG_SJ_SK_mSL_SN_bEUlT_E_NS1_11comp_targetILNS1_3genE10ELNS1_11target_archE1200ELNS1_3gpuE4ELNS1_3repE0EEENS1_30default_config_static_selectorELNS0_4arch9wavefront6targetE0EEEvT1_.kd
    .uniform_work_group_size: 1
    .uses_dynamic_stack: false
    .vgpr_count:     0
    .vgpr_spill_count: 0
    .wavefront_size: 32
    .workgroup_processor_mode: 1
  - .args:
      - .offset:         0
        .size:           56
        .value_kind:     by_value
      - .offset:         56
        .size:           4
        .value_kind:     hidden_block_count_x
      - .offset:         60
        .size:           4
        .value_kind:     hidden_block_count_y
      - .offset:         64
        .size:           4
        .value_kind:     hidden_block_count_z
      - .offset:         68
        .size:           2
        .value_kind:     hidden_group_size_x
      - .offset:         70
        .size:           2
        .value_kind:     hidden_group_size_y
      - .offset:         72
        .size:           2
        .value_kind:     hidden_group_size_z
      - .offset:         74
        .size:           2
        .value_kind:     hidden_remainder_x
      - .offset:         76
        .size:           2
        .value_kind:     hidden_remainder_y
      - .offset:         78
        .size:           2
        .value_kind:     hidden_remainder_z
      - .offset:         96
        .size:           8
        .value_kind:     hidden_global_offset_x
      - .offset:         104
        .size:           8
        .value_kind:     hidden_global_offset_y
      - .offset:         112
        .size:           8
        .value_kind:     hidden_global_offset_z
      - .offset:         120
        .size:           2
        .value_kind:     hidden_grid_dims
    .group_segment_fixed_size: 0
    .kernarg_segment_align: 8
    .kernarg_segment_size: 312
    .language:       OpenCL C
    .language_version:
      - 2
      - 0
    .max_flat_workgroup_size: 64
    .name:           _ZN7rocprim17ROCPRIM_400000_NS6detail17trampoline_kernelINS0_14default_configENS1_25transform_config_selectorIiLb0EEEZNS1_14transform_implILb0ES3_S5_NS0_18transform_iteratorINS0_17counting_iteratorImlEEZNS1_24adjacent_difference_implIS3_Lb1ELb0EPiSB_N6thrust23THRUST_200600_302600_NS5minusIiEEEE10hipError_tPvRmT2_T3_mT4_P12ihipStream_tbEUlmE_iEESB_NS0_8identityIvEEEESG_SJ_SK_mSL_SN_bEUlT_E_NS1_11comp_targetILNS1_3genE9ELNS1_11target_archE1100ELNS1_3gpuE3ELNS1_3repE0EEENS1_30default_config_static_selectorELNS0_4arch9wavefront6targetE0EEEvT1_
    .private_segment_fixed_size: 0
    .sgpr_count:     18
    .sgpr_spill_count: 0
    .symbol:         _ZN7rocprim17ROCPRIM_400000_NS6detail17trampoline_kernelINS0_14default_configENS1_25transform_config_selectorIiLb0EEEZNS1_14transform_implILb0ES3_S5_NS0_18transform_iteratorINS0_17counting_iteratorImlEEZNS1_24adjacent_difference_implIS3_Lb1ELb0EPiSB_N6thrust23THRUST_200600_302600_NS5minusIiEEEE10hipError_tPvRmT2_T3_mT4_P12ihipStream_tbEUlmE_iEESB_NS0_8identityIvEEEESG_SJ_SK_mSL_SN_bEUlT_E_NS1_11comp_targetILNS1_3genE9ELNS1_11target_archE1100ELNS1_3gpuE3ELNS1_3repE0EEENS1_30default_config_static_selectorELNS0_4arch9wavefront6targetE0EEEvT1_.kd
    .uniform_work_group_size: 1
    .uses_dynamic_stack: false
    .vgpr_count:     6
    .vgpr_spill_count: 0
    .wavefront_size: 32
    .workgroup_processor_mode: 1
  - .args:
      - .offset:         0
        .size:           56
        .value_kind:     by_value
    .group_segment_fixed_size: 0
    .kernarg_segment_align: 8
    .kernarg_segment_size: 56
    .language:       OpenCL C
    .language_version:
      - 2
      - 0
    .max_flat_workgroup_size: 256
    .name:           _ZN7rocprim17ROCPRIM_400000_NS6detail17trampoline_kernelINS0_14default_configENS1_25transform_config_selectorIiLb0EEEZNS1_14transform_implILb0ES3_S5_NS0_18transform_iteratorINS0_17counting_iteratorImlEEZNS1_24adjacent_difference_implIS3_Lb1ELb0EPiSB_N6thrust23THRUST_200600_302600_NS5minusIiEEEE10hipError_tPvRmT2_T3_mT4_P12ihipStream_tbEUlmE_iEESB_NS0_8identityIvEEEESG_SJ_SK_mSL_SN_bEUlT_E_NS1_11comp_targetILNS1_3genE8ELNS1_11target_archE1030ELNS1_3gpuE2ELNS1_3repE0EEENS1_30default_config_static_selectorELNS0_4arch9wavefront6targetE0EEEvT1_
    .private_segment_fixed_size: 0
    .sgpr_count:     0
    .sgpr_spill_count: 0
    .symbol:         _ZN7rocprim17ROCPRIM_400000_NS6detail17trampoline_kernelINS0_14default_configENS1_25transform_config_selectorIiLb0EEEZNS1_14transform_implILb0ES3_S5_NS0_18transform_iteratorINS0_17counting_iteratorImlEEZNS1_24adjacent_difference_implIS3_Lb1ELb0EPiSB_N6thrust23THRUST_200600_302600_NS5minusIiEEEE10hipError_tPvRmT2_T3_mT4_P12ihipStream_tbEUlmE_iEESB_NS0_8identityIvEEEESG_SJ_SK_mSL_SN_bEUlT_E_NS1_11comp_targetILNS1_3genE8ELNS1_11target_archE1030ELNS1_3gpuE2ELNS1_3repE0EEENS1_30default_config_static_selectorELNS0_4arch9wavefront6targetE0EEEvT1_.kd
    .uniform_work_group_size: 1
    .uses_dynamic_stack: false
    .vgpr_count:     0
    .vgpr_spill_count: 0
    .wavefront_size: 32
    .workgroup_processor_mode: 1
  - .args:
      - .offset:         0
        .size:           56
        .value_kind:     by_value
    .group_segment_fixed_size: 0
    .kernarg_segment_align: 8
    .kernarg_segment_size: 56
    .language:       OpenCL C
    .language_version:
      - 2
      - 0
    .max_flat_workgroup_size: 1024
    .name:           _ZN7rocprim17ROCPRIM_400000_NS6detail17trampoline_kernelINS0_14default_configENS1_35adjacent_difference_config_selectorILb1EiEEZNS1_24adjacent_difference_implIS3_Lb1ELb0EPiS7_N6thrust23THRUST_200600_302600_NS5minusIiEEEE10hipError_tPvRmT2_T3_mT4_P12ihipStream_tbEUlT_E_NS1_11comp_targetILNS1_3genE0ELNS1_11target_archE4294967295ELNS1_3gpuE0ELNS1_3repE0EEENS1_30default_config_static_selectorELNS0_4arch9wavefront6targetE0EEEvT1_
    .private_segment_fixed_size: 0
    .sgpr_count:     0
    .sgpr_spill_count: 0
    .symbol:         _ZN7rocprim17ROCPRIM_400000_NS6detail17trampoline_kernelINS0_14default_configENS1_35adjacent_difference_config_selectorILb1EiEEZNS1_24adjacent_difference_implIS3_Lb1ELb0EPiS7_N6thrust23THRUST_200600_302600_NS5minusIiEEEE10hipError_tPvRmT2_T3_mT4_P12ihipStream_tbEUlT_E_NS1_11comp_targetILNS1_3genE0ELNS1_11target_archE4294967295ELNS1_3gpuE0ELNS1_3repE0EEENS1_30default_config_static_selectorELNS0_4arch9wavefront6targetE0EEEvT1_.kd
    .uniform_work_group_size: 1
    .uses_dynamic_stack: false
    .vgpr_count:     0
    .vgpr_spill_count: 0
    .wavefront_size: 32
    .workgroup_processor_mode: 1
  - .args:
      - .offset:         0
        .size:           56
        .value_kind:     by_value
    .group_segment_fixed_size: 0
    .kernarg_segment_align: 8
    .kernarg_segment_size: 56
    .language:       OpenCL C
    .language_version:
      - 2
      - 0
    .max_flat_workgroup_size: 32
    .name:           _ZN7rocprim17ROCPRIM_400000_NS6detail17trampoline_kernelINS0_14default_configENS1_35adjacent_difference_config_selectorILb1EiEEZNS1_24adjacent_difference_implIS3_Lb1ELb0EPiS7_N6thrust23THRUST_200600_302600_NS5minusIiEEEE10hipError_tPvRmT2_T3_mT4_P12ihipStream_tbEUlT_E_NS1_11comp_targetILNS1_3genE10ELNS1_11target_archE1201ELNS1_3gpuE5ELNS1_3repE0EEENS1_30default_config_static_selectorELNS0_4arch9wavefront6targetE0EEEvT1_
    .private_segment_fixed_size: 0
    .sgpr_count:     0
    .sgpr_spill_count: 0
    .symbol:         _ZN7rocprim17ROCPRIM_400000_NS6detail17trampoline_kernelINS0_14default_configENS1_35adjacent_difference_config_selectorILb1EiEEZNS1_24adjacent_difference_implIS3_Lb1ELb0EPiS7_N6thrust23THRUST_200600_302600_NS5minusIiEEEE10hipError_tPvRmT2_T3_mT4_P12ihipStream_tbEUlT_E_NS1_11comp_targetILNS1_3genE10ELNS1_11target_archE1201ELNS1_3gpuE5ELNS1_3repE0EEENS1_30default_config_static_selectorELNS0_4arch9wavefront6targetE0EEEvT1_.kd
    .uniform_work_group_size: 1
    .uses_dynamic_stack: false
    .vgpr_count:     0
    .vgpr_spill_count: 0
    .wavefront_size: 32
    .workgroup_processor_mode: 1
  - .args:
      - .offset:         0
        .size:           56
        .value_kind:     by_value
    .group_segment_fixed_size: 0
    .kernarg_segment_align: 8
    .kernarg_segment_size: 56
    .language:       OpenCL C
    .language_version:
      - 2
      - 0
    .max_flat_workgroup_size: 512
    .name:           _ZN7rocprim17ROCPRIM_400000_NS6detail17trampoline_kernelINS0_14default_configENS1_35adjacent_difference_config_selectorILb1EiEEZNS1_24adjacent_difference_implIS3_Lb1ELb0EPiS7_N6thrust23THRUST_200600_302600_NS5minusIiEEEE10hipError_tPvRmT2_T3_mT4_P12ihipStream_tbEUlT_E_NS1_11comp_targetILNS1_3genE5ELNS1_11target_archE942ELNS1_3gpuE9ELNS1_3repE0EEENS1_30default_config_static_selectorELNS0_4arch9wavefront6targetE0EEEvT1_
    .private_segment_fixed_size: 0
    .sgpr_count:     0
    .sgpr_spill_count: 0
    .symbol:         _ZN7rocprim17ROCPRIM_400000_NS6detail17trampoline_kernelINS0_14default_configENS1_35adjacent_difference_config_selectorILb1EiEEZNS1_24adjacent_difference_implIS3_Lb1ELb0EPiS7_N6thrust23THRUST_200600_302600_NS5minusIiEEEE10hipError_tPvRmT2_T3_mT4_P12ihipStream_tbEUlT_E_NS1_11comp_targetILNS1_3genE5ELNS1_11target_archE942ELNS1_3gpuE9ELNS1_3repE0EEENS1_30default_config_static_selectorELNS0_4arch9wavefront6targetE0EEEvT1_.kd
    .uniform_work_group_size: 1
    .uses_dynamic_stack: false
    .vgpr_count:     0
    .vgpr_spill_count: 0
    .wavefront_size: 32
    .workgroup_processor_mode: 1
  - .args:
      - .offset:         0
        .size:           56
        .value_kind:     by_value
    .group_segment_fixed_size: 0
    .kernarg_segment_align: 8
    .kernarg_segment_size: 56
    .language:       OpenCL C
    .language_version:
      - 2
      - 0
    .max_flat_workgroup_size: 512
    .name:           _ZN7rocprim17ROCPRIM_400000_NS6detail17trampoline_kernelINS0_14default_configENS1_35adjacent_difference_config_selectorILb1EiEEZNS1_24adjacent_difference_implIS3_Lb1ELb0EPiS7_N6thrust23THRUST_200600_302600_NS5minusIiEEEE10hipError_tPvRmT2_T3_mT4_P12ihipStream_tbEUlT_E_NS1_11comp_targetILNS1_3genE4ELNS1_11target_archE910ELNS1_3gpuE8ELNS1_3repE0EEENS1_30default_config_static_selectorELNS0_4arch9wavefront6targetE0EEEvT1_
    .private_segment_fixed_size: 0
    .sgpr_count:     0
    .sgpr_spill_count: 0
    .symbol:         _ZN7rocprim17ROCPRIM_400000_NS6detail17trampoline_kernelINS0_14default_configENS1_35adjacent_difference_config_selectorILb1EiEEZNS1_24adjacent_difference_implIS3_Lb1ELb0EPiS7_N6thrust23THRUST_200600_302600_NS5minusIiEEEE10hipError_tPvRmT2_T3_mT4_P12ihipStream_tbEUlT_E_NS1_11comp_targetILNS1_3genE4ELNS1_11target_archE910ELNS1_3gpuE8ELNS1_3repE0EEENS1_30default_config_static_selectorELNS0_4arch9wavefront6targetE0EEEvT1_.kd
    .uniform_work_group_size: 1
    .uses_dynamic_stack: false
    .vgpr_count:     0
    .vgpr_spill_count: 0
    .wavefront_size: 32
    .workgroup_processor_mode: 1
  - .args:
      - .offset:         0
        .size:           56
        .value_kind:     by_value
    .group_segment_fixed_size: 0
    .kernarg_segment_align: 8
    .kernarg_segment_size: 56
    .language:       OpenCL C
    .language_version:
      - 2
      - 0
    .max_flat_workgroup_size: 1024
    .name:           _ZN7rocprim17ROCPRIM_400000_NS6detail17trampoline_kernelINS0_14default_configENS1_35adjacent_difference_config_selectorILb1EiEEZNS1_24adjacent_difference_implIS3_Lb1ELb0EPiS7_N6thrust23THRUST_200600_302600_NS5minusIiEEEE10hipError_tPvRmT2_T3_mT4_P12ihipStream_tbEUlT_E_NS1_11comp_targetILNS1_3genE3ELNS1_11target_archE908ELNS1_3gpuE7ELNS1_3repE0EEENS1_30default_config_static_selectorELNS0_4arch9wavefront6targetE0EEEvT1_
    .private_segment_fixed_size: 0
    .sgpr_count:     0
    .sgpr_spill_count: 0
    .symbol:         _ZN7rocprim17ROCPRIM_400000_NS6detail17trampoline_kernelINS0_14default_configENS1_35adjacent_difference_config_selectorILb1EiEEZNS1_24adjacent_difference_implIS3_Lb1ELb0EPiS7_N6thrust23THRUST_200600_302600_NS5minusIiEEEE10hipError_tPvRmT2_T3_mT4_P12ihipStream_tbEUlT_E_NS1_11comp_targetILNS1_3genE3ELNS1_11target_archE908ELNS1_3gpuE7ELNS1_3repE0EEENS1_30default_config_static_selectorELNS0_4arch9wavefront6targetE0EEEvT1_.kd
    .uniform_work_group_size: 1
    .uses_dynamic_stack: false
    .vgpr_count:     0
    .vgpr_spill_count: 0
    .wavefront_size: 32
    .workgroup_processor_mode: 1
  - .args:
      - .offset:         0
        .size:           56
        .value_kind:     by_value
    .group_segment_fixed_size: 0
    .kernarg_segment_align: 8
    .kernarg_segment_size: 56
    .language:       OpenCL C
    .language_version:
      - 2
      - 0
    .max_flat_workgroup_size: 256
    .name:           _ZN7rocprim17ROCPRIM_400000_NS6detail17trampoline_kernelINS0_14default_configENS1_35adjacent_difference_config_selectorILb1EiEEZNS1_24adjacent_difference_implIS3_Lb1ELb0EPiS7_N6thrust23THRUST_200600_302600_NS5minusIiEEEE10hipError_tPvRmT2_T3_mT4_P12ihipStream_tbEUlT_E_NS1_11comp_targetILNS1_3genE2ELNS1_11target_archE906ELNS1_3gpuE6ELNS1_3repE0EEENS1_30default_config_static_selectorELNS0_4arch9wavefront6targetE0EEEvT1_
    .private_segment_fixed_size: 0
    .sgpr_count:     0
    .sgpr_spill_count: 0
    .symbol:         _ZN7rocprim17ROCPRIM_400000_NS6detail17trampoline_kernelINS0_14default_configENS1_35adjacent_difference_config_selectorILb1EiEEZNS1_24adjacent_difference_implIS3_Lb1ELb0EPiS7_N6thrust23THRUST_200600_302600_NS5minusIiEEEE10hipError_tPvRmT2_T3_mT4_P12ihipStream_tbEUlT_E_NS1_11comp_targetILNS1_3genE2ELNS1_11target_archE906ELNS1_3gpuE6ELNS1_3repE0EEENS1_30default_config_static_selectorELNS0_4arch9wavefront6targetE0EEEvT1_.kd
    .uniform_work_group_size: 1
    .uses_dynamic_stack: false
    .vgpr_count:     0
    .vgpr_spill_count: 0
    .wavefront_size: 32
    .workgroup_processor_mode: 1
  - .args:
      - .offset:         0
        .size:           56
        .value_kind:     by_value
    .group_segment_fixed_size: 14848
    .kernarg_segment_align: 8
    .kernarg_segment_size: 56
    .language:       OpenCL C
    .language_version:
      - 2
      - 0
    .max_flat_workgroup_size: 128
    .name:           _ZN7rocprim17ROCPRIM_400000_NS6detail17trampoline_kernelINS0_14default_configENS1_35adjacent_difference_config_selectorILb1EiEEZNS1_24adjacent_difference_implIS3_Lb1ELb0EPiS7_N6thrust23THRUST_200600_302600_NS5minusIiEEEE10hipError_tPvRmT2_T3_mT4_P12ihipStream_tbEUlT_E_NS1_11comp_targetILNS1_3genE9ELNS1_11target_archE1100ELNS1_3gpuE3ELNS1_3repE0EEENS1_30default_config_static_selectorELNS0_4arch9wavefront6targetE0EEEvT1_
    .private_segment_fixed_size: 0
    .sgpr_count:     46
    .sgpr_spill_count: 0
    .symbol:         _ZN7rocprim17ROCPRIM_400000_NS6detail17trampoline_kernelINS0_14default_configENS1_35adjacent_difference_config_selectorILb1EiEEZNS1_24adjacent_difference_implIS3_Lb1ELb0EPiS7_N6thrust23THRUST_200600_302600_NS5minusIiEEEE10hipError_tPvRmT2_T3_mT4_P12ihipStream_tbEUlT_E_NS1_11comp_targetILNS1_3genE9ELNS1_11target_archE1100ELNS1_3gpuE3ELNS1_3repE0EEENS1_30default_config_static_selectorELNS0_4arch9wavefront6targetE0EEEvT1_.kd
    .uniform_work_group_size: 1
    .uses_dynamic_stack: false
    .vgpr_count:     64
    .vgpr_spill_count: 0
    .wavefront_size: 32
    .workgroup_processor_mode: 1
  - .args:
      - .offset:         0
        .size:           56
        .value_kind:     by_value
    .group_segment_fixed_size: 0
    .kernarg_segment_align: 8
    .kernarg_segment_size: 56
    .language:       OpenCL C
    .language_version:
      - 2
      - 0
    .max_flat_workgroup_size: 32
    .name:           _ZN7rocprim17ROCPRIM_400000_NS6detail17trampoline_kernelINS0_14default_configENS1_35adjacent_difference_config_selectorILb1EiEEZNS1_24adjacent_difference_implIS3_Lb1ELb0EPiS7_N6thrust23THRUST_200600_302600_NS5minusIiEEEE10hipError_tPvRmT2_T3_mT4_P12ihipStream_tbEUlT_E_NS1_11comp_targetILNS1_3genE8ELNS1_11target_archE1030ELNS1_3gpuE2ELNS1_3repE0EEENS1_30default_config_static_selectorELNS0_4arch9wavefront6targetE0EEEvT1_
    .private_segment_fixed_size: 0
    .sgpr_count:     0
    .sgpr_spill_count: 0
    .symbol:         _ZN7rocprim17ROCPRIM_400000_NS6detail17trampoline_kernelINS0_14default_configENS1_35adjacent_difference_config_selectorILb1EiEEZNS1_24adjacent_difference_implIS3_Lb1ELb0EPiS7_N6thrust23THRUST_200600_302600_NS5minusIiEEEE10hipError_tPvRmT2_T3_mT4_P12ihipStream_tbEUlT_E_NS1_11comp_targetILNS1_3genE8ELNS1_11target_archE1030ELNS1_3gpuE2ELNS1_3repE0EEENS1_30default_config_static_selectorELNS0_4arch9wavefront6targetE0EEEvT1_.kd
    .uniform_work_group_size: 1
    .uses_dynamic_stack: false
    .vgpr_count:     0
    .vgpr_spill_count: 0
    .wavefront_size: 32
    .workgroup_processor_mode: 1
  - .args:
      - .offset:         0
        .size:           56
        .value_kind:     by_value
    .group_segment_fixed_size: 0
    .kernarg_segment_align: 8
    .kernarg_segment_size: 56
    .language:       OpenCL C
    .language_version:
      - 2
      - 0
    .max_flat_workgroup_size: 128
    .name:           _ZN7rocprim17ROCPRIM_400000_NS6detail17trampoline_kernelINS0_14default_configENS1_35adjacent_difference_config_selectorILb0EiEEZNS1_24adjacent_difference_implIS3_Lb0ELb0EPiS7_N6thrust23THRUST_200600_302600_NS4plusIiEEEE10hipError_tPvRmT2_T3_mT4_P12ihipStream_tbEUlT_E_NS1_11comp_targetILNS1_3genE0ELNS1_11target_archE4294967295ELNS1_3gpuE0ELNS1_3repE0EEENS1_30default_config_static_selectorELNS0_4arch9wavefront6targetE0EEEvT1_
    .private_segment_fixed_size: 0
    .sgpr_count:     0
    .sgpr_spill_count: 0
    .symbol:         _ZN7rocprim17ROCPRIM_400000_NS6detail17trampoline_kernelINS0_14default_configENS1_35adjacent_difference_config_selectorILb0EiEEZNS1_24adjacent_difference_implIS3_Lb0ELb0EPiS7_N6thrust23THRUST_200600_302600_NS4plusIiEEEE10hipError_tPvRmT2_T3_mT4_P12ihipStream_tbEUlT_E_NS1_11comp_targetILNS1_3genE0ELNS1_11target_archE4294967295ELNS1_3gpuE0ELNS1_3repE0EEENS1_30default_config_static_selectorELNS0_4arch9wavefront6targetE0EEEvT1_.kd
    .uniform_work_group_size: 1
    .uses_dynamic_stack: false
    .vgpr_count:     0
    .vgpr_spill_count: 0
    .wavefront_size: 32
    .workgroup_processor_mode: 1
  - .args:
      - .offset:         0
        .size:           56
        .value_kind:     by_value
    .group_segment_fixed_size: 0
    .kernarg_segment_align: 8
    .kernarg_segment_size: 56
    .language:       OpenCL C
    .language_version:
      - 2
      - 0
    .max_flat_workgroup_size: 128
    .name:           _ZN7rocprim17ROCPRIM_400000_NS6detail17trampoline_kernelINS0_14default_configENS1_35adjacent_difference_config_selectorILb0EiEEZNS1_24adjacent_difference_implIS3_Lb0ELb0EPiS7_N6thrust23THRUST_200600_302600_NS4plusIiEEEE10hipError_tPvRmT2_T3_mT4_P12ihipStream_tbEUlT_E_NS1_11comp_targetILNS1_3genE10ELNS1_11target_archE1201ELNS1_3gpuE5ELNS1_3repE0EEENS1_30default_config_static_selectorELNS0_4arch9wavefront6targetE0EEEvT1_
    .private_segment_fixed_size: 0
    .sgpr_count:     0
    .sgpr_spill_count: 0
    .symbol:         _ZN7rocprim17ROCPRIM_400000_NS6detail17trampoline_kernelINS0_14default_configENS1_35adjacent_difference_config_selectorILb0EiEEZNS1_24adjacent_difference_implIS3_Lb0ELb0EPiS7_N6thrust23THRUST_200600_302600_NS4plusIiEEEE10hipError_tPvRmT2_T3_mT4_P12ihipStream_tbEUlT_E_NS1_11comp_targetILNS1_3genE10ELNS1_11target_archE1201ELNS1_3gpuE5ELNS1_3repE0EEENS1_30default_config_static_selectorELNS0_4arch9wavefront6targetE0EEEvT1_.kd
    .uniform_work_group_size: 1
    .uses_dynamic_stack: false
    .vgpr_count:     0
    .vgpr_spill_count: 0
    .wavefront_size: 32
    .workgroup_processor_mode: 1
  - .args:
      - .offset:         0
        .size:           56
        .value_kind:     by_value
    .group_segment_fixed_size: 0
    .kernarg_segment_align: 8
    .kernarg_segment_size: 56
    .language:       OpenCL C
    .language_version:
      - 2
      - 0
    .max_flat_workgroup_size: 64
    .name:           _ZN7rocprim17ROCPRIM_400000_NS6detail17trampoline_kernelINS0_14default_configENS1_35adjacent_difference_config_selectorILb0EiEEZNS1_24adjacent_difference_implIS3_Lb0ELb0EPiS7_N6thrust23THRUST_200600_302600_NS4plusIiEEEE10hipError_tPvRmT2_T3_mT4_P12ihipStream_tbEUlT_E_NS1_11comp_targetILNS1_3genE5ELNS1_11target_archE942ELNS1_3gpuE9ELNS1_3repE0EEENS1_30default_config_static_selectorELNS0_4arch9wavefront6targetE0EEEvT1_
    .private_segment_fixed_size: 0
    .sgpr_count:     0
    .sgpr_spill_count: 0
    .symbol:         _ZN7rocprim17ROCPRIM_400000_NS6detail17trampoline_kernelINS0_14default_configENS1_35adjacent_difference_config_selectorILb0EiEEZNS1_24adjacent_difference_implIS3_Lb0ELb0EPiS7_N6thrust23THRUST_200600_302600_NS4plusIiEEEE10hipError_tPvRmT2_T3_mT4_P12ihipStream_tbEUlT_E_NS1_11comp_targetILNS1_3genE5ELNS1_11target_archE942ELNS1_3gpuE9ELNS1_3repE0EEENS1_30default_config_static_selectorELNS0_4arch9wavefront6targetE0EEEvT1_.kd
    .uniform_work_group_size: 1
    .uses_dynamic_stack: false
    .vgpr_count:     0
    .vgpr_spill_count: 0
    .wavefront_size: 32
    .workgroup_processor_mode: 1
  - .args:
      - .offset:         0
        .size:           56
        .value_kind:     by_value
    .group_segment_fixed_size: 0
    .kernarg_segment_align: 8
    .kernarg_segment_size: 56
    .language:       OpenCL C
    .language_version:
      - 2
      - 0
    .max_flat_workgroup_size: 512
    .name:           _ZN7rocprim17ROCPRIM_400000_NS6detail17trampoline_kernelINS0_14default_configENS1_35adjacent_difference_config_selectorILb0EiEEZNS1_24adjacent_difference_implIS3_Lb0ELb0EPiS7_N6thrust23THRUST_200600_302600_NS4plusIiEEEE10hipError_tPvRmT2_T3_mT4_P12ihipStream_tbEUlT_E_NS1_11comp_targetILNS1_3genE4ELNS1_11target_archE910ELNS1_3gpuE8ELNS1_3repE0EEENS1_30default_config_static_selectorELNS0_4arch9wavefront6targetE0EEEvT1_
    .private_segment_fixed_size: 0
    .sgpr_count:     0
    .sgpr_spill_count: 0
    .symbol:         _ZN7rocprim17ROCPRIM_400000_NS6detail17trampoline_kernelINS0_14default_configENS1_35adjacent_difference_config_selectorILb0EiEEZNS1_24adjacent_difference_implIS3_Lb0ELb0EPiS7_N6thrust23THRUST_200600_302600_NS4plusIiEEEE10hipError_tPvRmT2_T3_mT4_P12ihipStream_tbEUlT_E_NS1_11comp_targetILNS1_3genE4ELNS1_11target_archE910ELNS1_3gpuE8ELNS1_3repE0EEENS1_30default_config_static_selectorELNS0_4arch9wavefront6targetE0EEEvT1_.kd
    .uniform_work_group_size: 1
    .uses_dynamic_stack: false
    .vgpr_count:     0
    .vgpr_spill_count: 0
    .wavefront_size: 32
    .workgroup_processor_mode: 1
  - .args:
      - .offset:         0
        .size:           56
        .value_kind:     by_value
    .group_segment_fixed_size: 0
    .kernarg_segment_align: 8
    .kernarg_segment_size: 56
    .language:       OpenCL C
    .language_version:
      - 2
      - 0
    .max_flat_workgroup_size: 128
    .name:           _ZN7rocprim17ROCPRIM_400000_NS6detail17trampoline_kernelINS0_14default_configENS1_35adjacent_difference_config_selectorILb0EiEEZNS1_24adjacent_difference_implIS3_Lb0ELb0EPiS7_N6thrust23THRUST_200600_302600_NS4plusIiEEEE10hipError_tPvRmT2_T3_mT4_P12ihipStream_tbEUlT_E_NS1_11comp_targetILNS1_3genE3ELNS1_11target_archE908ELNS1_3gpuE7ELNS1_3repE0EEENS1_30default_config_static_selectorELNS0_4arch9wavefront6targetE0EEEvT1_
    .private_segment_fixed_size: 0
    .sgpr_count:     0
    .sgpr_spill_count: 0
    .symbol:         _ZN7rocprim17ROCPRIM_400000_NS6detail17trampoline_kernelINS0_14default_configENS1_35adjacent_difference_config_selectorILb0EiEEZNS1_24adjacent_difference_implIS3_Lb0ELb0EPiS7_N6thrust23THRUST_200600_302600_NS4plusIiEEEE10hipError_tPvRmT2_T3_mT4_P12ihipStream_tbEUlT_E_NS1_11comp_targetILNS1_3genE3ELNS1_11target_archE908ELNS1_3gpuE7ELNS1_3repE0EEENS1_30default_config_static_selectorELNS0_4arch9wavefront6targetE0EEEvT1_.kd
    .uniform_work_group_size: 1
    .uses_dynamic_stack: false
    .vgpr_count:     0
    .vgpr_spill_count: 0
    .wavefront_size: 32
    .workgroup_processor_mode: 1
  - .args:
      - .offset:         0
        .size:           56
        .value_kind:     by_value
    .group_segment_fixed_size: 0
    .kernarg_segment_align: 8
    .kernarg_segment_size: 56
    .language:       OpenCL C
    .language_version:
      - 2
      - 0
    .max_flat_workgroup_size: 1024
    .name:           _ZN7rocprim17ROCPRIM_400000_NS6detail17trampoline_kernelINS0_14default_configENS1_35adjacent_difference_config_selectorILb0EiEEZNS1_24adjacent_difference_implIS3_Lb0ELb0EPiS7_N6thrust23THRUST_200600_302600_NS4plusIiEEEE10hipError_tPvRmT2_T3_mT4_P12ihipStream_tbEUlT_E_NS1_11comp_targetILNS1_3genE2ELNS1_11target_archE906ELNS1_3gpuE6ELNS1_3repE0EEENS1_30default_config_static_selectorELNS0_4arch9wavefront6targetE0EEEvT1_
    .private_segment_fixed_size: 0
    .sgpr_count:     0
    .sgpr_spill_count: 0
    .symbol:         _ZN7rocprim17ROCPRIM_400000_NS6detail17trampoline_kernelINS0_14default_configENS1_35adjacent_difference_config_selectorILb0EiEEZNS1_24adjacent_difference_implIS3_Lb0ELb0EPiS7_N6thrust23THRUST_200600_302600_NS4plusIiEEEE10hipError_tPvRmT2_T3_mT4_P12ihipStream_tbEUlT_E_NS1_11comp_targetILNS1_3genE2ELNS1_11target_archE906ELNS1_3gpuE6ELNS1_3repE0EEENS1_30default_config_static_selectorELNS0_4arch9wavefront6targetE0EEEvT1_.kd
    .uniform_work_group_size: 1
    .uses_dynamic_stack: false
    .vgpr_count:     0
    .vgpr_spill_count: 0
    .wavefront_size: 32
    .workgroup_processor_mode: 1
  - .args:
      - .offset:         0
        .size:           56
        .value_kind:     by_value
    .group_segment_fixed_size: 20480
    .kernarg_segment_align: 8
    .kernarg_segment_size: 56
    .language:       OpenCL C
    .language_version:
      - 2
      - 0
    .max_flat_workgroup_size: 1024
    .name:           _ZN7rocprim17ROCPRIM_400000_NS6detail17trampoline_kernelINS0_14default_configENS1_35adjacent_difference_config_selectorILb0EiEEZNS1_24adjacent_difference_implIS3_Lb0ELb0EPiS7_N6thrust23THRUST_200600_302600_NS4plusIiEEEE10hipError_tPvRmT2_T3_mT4_P12ihipStream_tbEUlT_E_NS1_11comp_targetILNS1_3genE9ELNS1_11target_archE1100ELNS1_3gpuE3ELNS1_3repE0EEENS1_30default_config_static_selectorELNS0_4arch9wavefront6targetE0EEEvT1_
    .private_segment_fixed_size: 0
    .sgpr_count:     23
    .sgpr_spill_count: 0
    .symbol:         _ZN7rocprim17ROCPRIM_400000_NS6detail17trampoline_kernelINS0_14default_configENS1_35adjacent_difference_config_selectorILb0EiEEZNS1_24adjacent_difference_implIS3_Lb0ELb0EPiS7_N6thrust23THRUST_200600_302600_NS4plusIiEEEE10hipError_tPvRmT2_T3_mT4_P12ihipStream_tbEUlT_E_NS1_11comp_targetILNS1_3genE9ELNS1_11target_archE1100ELNS1_3gpuE3ELNS1_3repE0EEENS1_30default_config_static_selectorELNS0_4arch9wavefront6targetE0EEEvT1_.kd
    .uniform_work_group_size: 1
    .uses_dynamic_stack: false
    .vgpr_count:     17
    .vgpr_spill_count: 0
    .wavefront_size: 32
    .workgroup_processor_mode: 1
  - .args:
      - .offset:         0
        .size:           56
        .value_kind:     by_value
    .group_segment_fixed_size: 0
    .kernarg_segment_align: 8
    .kernarg_segment_size: 56
    .language:       OpenCL C
    .language_version:
      - 2
      - 0
    .max_flat_workgroup_size: 1024
    .name:           _ZN7rocprim17ROCPRIM_400000_NS6detail17trampoline_kernelINS0_14default_configENS1_35adjacent_difference_config_selectorILb0EiEEZNS1_24adjacent_difference_implIS3_Lb0ELb0EPiS7_N6thrust23THRUST_200600_302600_NS4plusIiEEEE10hipError_tPvRmT2_T3_mT4_P12ihipStream_tbEUlT_E_NS1_11comp_targetILNS1_3genE8ELNS1_11target_archE1030ELNS1_3gpuE2ELNS1_3repE0EEENS1_30default_config_static_selectorELNS0_4arch9wavefront6targetE0EEEvT1_
    .private_segment_fixed_size: 0
    .sgpr_count:     0
    .sgpr_spill_count: 0
    .symbol:         _ZN7rocprim17ROCPRIM_400000_NS6detail17trampoline_kernelINS0_14default_configENS1_35adjacent_difference_config_selectorILb0EiEEZNS1_24adjacent_difference_implIS3_Lb0ELb0EPiS7_N6thrust23THRUST_200600_302600_NS4plusIiEEEE10hipError_tPvRmT2_T3_mT4_P12ihipStream_tbEUlT_E_NS1_11comp_targetILNS1_3genE8ELNS1_11target_archE1030ELNS1_3gpuE2ELNS1_3repE0EEENS1_30default_config_static_selectorELNS0_4arch9wavefront6targetE0EEEvT1_.kd
    .uniform_work_group_size: 1
    .uses_dynamic_stack: false
    .vgpr_count:     0
    .vgpr_spill_count: 0
    .wavefront_size: 32
    .workgroup_processor_mode: 1
  - .args:
      - .offset:         0
        .size:           56
        .value_kind:     by_value
    .group_segment_fixed_size: 0
    .kernarg_segment_align: 8
    .kernarg_segment_size: 56
    .language:       OpenCL C
    .language_version:
      - 2
      - 0
    .max_flat_workgroup_size: 128
    .name:           _ZN7rocprim17ROCPRIM_400000_NS6detail17trampoline_kernelINS0_14default_configENS1_25transform_config_selectorIiLb0EEEZNS1_14transform_implILb0ES3_S5_NS0_18transform_iteratorINS0_17counting_iteratorImlEEZNS1_24adjacent_difference_implIS3_Lb1ELb0EPiSB_N6thrust23THRUST_200600_302600_NS4plusIiEEEE10hipError_tPvRmT2_T3_mT4_P12ihipStream_tbEUlmE_iEESB_NS0_8identityIvEEEESG_SJ_SK_mSL_SN_bEUlT_E_NS1_11comp_targetILNS1_3genE0ELNS1_11target_archE4294967295ELNS1_3gpuE0ELNS1_3repE0EEENS1_30default_config_static_selectorELNS0_4arch9wavefront6targetE0EEEvT1_
    .private_segment_fixed_size: 0
    .sgpr_count:     0
    .sgpr_spill_count: 0
    .symbol:         _ZN7rocprim17ROCPRIM_400000_NS6detail17trampoline_kernelINS0_14default_configENS1_25transform_config_selectorIiLb0EEEZNS1_14transform_implILb0ES3_S5_NS0_18transform_iteratorINS0_17counting_iteratorImlEEZNS1_24adjacent_difference_implIS3_Lb1ELb0EPiSB_N6thrust23THRUST_200600_302600_NS4plusIiEEEE10hipError_tPvRmT2_T3_mT4_P12ihipStream_tbEUlmE_iEESB_NS0_8identityIvEEEESG_SJ_SK_mSL_SN_bEUlT_E_NS1_11comp_targetILNS1_3genE0ELNS1_11target_archE4294967295ELNS1_3gpuE0ELNS1_3repE0EEENS1_30default_config_static_selectorELNS0_4arch9wavefront6targetE0EEEvT1_.kd
    .uniform_work_group_size: 1
    .uses_dynamic_stack: false
    .vgpr_count:     0
    .vgpr_spill_count: 0
    .wavefront_size: 32
    .workgroup_processor_mode: 1
  - .args:
      - .offset:         0
        .size:           56
        .value_kind:     by_value
    .group_segment_fixed_size: 0
    .kernarg_segment_align: 8
    .kernarg_segment_size: 56
    .language:       OpenCL C
    .language_version:
      - 2
      - 0
    .max_flat_workgroup_size: 512
    .name:           _ZN7rocprim17ROCPRIM_400000_NS6detail17trampoline_kernelINS0_14default_configENS1_25transform_config_selectorIiLb0EEEZNS1_14transform_implILb0ES3_S5_NS0_18transform_iteratorINS0_17counting_iteratorImlEEZNS1_24adjacent_difference_implIS3_Lb1ELb0EPiSB_N6thrust23THRUST_200600_302600_NS4plusIiEEEE10hipError_tPvRmT2_T3_mT4_P12ihipStream_tbEUlmE_iEESB_NS0_8identityIvEEEESG_SJ_SK_mSL_SN_bEUlT_E_NS1_11comp_targetILNS1_3genE5ELNS1_11target_archE942ELNS1_3gpuE9ELNS1_3repE0EEENS1_30default_config_static_selectorELNS0_4arch9wavefront6targetE0EEEvT1_
    .private_segment_fixed_size: 0
    .sgpr_count:     0
    .sgpr_spill_count: 0
    .symbol:         _ZN7rocprim17ROCPRIM_400000_NS6detail17trampoline_kernelINS0_14default_configENS1_25transform_config_selectorIiLb0EEEZNS1_14transform_implILb0ES3_S5_NS0_18transform_iteratorINS0_17counting_iteratorImlEEZNS1_24adjacent_difference_implIS3_Lb1ELb0EPiSB_N6thrust23THRUST_200600_302600_NS4plusIiEEEE10hipError_tPvRmT2_T3_mT4_P12ihipStream_tbEUlmE_iEESB_NS0_8identityIvEEEESG_SJ_SK_mSL_SN_bEUlT_E_NS1_11comp_targetILNS1_3genE5ELNS1_11target_archE942ELNS1_3gpuE9ELNS1_3repE0EEENS1_30default_config_static_selectorELNS0_4arch9wavefront6targetE0EEEvT1_.kd
    .uniform_work_group_size: 1
    .uses_dynamic_stack: false
    .vgpr_count:     0
    .vgpr_spill_count: 0
    .wavefront_size: 32
    .workgroup_processor_mode: 1
  - .args:
      - .offset:         0
        .size:           56
        .value_kind:     by_value
    .group_segment_fixed_size: 0
    .kernarg_segment_align: 8
    .kernarg_segment_size: 56
    .language:       OpenCL C
    .language_version:
      - 2
      - 0
    .max_flat_workgroup_size: 1024
    .name:           _ZN7rocprim17ROCPRIM_400000_NS6detail17trampoline_kernelINS0_14default_configENS1_25transform_config_selectorIiLb0EEEZNS1_14transform_implILb0ES3_S5_NS0_18transform_iteratorINS0_17counting_iteratorImlEEZNS1_24adjacent_difference_implIS3_Lb1ELb0EPiSB_N6thrust23THRUST_200600_302600_NS4plusIiEEEE10hipError_tPvRmT2_T3_mT4_P12ihipStream_tbEUlmE_iEESB_NS0_8identityIvEEEESG_SJ_SK_mSL_SN_bEUlT_E_NS1_11comp_targetILNS1_3genE4ELNS1_11target_archE910ELNS1_3gpuE8ELNS1_3repE0EEENS1_30default_config_static_selectorELNS0_4arch9wavefront6targetE0EEEvT1_
    .private_segment_fixed_size: 0
    .sgpr_count:     0
    .sgpr_spill_count: 0
    .symbol:         _ZN7rocprim17ROCPRIM_400000_NS6detail17trampoline_kernelINS0_14default_configENS1_25transform_config_selectorIiLb0EEEZNS1_14transform_implILb0ES3_S5_NS0_18transform_iteratorINS0_17counting_iteratorImlEEZNS1_24adjacent_difference_implIS3_Lb1ELb0EPiSB_N6thrust23THRUST_200600_302600_NS4plusIiEEEE10hipError_tPvRmT2_T3_mT4_P12ihipStream_tbEUlmE_iEESB_NS0_8identityIvEEEESG_SJ_SK_mSL_SN_bEUlT_E_NS1_11comp_targetILNS1_3genE4ELNS1_11target_archE910ELNS1_3gpuE8ELNS1_3repE0EEENS1_30default_config_static_selectorELNS0_4arch9wavefront6targetE0EEEvT1_.kd
    .uniform_work_group_size: 1
    .uses_dynamic_stack: false
    .vgpr_count:     0
    .vgpr_spill_count: 0
    .wavefront_size: 32
    .workgroup_processor_mode: 1
  - .args:
      - .offset:         0
        .size:           56
        .value_kind:     by_value
    .group_segment_fixed_size: 0
    .kernarg_segment_align: 8
    .kernarg_segment_size: 56
    .language:       OpenCL C
    .language_version:
      - 2
      - 0
    .max_flat_workgroup_size: 128
    .name:           _ZN7rocprim17ROCPRIM_400000_NS6detail17trampoline_kernelINS0_14default_configENS1_25transform_config_selectorIiLb0EEEZNS1_14transform_implILb0ES3_S5_NS0_18transform_iteratorINS0_17counting_iteratorImlEEZNS1_24adjacent_difference_implIS3_Lb1ELb0EPiSB_N6thrust23THRUST_200600_302600_NS4plusIiEEEE10hipError_tPvRmT2_T3_mT4_P12ihipStream_tbEUlmE_iEESB_NS0_8identityIvEEEESG_SJ_SK_mSL_SN_bEUlT_E_NS1_11comp_targetILNS1_3genE3ELNS1_11target_archE908ELNS1_3gpuE7ELNS1_3repE0EEENS1_30default_config_static_selectorELNS0_4arch9wavefront6targetE0EEEvT1_
    .private_segment_fixed_size: 0
    .sgpr_count:     0
    .sgpr_spill_count: 0
    .symbol:         _ZN7rocprim17ROCPRIM_400000_NS6detail17trampoline_kernelINS0_14default_configENS1_25transform_config_selectorIiLb0EEEZNS1_14transform_implILb0ES3_S5_NS0_18transform_iteratorINS0_17counting_iteratorImlEEZNS1_24adjacent_difference_implIS3_Lb1ELb0EPiSB_N6thrust23THRUST_200600_302600_NS4plusIiEEEE10hipError_tPvRmT2_T3_mT4_P12ihipStream_tbEUlmE_iEESB_NS0_8identityIvEEEESG_SJ_SK_mSL_SN_bEUlT_E_NS1_11comp_targetILNS1_3genE3ELNS1_11target_archE908ELNS1_3gpuE7ELNS1_3repE0EEENS1_30default_config_static_selectorELNS0_4arch9wavefront6targetE0EEEvT1_.kd
    .uniform_work_group_size: 1
    .uses_dynamic_stack: false
    .vgpr_count:     0
    .vgpr_spill_count: 0
    .wavefront_size: 32
    .workgroup_processor_mode: 1
  - .args:
      - .offset:         0
        .size:           56
        .value_kind:     by_value
    .group_segment_fixed_size: 0
    .kernarg_segment_align: 8
    .kernarg_segment_size: 56
    .language:       OpenCL C
    .language_version:
      - 2
      - 0
    .max_flat_workgroup_size: 1024
    .name:           _ZN7rocprim17ROCPRIM_400000_NS6detail17trampoline_kernelINS0_14default_configENS1_25transform_config_selectorIiLb0EEEZNS1_14transform_implILb0ES3_S5_NS0_18transform_iteratorINS0_17counting_iteratorImlEEZNS1_24adjacent_difference_implIS3_Lb1ELb0EPiSB_N6thrust23THRUST_200600_302600_NS4plusIiEEEE10hipError_tPvRmT2_T3_mT4_P12ihipStream_tbEUlmE_iEESB_NS0_8identityIvEEEESG_SJ_SK_mSL_SN_bEUlT_E_NS1_11comp_targetILNS1_3genE2ELNS1_11target_archE906ELNS1_3gpuE6ELNS1_3repE0EEENS1_30default_config_static_selectorELNS0_4arch9wavefront6targetE0EEEvT1_
    .private_segment_fixed_size: 0
    .sgpr_count:     0
    .sgpr_spill_count: 0
    .symbol:         _ZN7rocprim17ROCPRIM_400000_NS6detail17trampoline_kernelINS0_14default_configENS1_25transform_config_selectorIiLb0EEEZNS1_14transform_implILb0ES3_S5_NS0_18transform_iteratorINS0_17counting_iteratorImlEEZNS1_24adjacent_difference_implIS3_Lb1ELb0EPiSB_N6thrust23THRUST_200600_302600_NS4plusIiEEEE10hipError_tPvRmT2_T3_mT4_P12ihipStream_tbEUlmE_iEESB_NS0_8identityIvEEEESG_SJ_SK_mSL_SN_bEUlT_E_NS1_11comp_targetILNS1_3genE2ELNS1_11target_archE906ELNS1_3gpuE6ELNS1_3repE0EEENS1_30default_config_static_selectorELNS0_4arch9wavefront6targetE0EEEvT1_.kd
    .uniform_work_group_size: 1
    .uses_dynamic_stack: false
    .vgpr_count:     0
    .vgpr_spill_count: 0
    .wavefront_size: 32
    .workgroup_processor_mode: 1
  - .args:
      - .offset:         0
        .size:           56
        .value_kind:     by_value
    .group_segment_fixed_size: 0
    .kernarg_segment_align: 8
    .kernarg_segment_size: 56
    .language:       OpenCL C
    .language_version:
      - 2
      - 0
    .max_flat_workgroup_size: 1024
    .name:           _ZN7rocprim17ROCPRIM_400000_NS6detail17trampoline_kernelINS0_14default_configENS1_25transform_config_selectorIiLb0EEEZNS1_14transform_implILb0ES3_S5_NS0_18transform_iteratorINS0_17counting_iteratorImlEEZNS1_24adjacent_difference_implIS3_Lb1ELb0EPiSB_N6thrust23THRUST_200600_302600_NS4plusIiEEEE10hipError_tPvRmT2_T3_mT4_P12ihipStream_tbEUlmE_iEESB_NS0_8identityIvEEEESG_SJ_SK_mSL_SN_bEUlT_E_NS1_11comp_targetILNS1_3genE10ELNS1_11target_archE1201ELNS1_3gpuE5ELNS1_3repE0EEENS1_30default_config_static_selectorELNS0_4arch9wavefront6targetE0EEEvT1_
    .private_segment_fixed_size: 0
    .sgpr_count:     0
    .sgpr_spill_count: 0
    .symbol:         _ZN7rocprim17ROCPRIM_400000_NS6detail17trampoline_kernelINS0_14default_configENS1_25transform_config_selectorIiLb0EEEZNS1_14transform_implILb0ES3_S5_NS0_18transform_iteratorINS0_17counting_iteratorImlEEZNS1_24adjacent_difference_implIS3_Lb1ELb0EPiSB_N6thrust23THRUST_200600_302600_NS4plusIiEEEE10hipError_tPvRmT2_T3_mT4_P12ihipStream_tbEUlmE_iEESB_NS0_8identityIvEEEESG_SJ_SK_mSL_SN_bEUlT_E_NS1_11comp_targetILNS1_3genE10ELNS1_11target_archE1201ELNS1_3gpuE5ELNS1_3repE0EEENS1_30default_config_static_selectorELNS0_4arch9wavefront6targetE0EEEvT1_.kd
    .uniform_work_group_size: 1
    .uses_dynamic_stack: false
    .vgpr_count:     0
    .vgpr_spill_count: 0
    .wavefront_size: 32
    .workgroup_processor_mode: 1
  - .args:
      - .offset:         0
        .size:           56
        .value_kind:     by_value
    .group_segment_fixed_size: 0
    .kernarg_segment_align: 8
    .kernarg_segment_size: 56
    .language:       OpenCL C
    .language_version:
      - 2
      - 0
    .max_flat_workgroup_size: 512
    .name:           _ZN7rocprim17ROCPRIM_400000_NS6detail17trampoline_kernelINS0_14default_configENS1_25transform_config_selectorIiLb0EEEZNS1_14transform_implILb0ES3_S5_NS0_18transform_iteratorINS0_17counting_iteratorImlEEZNS1_24adjacent_difference_implIS3_Lb1ELb0EPiSB_N6thrust23THRUST_200600_302600_NS4plusIiEEEE10hipError_tPvRmT2_T3_mT4_P12ihipStream_tbEUlmE_iEESB_NS0_8identityIvEEEESG_SJ_SK_mSL_SN_bEUlT_E_NS1_11comp_targetILNS1_3genE10ELNS1_11target_archE1200ELNS1_3gpuE4ELNS1_3repE0EEENS1_30default_config_static_selectorELNS0_4arch9wavefront6targetE0EEEvT1_
    .private_segment_fixed_size: 0
    .sgpr_count:     0
    .sgpr_spill_count: 0
    .symbol:         _ZN7rocprim17ROCPRIM_400000_NS6detail17trampoline_kernelINS0_14default_configENS1_25transform_config_selectorIiLb0EEEZNS1_14transform_implILb0ES3_S5_NS0_18transform_iteratorINS0_17counting_iteratorImlEEZNS1_24adjacent_difference_implIS3_Lb1ELb0EPiSB_N6thrust23THRUST_200600_302600_NS4plusIiEEEE10hipError_tPvRmT2_T3_mT4_P12ihipStream_tbEUlmE_iEESB_NS0_8identityIvEEEESG_SJ_SK_mSL_SN_bEUlT_E_NS1_11comp_targetILNS1_3genE10ELNS1_11target_archE1200ELNS1_3gpuE4ELNS1_3repE0EEENS1_30default_config_static_selectorELNS0_4arch9wavefront6targetE0EEEvT1_.kd
    .uniform_work_group_size: 1
    .uses_dynamic_stack: false
    .vgpr_count:     0
    .vgpr_spill_count: 0
    .wavefront_size: 32
    .workgroup_processor_mode: 1
  - .args:
      - .offset:         0
        .size:           56
        .value_kind:     by_value
      - .offset:         56
        .size:           4
        .value_kind:     hidden_block_count_x
      - .offset:         60
        .size:           4
        .value_kind:     hidden_block_count_y
      - .offset:         64
        .size:           4
        .value_kind:     hidden_block_count_z
      - .offset:         68
        .size:           2
        .value_kind:     hidden_group_size_x
      - .offset:         70
        .size:           2
        .value_kind:     hidden_group_size_y
      - .offset:         72
        .size:           2
        .value_kind:     hidden_group_size_z
      - .offset:         74
        .size:           2
        .value_kind:     hidden_remainder_x
      - .offset:         76
        .size:           2
        .value_kind:     hidden_remainder_y
      - .offset:         78
        .size:           2
        .value_kind:     hidden_remainder_z
      - .offset:         96
        .size:           8
        .value_kind:     hidden_global_offset_x
      - .offset:         104
        .size:           8
        .value_kind:     hidden_global_offset_y
      - .offset:         112
        .size:           8
        .value_kind:     hidden_global_offset_z
      - .offset:         120
        .size:           2
        .value_kind:     hidden_grid_dims
    .group_segment_fixed_size: 0
    .kernarg_segment_align: 8
    .kernarg_segment_size: 312
    .language:       OpenCL C
    .language_version:
      - 2
      - 0
    .max_flat_workgroup_size: 64
    .name:           _ZN7rocprim17ROCPRIM_400000_NS6detail17trampoline_kernelINS0_14default_configENS1_25transform_config_selectorIiLb0EEEZNS1_14transform_implILb0ES3_S5_NS0_18transform_iteratorINS0_17counting_iteratorImlEEZNS1_24adjacent_difference_implIS3_Lb1ELb0EPiSB_N6thrust23THRUST_200600_302600_NS4plusIiEEEE10hipError_tPvRmT2_T3_mT4_P12ihipStream_tbEUlmE_iEESB_NS0_8identityIvEEEESG_SJ_SK_mSL_SN_bEUlT_E_NS1_11comp_targetILNS1_3genE9ELNS1_11target_archE1100ELNS1_3gpuE3ELNS1_3repE0EEENS1_30default_config_static_selectorELNS0_4arch9wavefront6targetE0EEEvT1_
    .private_segment_fixed_size: 0
    .sgpr_count:     18
    .sgpr_spill_count: 0
    .symbol:         _ZN7rocprim17ROCPRIM_400000_NS6detail17trampoline_kernelINS0_14default_configENS1_25transform_config_selectorIiLb0EEEZNS1_14transform_implILb0ES3_S5_NS0_18transform_iteratorINS0_17counting_iteratorImlEEZNS1_24adjacent_difference_implIS3_Lb1ELb0EPiSB_N6thrust23THRUST_200600_302600_NS4plusIiEEEE10hipError_tPvRmT2_T3_mT4_P12ihipStream_tbEUlmE_iEESB_NS0_8identityIvEEEESG_SJ_SK_mSL_SN_bEUlT_E_NS1_11comp_targetILNS1_3genE9ELNS1_11target_archE1100ELNS1_3gpuE3ELNS1_3repE0EEENS1_30default_config_static_selectorELNS0_4arch9wavefront6targetE0EEEvT1_.kd
    .uniform_work_group_size: 1
    .uses_dynamic_stack: false
    .vgpr_count:     6
    .vgpr_spill_count: 0
    .wavefront_size: 32
    .workgroup_processor_mode: 1
  - .args:
      - .offset:         0
        .size:           56
        .value_kind:     by_value
    .group_segment_fixed_size: 0
    .kernarg_segment_align: 8
    .kernarg_segment_size: 56
    .language:       OpenCL C
    .language_version:
      - 2
      - 0
    .max_flat_workgroup_size: 256
    .name:           _ZN7rocprim17ROCPRIM_400000_NS6detail17trampoline_kernelINS0_14default_configENS1_25transform_config_selectorIiLb0EEEZNS1_14transform_implILb0ES3_S5_NS0_18transform_iteratorINS0_17counting_iteratorImlEEZNS1_24adjacent_difference_implIS3_Lb1ELb0EPiSB_N6thrust23THRUST_200600_302600_NS4plusIiEEEE10hipError_tPvRmT2_T3_mT4_P12ihipStream_tbEUlmE_iEESB_NS0_8identityIvEEEESG_SJ_SK_mSL_SN_bEUlT_E_NS1_11comp_targetILNS1_3genE8ELNS1_11target_archE1030ELNS1_3gpuE2ELNS1_3repE0EEENS1_30default_config_static_selectorELNS0_4arch9wavefront6targetE0EEEvT1_
    .private_segment_fixed_size: 0
    .sgpr_count:     0
    .sgpr_spill_count: 0
    .symbol:         _ZN7rocprim17ROCPRIM_400000_NS6detail17trampoline_kernelINS0_14default_configENS1_25transform_config_selectorIiLb0EEEZNS1_14transform_implILb0ES3_S5_NS0_18transform_iteratorINS0_17counting_iteratorImlEEZNS1_24adjacent_difference_implIS3_Lb1ELb0EPiSB_N6thrust23THRUST_200600_302600_NS4plusIiEEEE10hipError_tPvRmT2_T3_mT4_P12ihipStream_tbEUlmE_iEESB_NS0_8identityIvEEEESG_SJ_SK_mSL_SN_bEUlT_E_NS1_11comp_targetILNS1_3genE8ELNS1_11target_archE1030ELNS1_3gpuE2ELNS1_3repE0EEENS1_30default_config_static_selectorELNS0_4arch9wavefront6targetE0EEEvT1_.kd
    .uniform_work_group_size: 1
    .uses_dynamic_stack: false
    .vgpr_count:     0
    .vgpr_spill_count: 0
    .wavefront_size: 32
    .workgroup_processor_mode: 1
  - .args:
      - .offset:         0
        .size:           56
        .value_kind:     by_value
    .group_segment_fixed_size: 0
    .kernarg_segment_align: 8
    .kernarg_segment_size: 56
    .language:       OpenCL C
    .language_version:
      - 2
      - 0
    .max_flat_workgroup_size: 1024
    .name:           _ZN7rocprim17ROCPRIM_400000_NS6detail17trampoline_kernelINS0_14default_configENS1_35adjacent_difference_config_selectorILb1EiEEZNS1_24adjacent_difference_implIS3_Lb1ELb0EPiS7_N6thrust23THRUST_200600_302600_NS4plusIiEEEE10hipError_tPvRmT2_T3_mT4_P12ihipStream_tbEUlT_E_NS1_11comp_targetILNS1_3genE0ELNS1_11target_archE4294967295ELNS1_3gpuE0ELNS1_3repE0EEENS1_30default_config_static_selectorELNS0_4arch9wavefront6targetE0EEEvT1_
    .private_segment_fixed_size: 0
    .sgpr_count:     0
    .sgpr_spill_count: 0
    .symbol:         _ZN7rocprim17ROCPRIM_400000_NS6detail17trampoline_kernelINS0_14default_configENS1_35adjacent_difference_config_selectorILb1EiEEZNS1_24adjacent_difference_implIS3_Lb1ELb0EPiS7_N6thrust23THRUST_200600_302600_NS4plusIiEEEE10hipError_tPvRmT2_T3_mT4_P12ihipStream_tbEUlT_E_NS1_11comp_targetILNS1_3genE0ELNS1_11target_archE4294967295ELNS1_3gpuE0ELNS1_3repE0EEENS1_30default_config_static_selectorELNS0_4arch9wavefront6targetE0EEEvT1_.kd
    .uniform_work_group_size: 1
    .uses_dynamic_stack: false
    .vgpr_count:     0
    .vgpr_spill_count: 0
    .wavefront_size: 32
    .workgroup_processor_mode: 1
  - .args:
      - .offset:         0
        .size:           56
        .value_kind:     by_value
    .group_segment_fixed_size: 0
    .kernarg_segment_align: 8
    .kernarg_segment_size: 56
    .language:       OpenCL C
    .language_version:
      - 2
      - 0
    .max_flat_workgroup_size: 32
    .name:           _ZN7rocprim17ROCPRIM_400000_NS6detail17trampoline_kernelINS0_14default_configENS1_35adjacent_difference_config_selectorILb1EiEEZNS1_24adjacent_difference_implIS3_Lb1ELb0EPiS7_N6thrust23THRUST_200600_302600_NS4plusIiEEEE10hipError_tPvRmT2_T3_mT4_P12ihipStream_tbEUlT_E_NS1_11comp_targetILNS1_3genE10ELNS1_11target_archE1201ELNS1_3gpuE5ELNS1_3repE0EEENS1_30default_config_static_selectorELNS0_4arch9wavefront6targetE0EEEvT1_
    .private_segment_fixed_size: 0
    .sgpr_count:     0
    .sgpr_spill_count: 0
    .symbol:         _ZN7rocprim17ROCPRIM_400000_NS6detail17trampoline_kernelINS0_14default_configENS1_35adjacent_difference_config_selectorILb1EiEEZNS1_24adjacent_difference_implIS3_Lb1ELb0EPiS7_N6thrust23THRUST_200600_302600_NS4plusIiEEEE10hipError_tPvRmT2_T3_mT4_P12ihipStream_tbEUlT_E_NS1_11comp_targetILNS1_3genE10ELNS1_11target_archE1201ELNS1_3gpuE5ELNS1_3repE0EEENS1_30default_config_static_selectorELNS0_4arch9wavefront6targetE0EEEvT1_.kd
    .uniform_work_group_size: 1
    .uses_dynamic_stack: false
    .vgpr_count:     0
    .vgpr_spill_count: 0
    .wavefront_size: 32
    .workgroup_processor_mode: 1
  - .args:
      - .offset:         0
        .size:           56
        .value_kind:     by_value
    .group_segment_fixed_size: 0
    .kernarg_segment_align: 8
    .kernarg_segment_size: 56
    .language:       OpenCL C
    .language_version:
      - 2
      - 0
    .max_flat_workgroup_size: 512
    .name:           _ZN7rocprim17ROCPRIM_400000_NS6detail17trampoline_kernelINS0_14default_configENS1_35adjacent_difference_config_selectorILb1EiEEZNS1_24adjacent_difference_implIS3_Lb1ELb0EPiS7_N6thrust23THRUST_200600_302600_NS4plusIiEEEE10hipError_tPvRmT2_T3_mT4_P12ihipStream_tbEUlT_E_NS1_11comp_targetILNS1_3genE5ELNS1_11target_archE942ELNS1_3gpuE9ELNS1_3repE0EEENS1_30default_config_static_selectorELNS0_4arch9wavefront6targetE0EEEvT1_
    .private_segment_fixed_size: 0
    .sgpr_count:     0
    .sgpr_spill_count: 0
    .symbol:         _ZN7rocprim17ROCPRIM_400000_NS6detail17trampoline_kernelINS0_14default_configENS1_35adjacent_difference_config_selectorILb1EiEEZNS1_24adjacent_difference_implIS3_Lb1ELb0EPiS7_N6thrust23THRUST_200600_302600_NS4plusIiEEEE10hipError_tPvRmT2_T3_mT4_P12ihipStream_tbEUlT_E_NS1_11comp_targetILNS1_3genE5ELNS1_11target_archE942ELNS1_3gpuE9ELNS1_3repE0EEENS1_30default_config_static_selectorELNS0_4arch9wavefront6targetE0EEEvT1_.kd
    .uniform_work_group_size: 1
    .uses_dynamic_stack: false
    .vgpr_count:     0
    .vgpr_spill_count: 0
    .wavefront_size: 32
    .workgroup_processor_mode: 1
  - .args:
      - .offset:         0
        .size:           56
        .value_kind:     by_value
    .group_segment_fixed_size: 0
    .kernarg_segment_align: 8
    .kernarg_segment_size: 56
    .language:       OpenCL C
    .language_version:
      - 2
      - 0
    .max_flat_workgroup_size: 512
    .name:           _ZN7rocprim17ROCPRIM_400000_NS6detail17trampoline_kernelINS0_14default_configENS1_35adjacent_difference_config_selectorILb1EiEEZNS1_24adjacent_difference_implIS3_Lb1ELb0EPiS7_N6thrust23THRUST_200600_302600_NS4plusIiEEEE10hipError_tPvRmT2_T3_mT4_P12ihipStream_tbEUlT_E_NS1_11comp_targetILNS1_3genE4ELNS1_11target_archE910ELNS1_3gpuE8ELNS1_3repE0EEENS1_30default_config_static_selectorELNS0_4arch9wavefront6targetE0EEEvT1_
    .private_segment_fixed_size: 0
    .sgpr_count:     0
    .sgpr_spill_count: 0
    .symbol:         _ZN7rocprim17ROCPRIM_400000_NS6detail17trampoline_kernelINS0_14default_configENS1_35adjacent_difference_config_selectorILb1EiEEZNS1_24adjacent_difference_implIS3_Lb1ELb0EPiS7_N6thrust23THRUST_200600_302600_NS4plusIiEEEE10hipError_tPvRmT2_T3_mT4_P12ihipStream_tbEUlT_E_NS1_11comp_targetILNS1_3genE4ELNS1_11target_archE910ELNS1_3gpuE8ELNS1_3repE0EEENS1_30default_config_static_selectorELNS0_4arch9wavefront6targetE0EEEvT1_.kd
    .uniform_work_group_size: 1
    .uses_dynamic_stack: false
    .vgpr_count:     0
    .vgpr_spill_count: 0
    .wavefront_size: 32
    .workgroup_processor_mode: 1
  - .args:
      - .offset:         0
        .size:           56
        .value_kind:     by_value
    .group_segment_fixed_size: 0
    .kernarg_segment_align: 8
    .kernarg_segment_size: 56
    .language:       OpenCL C
    .language_version:
      - 2
      - 0
    .max_flat_workgroup_size: 1024
    .name:           _ZN7rocprim17ROCPRIM_400000_NS6detail17trampoline_kernelINS0_14default_configENS1_35adjacent_difference_config_selectorILb1EiEEZNS1_24adjacent_difference_implIS3_Lb1ELb0EPiS7_N6thrust23THRUST_200600_302600_NS4plusIiEEEE10hipError_tPvRmT2_T3_mT4_P12ihipStream_tbEUlT_E_NS1_11comp_targetILNS1_3genE3ELNS1_11target_archE908ELNS1_3gpuE7ELNS1_3repE0EEENS1_30default_config_static_selectorELNS0_4arch9wavefront6targetE0EEEvT1_
    .private_segment_fixed_size: 0
    .sgpr_count:     0
    .sgpr_spill_count: 0
    .symbol:         _ZN7rocprim17ROCPRIM_400000_NS6detail17trampoline_kernelINS0_14default_configENS1_35adjacent_difference_config_selectorILb1EiEEZNS1_24adjacent_difference_implIS3_Lb1ELb0EPiS7_N6thrust23THRUST_200600_302600_NS4plusIiEEEE10hipError_tPvRmT2_T3_mT4_P12ihipStream_tbEUlT_E_NS1_11comp_targetILNS1_3genE3ELNS1_11target_archE908ELNS1_3gpuE7ELNS1_3repE0EEENS1_30default_config_static_selectorELNS0_4arch9wavefront6targetE0EEEvT1_.kd
    .uniform_work_group_size: 1
    .uses_dynamic_stack: false
    .vgpr_count:     0
    .vgpr_spill_count: 0
    .wavefront_size: 32
    .workgroup_processor_mode: 1
  - .args:
      - .offset:         0
        .size:           56
        .value_kind:     by_value
    .group_segment_fixed_size: 0
    .kernarg_segment_align: 8
    .kernarg_segment_size: 56
    .language:       OpenCL C
    .language_version:
      - 2
      - 0
    .max_flat_workgroup_size: 256
    .name:           _ZN7rocprim17ROCPRIM_400000_NS6detail17trampoline_kernelINS0_14default_configENS1_35adjacent_difference_config_selectorILb1EiEEZNS1_24adjacent_difference_implIS3_Lb1ELb0EPiS7_N6thrust23THRUST_200600_302600_NS4plusIiEEEE10hipError_tPvRmT2_T3_mT4_P12ihipStream_tbEUlT_E_NS1_11comp_targetILNS1_3genE2ELNS1_11target_archE906ELNS1_3gpuE6ELNS1_3repE0EEENS1_30default_config_static_selectorELNS0_4arch9wavefront6targetE0EEEvT1_
    .private_segment_fixed_size: 0
    .sgpr_count:     0
    .sgpr_spill_count: 0
    .symbol:         _ZN7rocprim17ROCPRIM_400000_NS6detail17trampoline_kernelINS0_14default_configENS1_35adjacent_difference_config_selectorILb1EiEEZNS1_24adjacent_difference_implIS3_Lb1ELb0EPiS7_N6thrust23THRUST_200600_302600_NS4plusIiEEEE10hipError_tPvRmT2_T3_mT4_P12ihipStream_tbEUlT_E_NS1_11comp_targetILNS1_3genE2ELNS1_11target_archE906ELNS1_3gpuE6ELNS1_3repE0EEENS1_30default_config_static_selectorELNS0_4arch9wavefront6targetE0EEEvT1_.kd
    .uniform_work_group_size: 1
    .uses_dynamic_stack: false
    .vgpr_count:     0
    .vgpr_spill_count: 0
    .wavefront_size: 32
    .workgroup_processor_mode: 1
  - .args:
      - .offset:         0
        .size:           56
        .value_kind:     by_value
    .group_segment_fixed_size: 14848
    .kernarg_segment_align: 8
    .kernarg_segment_size: 56
    .language:       OpenCL C
    .language_version:
      - 2
      - 0
    .max_flat_workgroup_size: 128
    .name:           _ZN7rocprim17ROCPRIM_400000_NS6detail17trampoline_kernelINS0_14default_configENS1_35adjacent_difference_config_selectorILb1EiEEZNS1_24adjacent_difference_implIS3_Lb1ELb0EPiS7_N6thrust23THRUST_200600_302600_NS4plusIiEEEE10hipError_tPvRmT2_T3_mT4_P12ihipStream_tbEUlT_E_NS1_11comp_targetILNS1_3genE9ELNS1_11target_archE1100ELNS1_3gpuE3ELNS1_3repE0EEENS1_30default_config_static_selectorELNS0_4arch9wavefront6targetE0EEEvT1_
    .private_segment_fixed_size: 0
    .sgpr_count:     46
    .sgpr_spill_count: 0
    .symbol:         _ZN7rocprim17ROCPRIM_400000_NS6detail17trampoline_kernelINS0_14default_configENS1_35adjacent_difference_config_selectorILb1EiEEZNS1_24adjacent_difference_implIS3_Lb1ELb0EPiS7_N6thrust23THRUST_200600_302600_NS4plusIiEEEE10hipError_tPvRmT2_T3_mT4_P12ihipStream_tbEUlT_E_NS1_11comp_targetILNS1_3genE9ELNS1_11target_archE1100ELNS1_3gpuE3ELNS1_3repE0EEENS1_30default_config_static_selectorELNS0_4arch9wavefront6targetE0EEEvT1_.kd
    .uniform_work_group_size: 1
    .uses_dynamic_stack: false
    .vgpr_count:     64
    .vgpr_spill_count: 0
    .wavefront_size: 32
    .workgroup_processor_mode: 1
  - .args:
      - .offset:         0
        .size:           56
        .value_kind:     by_value
    .group_segment_fixed_size: 0
    .kernarg_segment_align: 8
    .kernarg_segment_size: 56
    .language:       OpenCL C
    .language_version:
      - 2
      - 0
    .max_flat_workgroup_size: 32
    .name:           _ZN7rocprim17ROCPRIM_400000_NS6detail17trampoline_kernelINS0_14default_configENS1_35adjacent_difference_config_selectorILb1EiEEZNS1_24adjacent_difference_implIS3_Lb1ELb0EPiS7_N6thrust23THRUST_200600_302600_NS4plusIiEEEE10hipError_tPvRmT2_T3_mT4_P12ihipStream_tbEUlT_E_NS1_11comp_targetILNS1_3genE8ELNS1_11target_archE1030ELNS1_3gpuE2ELNS1_3repE0EEENS1_30default_config_static_selectorELNS0_4arch9wavefront6targetE0EEEvT1_
    .private_segment_fixed_size: 0
    .sgpr_count:     0
    .sgpr_spill_count: 0
    .symbol:         _ZN7rocprim17ROCPRIM_400000_NS6detail17trampoline_kernelINS0_14default_configENS1_35adjacent_difference_config_selectorILb1EiEEZNS1_24adjacent_difference_implIS3_Lb1ELb0EPiS7_N6thrust23THRUST_200600_302600_NS4plusIiEEEE10hipError_tPvRmT2_T3_mT4_P12ihipStream_tbEUlT_E_NS1_11comp_targetILNS1_3genE8ELNS1_11target_archE1030ELNS1_3gpuE2ELNS1_3repE0EEENS1_30default_config_static_selectorELNS0_4arch9wavefront6targetE0EEEvT1_.kd
    .uniform_work_group_size: 1
    .uses_dynamic_stack: false
    .vgpr_count:     0
    .vgpr_spill_count: 0
    .wavefront_size: 32
    .workgroup_processor_mode: 1
  - .args:
      - .offset:         0
        .size:           16
        .value_kind:     by_value
      - .offset:         16
        .size:           8
        .value_kind:     by_value
      - .offset:         24
        .size:           8
        .value_kind:     by_value
    .group_segment_fixed_size: 0
    .kernarg_segment_align: 8
    .kernarg_segment_size: 32
    .language:       OpenCL C
    .language_version:
      - 2
      - 0
    .max_flat_workgroup_size: 256
    .name:           _ZN6thrust23THRUST_200600_302600_NS11hip_rocprim14__parallel_for6kernelILj256ENS1_20__uninitialized_fill7functorINS0_10device_ptrIsEEsEEmLj1EEEvT0_T1_SA_
    .private_segment_fixed_size: 0
    .sgpr_count:     18
    .sgpr_spill_count: 0
    .symbol:         _ZN6thrust23THRUST_200600_302600_NS11hip_rocprim14__parallel_for6kernelILj256ENS1_20__uninitialized_fill7functorINS0_10device_ptrIsEEsEEmLj1EEEvT0_T1_SA_.kd
    .uniform_work_group_size: 1
    .uses_dynamic_stack: false
    .vgpr_count:     3
    .vgpr_spill_count: 0
    .wavefront_size: 32
    .workgroup_processor_mode: 1
  - .args:
      - .offset:         0
        .size:           56
        .value_kind:     by_value
    .group_segment_fixed_size: 0
    .kernarg_segment_align: 8
    .kernarg_segment_size: 56
    .language:       OpenCL C
    .language_version:
      - 2
      - 0
    .max_flat_workgroup_size: 64
    .name:           _ZN7rocprim17ROCPRIM_400000_NS6detail17trampoline_kernelINS0_14default_configENS1_35adjacent_difference_config_selectorILb0EsEEZNS1_24adjacent_difference_implIS3_Lb0ELb0EPsS7_N6thrust23THRUST_200600_302600_NS5minusIsEEEE10hipError_tPvRmT2_T3_mT4_P12ihipStream_tbEUlT_E_NS1_11comp_targetILNS1_3genE0ELNS1_11target_archE4294967295ELNS1_3gpuE0ELNS1_3repE0EEENS1_30default_config_static_selectorELNS0_4arch9wavefront6targetE0EEEvT1_
    .private_segment_fixed_size: 0
    .sgpr_count:     0
    .sgpr_spill_count: 0
    .symbol:         _ZN7rocprim17ROCPRIM_400000_NS6detail17trampoline_kernelINS0_14default_configENS1_35adjacent_difference_config_selectorILb0EsEEZNS1_24adjacent_difference_implIS3_Lb0ELb0EPsS7_N6thrust23THRUST_200600_302600_NS5minusIsEEEE10hipError_tPvRmT2_T3_mT4_P12ihipStream_tbEUlT_E_NS1_11comp_targetILNS1_3genE0ELNS1_11target_archE4294967295ELNS1_3gpuE0ELNS1_3repE0EEENS1_30default_config_static_selectorELNS0_4arch9wavefront6targetE0EEEvT1_.kd
    .uniform_work_group_size: 1
    .uses_dynamic_stack: false
    .vgpr_count:     0
    .vgpr_spill_count: 0
    .wavefront_size: 32
    .workgroup_processor_mode: 1
  - .args:
      - .offset:         0
        .size:           56
        .value_kind:     by_value
    .group_segment_fixed_size: 0
    .kernarg_segment_align: 8
    .kernarg_segment_size: 56
    .language:       OpenCL C
    .language_version:
      - 2
      - 0
    .max_flat_workgroup_size: 128
    .name:           _ZN7rocprim17ROCPRIM_400000_NS6detail17trampoline_kernelINS0_14default_configENS1_35adjacent_difference_config_selectorILb0EsEEZNS1_24adjacent_difference_implIS3_Lb0ELb0EPsS7_N6thrust23THRUST_200600_302600_NS5minusIsEEEE10hipError_tPvRmT2_T3_mT4_P12ihipStream_tbEUlT_E_NS1_11comp_targetILNS1_3genE10ELNS1_11target_archE1201ELNS1_3gpuE5ELNS1_3repE0EEENS1_30default_config_static_selectorELNS0_4arch9wavefront6targetE0EEEvT1_
    .private_segment_fixed_size: 0
    .sgpr_count:     0
    .sgpr_spill_count: 0
    .symbol:         _ZN7rocprim17ROCPRIM_400000_NS6detail17trampoline_kernelINS0_14default_configENS1_35adjacent_difference_config_selectorILb0EsEEZNS1_24adjacent_difference_implIS3_Lb0ELb0EPsS7_N6thrust23THRUST_200600_302600_NS5minusIsEEEE10hipError_tPvRmT2_T3_mT4_P12ihipStream_tbEUlT_E_NS1_11comp_targetILNS1_3genE10ELNS1_11target_archE1201ELNS1_3gpuE5ELNS1_3repE0EEENS1_30default_config_static_selectorELNS0_4arch9wavefront6targetE0EEEvT1_.kd
    .uniform_work_group_size: 1
    .uses_dynamic_stack: false
    .vgpr_count:     0
    .vgpr_spill_count: 0
    .wavefront_size: 32
    .workgroup_processor_mode: 1
  - .args:
      - .offset:         0
        .size:           56
        .value_kind:     by_value
    .group_segment_fixed_size: 0
    .kernarg_segment_align: 8
    .kernarg_segment_size: 56
    .language:       OpenCL C
    .language_version:
      - 2
      - 0
    .max_flat_workgroup_size: 256
    .name:           _ZN7rocprim17ROCPRIM_400000_NS6detail17trampoline_kernelINS0_14default_configENS1_35adjacent_difference_config_selectorILb0EsEEZNS1_24adjacent_difference_implIS3_Lb0ELb0EPsS7_N6thrust23THRUST_200600_302600_NS5minusIsEEEE10hipError_tPvRmT2_T3_mT4_P12ihipStream_tbEUlT_E_NS1_11comp_targetILNS1_3genE5ELNS1_11target_archE942ELNS1_3gpuE9ELNS1_3repE0EEENS1_30default_config_static_selectorELNS0_4arch9wavefront6targetE0EEEvT1_
    .private_segment_fixed_size: 0
    .sgpr_count:     0
    .sgpr_spill_count: 0
    .symbol:         _ZN7rocprim17ROCPRIM_400000_NS6detail17trampoline_kernelINS0_14default_configENS1_35adjacent_difference_config_selectorILb0EsEEZNS1_24adjacent_difference_implIS3_Lb0ELb0EPsS7_N6thrust23THRUST_200600_302600_NS5minusIsEEEE10hipError_tPvRmT2_T3_mT4_P12ihipStream_tbEUlT_E_NS1_11comp_targetILNS1_3genE5ELNS1_11target_archE942ELNS1_3gpuE9ELNS1_3repE0EEENS1_30default_config_static_selectorELNS0_4arch9wavefront6targetE0EEEvT1_.kd
    .uniform_work_group_size: 1
    .uses_dynamic_stack: false
    .vgpr_count:     0
    .vgpr_spill_count: 0
    .wavefront_size: 32
    .workgroup_processor_mode: 1
  - .args:
      - .offset:         0
        .size:           56
        .value_kind:     by_value
    .group_segment_fixed_size: 0
    .kernarg_segment_align: 8
    .kernarg_segment_size: 56
    .language:       OpenCL C
    .language_version:
      - 2
      - 0
    .max_flat_workgroup_size: 64
    .name:           _ZN7rocprim17ROCPRIM_400000_NS6detail17trampoline_kernelINS0_14default_configENS1_35adjacent_difference_config_selectorILb0EsEEZNS1_24adjacent_difference_implIS3_Lb0ELb0EPsS7_N6thrust23THRUST_200600_302600_NS5minusIsEEEE10hipError_tPvRmT2_T3_mT4_P12ihipStream_tbEUlT_E_NS1_11comp_targetILNS1_3genE4ELNS1_11target_archE910ELNS1_3gpuE8ELNS1_3repE0EEENS1_30default_config_static_selectorELNS0_4arch9wavefront6targetE0EEEvT1_
    .private_segment_fixed_size: 0
    .sgpr_count:     0
    .sgpr_spill_count: 0
    .symbol:         _ZN7rocprim17ROCPRIM_400000_NS6detail17trampoline_kernelINS0_14default_configENS1_35adjacent_difference_config_selectorILb0EsEEZNS1_24adjacent_difference_implIS3_Lb0ELb0EPsS7_N6thrust23THRUST_200600_302600_NS5minusIsEEEE10hipError_tPvRmT2_T3_mT4_P12ihipStream_tbEUlT_E_NS1_11comp_targetILNS1_3genE4ELNS1_11target_archE910ELNS1_3gpuE8ELNS1_3repE0EEENS1_30default_config_static_selectorELNS0_4arch9wavefront6targetE0EEEvT1_.kd
    .uniform_work_group_size: 1
    .uses_dynamic_stack: false
    .vgpr_count:     0
    .vgpr_spill_count: 0
    .wavefront_size: 32
    .workgroup_processor_mode: 1
  - .args:
      - .offset:         0
        .size:           56
        .value_kind:     by_value
    .group_segment_fixed_size: 0
    .kernarg_segment_align: 8
    .kernarg_segment_size: 56
    .language:       OpenCL C
    .language_version:
      - 2
      - 0
    .max_flat_workgroup_size: 64
    .name:           _ZN7rocprim17ROCPRIM_400000_NS6detail17trampoline_kernelINS0_14default_configENS1_35adjacent_difference_config_selectorILb0EsEEZNS1_24adjacent_difference_implIS3_Lb0ELb0EPsS7_N6thrust23THRUST_200600_302600_NS5minusIsEEEE10hipError_tPvRmT2_T3_mT4_P12ihipStream_tbEUlT_E_NS1_11comp_targetILNS1_3genE3ELNS1_11target_archE908ELNS1_3gpuE7ELNS1_3repE0EEENS1_30default_config_static_selectorELNS0_4arch9wavefront6targetE0EEEvT1_
    .private_segment_fixed_size: 0
    .sgpr_count:     0
    .sgpr_spill_count: 0
    .symbol:         _ZN7rocprim17ROCPRIM_400000_NS6detail17trampoline_kernelINS0_14default_configENS1_35adjacent_difference_config_selectorILb0EsEEZNS1_24adjacent_difference_implIS3_Lb0ELb0EPsS7_N6thrust23THRUST_200600_302600_NS5minusIsEEEE10hipError_tPvRmT2_T3_mT4_P12ihipStream_tbEUlT_E_NS1_11comp_targetILNS1_3genE3ELNS1_11target_archE908ELNS1_3gpuE7ELNS1_3repE0EEENS1_30default_config_static_selectorELNS0_4arch9wavefront6targetE0EEEvT1_.kd
    .uniform_work_group_size: 1
    .uses_dynamic_stack: false
    .vgpr_count:     0
    .vgpr_spill_count: 0
    .wavefront_size: 32
    .workgroup_processor_mode: 1
  - .args:
      - .offset:         0
        .size:           56
        .value_kind:     by_value
    .group_segment_fixed_size: 0
    .kernarg_segment_align: 8
    .kernarg_segment_size: 56
    .language:       OpenCL C
    .language_version:
      - 2
      - 0
    .max_flat_workgroup_size: 64
    .name:           _ZN7rocprim17ROCPRIM_400000_NS6detail17trampoline_kernelINS0_14default_configENS1_35adjacent_difference_config_selectorILb0EsEEZNS1_24adjacent_difference_implIS3_Lb0ELb0EPsS7_N6thrust23THRUST_200600_302600_NS5minusIsEEEE10hipError_tPvRmT2_T3_mT4_P12ihipStream_tbEUlT_E_NS1_11comp_targetILNS1_3genE2ELNS1_11target_archE906ELNS1_3gpuE6ELNS1_3repE0EEENS1_30default_config_static_selectorELNS0_4arch9wavefront6targetE0EEEvT1_
    .private_segment_fixed_size: 0
    .sgpr_count:     0
    .sgpr_spill_count: 0
    .symbol:         _ZN7rocprim17ROCPRIM_400000_NS6detail17trampoline_kernelINS0_14default_configENS1_35adjacent_difference_config_selectorILb0EsEEZNS1_24adjacent_difference_implIS3_Lb0ELb0EPsS7_N6thrust23THRUST_200600_302600_NS5minusIsEEEE10hipError_tPvRmT2_T3_mT4_P12ihipStream_tbEUlT_E_NS1_11comp_targetILNS1_3genE2ELNS1_11target_archE906ELNS1_3gpuE6ELNS1_3repE0EEENS1_30default_config_static_selectorELNS0_4arch9wavefront6targetE0EEEvT1_.kd
    .uniform_work_group_size: 1
    .uses_dynamic_stack: false
    .vgpr_count:     0
    .vgpr_spill_count: 0
    .wavefront_size: 32
    .workgroup_processor_mode: 1
  - .args:
      - .offset:         0
        .size:           56
        .value_kind:     by_value
    .group_segment_fixed_size: 896
    .kernarg_segment_align: 8
    .kernarg_segment_size: 56
    .language:       OpenCL C
    .language_version:
      - 2
      - 0
    .max_flat_workgroup_size: 64
    .name:           _ZN7rocprim17ROCPRIM_400000_NS6detail17trampoline_kernelINS0_14default_configENS1_35adjacent_difference_config_selectorILb0EsEEZNS1_24adjacent_difference_implIS3_Lb0ELb0EPsS7_N6thrust23THRUST_200600_302600_NS5minusIsEEEE10hipError_tPvRmT2_T3_mT4_P12ihipStream_tbEUlT_E_NS1_11comp_targetILNS1_3genE9ELNS1_11target_archE1100ELNS1_3gpuE3ELNS1_3repE0EEENS1_30default_config_static_selectorELNS0_4arch9wavefront6targetE0EEEvT1_
    .private_segment_fixed_size: 0
    .sgpr_count:     23
    .sgpr_spill_count: 0
    .symbol:         _ZN7rocprim17ROCPRIM_400000_NS6detail17trampoline_kernelINS0_14default_configENS1_35adjacent_difference_config_selectorILb0EsEEZNS1_24adjacent_difference_implIS3_Lb0ELb0EPsS7_N6thrust23THRUST_200600_302600_NS5minusIsEEEE10hipError_tPvRmT2_T3_mT4_P12ihipStream_tbEUlT_E_NS1_11comp_targetILNS1_3genE9ELNS1_11target_archE1100ELNS1_3gpuE3ELNS1_3repE0EEENS1_30default_config_static_selectorELNS0_4arch9wavefront6targetE0EEEvT1_.kd
    .uniform_work_group_size: 1
    .uses_dynamic_stack: false
    .vgpr_count:     22
    .vgpr_spill_count: 0
    .wavefront_size: 32
    .workgroup_processor_mode: 1
  - .args:
      - .offset:         0
        .size:           56
        .value_kind:     by_value
    .group_segment_fixed_size: 0
    .kernarg_segment_align: 8
    .kernarg_segment_size: 56
    .language:       OpenCL C
    .language_version:
      - 2
      - 0
    .max_flat_workgroup_size: 1024
    .name:           _ZN7rocprim17ROCPRIM_400000_NS6detail17trampoline_kernelINS0_14default_configENS1_35adjacent_difference_config_selectorILb0EsEEZNS1_24adjacent_difference_implIS3_Lb0ELb0EPsS7_N6thrust23THRUST_200600_302600_NS5minusIsEEEE10hipError_tPvRmT2_T3_mT4_P12ihipStream_tbEUlT_E_NS1_11comp_targetILNS1_3genE8ELNS1_11target_archE1030ELNS1_3gpuE2ELNS1_3repE0EEENS1_30default_config_static_selectorELNS0_4arch9wavefront6targetE0EEEvT1_
    .private_segment_fixed_size: 0
    .sgpr_count:     0
    .sgpr_spill_count: 0
    .symbol:         _ZN7rocprim17ROCPRIM_400000_NS6detail17trampoline_kernelINS0_14default_configENS1_35adjacent_difference_config_selectorILb0EsEEZNS1_24adjacent_difference_implIS3_Lb0ELb0EPsS7_N6thrust23THRUST_200600_302600_NS5minusIsEEEE10hipError_tPvRmT2_T3_mT4_P12ihipStream_tbEUlT_E_NS1_11comp_targetILNS1_3genE8ELNS1_11target_archE1030ELNS1_3gpuE2ELNS1_3repE0EEENS1_30default_config_static_selectorELNS0_4arch9wavefront6targetE0EEEvT1_.kd
    .uniform_work_group_size: 1
    .uses_dynamic_stack: false
    .vgpr_count:     0
    .vgpr_spill_count: 0
    .wavefront_size: 32
    .workgroup_processor_mode: 1
  - .args:
      - .offset:         0
        .size:           56
        .value_kind:     by_value
    .group_segment_fixed_size: 0
    .kernarg_segment_align: 8
    .kernarg_segment_size: 56
    .language:       OpenCL C
    .language_version:
      - 2
      - 0
    .max_flat_workgroup_size: 128
    .name:           _ZN7rocprim17ROCPRIM_400000_NS6detail17trampoline_kernelINS0_14default_configENS1_25transform_config_selectorIsLb0EEEZNS1_14transform_implILb0ES3_S5_NS0_18transform_iteratorINS0_17counting_iteratorImlEEZNS1_24adjacent_difference_implIS3_Lb1ELb0EPsSB_N6thrust23THRUST_200600_302600_NS5minusIsEEEE10hipError_tPvRmT2_T3_mT4_P12ihipStream_tbEUlmE_sEESB_NS0_8identityIvEEEESG_SJ_SK_mSL_SN_bEUlT_E_NS1_11comp_targetILNS1_3genE0ELNS1_11target_archE4294967295ELNS1_3gpuE0ELNS1_3repE0EEENS1_30default_config_static_selectorELNS0_4arch9wavefront6targetE0EEEvT1_
    .private_segment_fixed_size: 0
    .sgpr_count:     0
    .sgpr_spill_count: 0
    .symbol:         _ZN7rocprim17ROCPRIM_400000_NS6detail17trampoline_kernelINS0_14default_configENS1_25transform_config_selectorIsLb0EEEZNS1_14transform_implILb0ES3_S5_NS0_18transform_iteratorINS0_17counting_iteratorImlEEZNS1_24adjacent_difference_implIS3_Lb1ELb0EPsSB_N6thrust23THRUST_200600_302600_NS5minusIsEEEE10hipError_tPvRmT2_T3_mT4_P12ihipStream_tbEUlmE_sEESB_NS0_8identityIvEEEESG_SJ_SK_mSL_SN_bEUlT_E_NS1_11comp_targetILNS1_3genE0ELNS1_11target_archE4294967295ELNS1_3gpuE0ELNS1_3repE0EEENS1_30default_config_static_selectorELNS0_4arch9wavefront6targetE0EEEvT1_.kd
    .uniform_work_group_size: 1
    .uses_dynamic_stack: false
    .vgpr_count:     0
    .vgpr_spill_count: 0
    .wavefront_size: 32
    .workgroup_processor_mode: 1
  - .args:
      - .offset:         0
        .size:           56
        .value_kind:     by_value
    .group_segment_fixed_size: 0
    .kernarg_segment_align: 8
    .kernarg_segment_size: 56
    .language:       OpenCL C
    .language_version:
      - 2
      - 0
    .max_flat_workgroup_size: 256
    .name:           _ZN7rocprim17ROCPRIM_400000_NS6detail17trampoline_kernelINS0_14default_configENS1_25transform_config_selectorIsLb0EEEZNS1_14transform_implILb0ES3_S5_NS0_18transform_iteratorINS0_17counting_iteratorImlEEZNS1_24adjacent_difference_implIS3_Lb1ELb0EPsSB_N6thrust23THRUST_200600_302600_NS5minusIsEEEE10hipError_tPvRmT2_T3_mT4_P12ihipStream_tbEUlmE_sEESB_NS0_8identityIvEEEESG_SJ_SK_mSL_SN_bEUlT_E_NS1_11comp_targetILNS1_3genE5ELNS1_11target_archE942ELNS1_3gpuE9ELNS1_3repE0EEENS1_30default_config_static_selectorELNS0_4arch9wavefront6targetE0EEEvT1_
    .private_segment_fixed_size: 0
    .sgpr_count:     0
    .sgpr_spill_count: 0
    .symbol:         _ZN7rocprim17ROCPRIM_400000_NS6detail17trampoline_kernelINS0_14default_configENS1_25transform_config_selectorIsLb0EEEZNS1_14transform_implILb0ES3_S5_NS0_18transform_iteratorINS0_17counting_iteratorImlEEZNS1_24adjacent_difference_implIS3_Lb1ELb0EPsSB_N6thrust23THRUST_200600_302600_NS5minusIsEEEE10hipError_tPvRmT2_T3_mT4_P12ihipStream_tbEUlmE_sEESB_NS0_8identityIvEEEESG_SJ_SK_mSL_SN_bEUlT_E_NS1_11comp_targetILNS1_3genE5ELNS1_11target_archE942ELNS1_3gpuE9ELNS1_3repE0EEENS1_30default_config_static_selectorELNS0_4arch9wavefront6targetE0EEEvT1_.kd
    .uniform_work_group_size: 1
    .uses_dynamic_stack: false
    .vgpr_count:     0
    .vgpr_spill_count: 0
    .wavefront_size: 32
    .workgroup_processor_mode: 1
  - .args:
      - .offset:         0
        .size:           56
        .value_kind:     by_value
    .group_segment_fixed_size: 0
    .kernarg_segment_align: 8
    .kernarg_segment_size: 56
    .language:       OpenCL C
    .language_version:
      - 2
      - 0
    .max_flat_workgroup_size: 64
    .name:           _ZN7rocprim17ROCPRIM_400000_NS6detail17trampoline_kernelINS0_14default_configENS1_25transform_config_selectorIsLb0EEEZNS1_14transform_implILb0ES3_S5_NS0_18transform_iteratorINS0_17counting_iteratorImlEEZNS1_24adjacent_difference_implIS3_Lb1ELb0EPsSB_N6thrust23THRUST_200600_302600_NS5minusIsEEEE10hipError_tPvRmT2_T3_mT4_P12ihipStream_tbEUlmE_sEESB_NS0_8identityIvEEEESG_SJ_SK_mSL_SN_bEUlT_E_NS1_11comp_targetILNS1_3genE4ELNS1_11target_archE910ELNS1_3gpuE8ELNS1_3repE0EEENS1_30default_config_static_selectorELNS0_4arch9wavefront6targetE0EEEvT1_
    .private_segment_fixed_size: 0
    .sgpr_count:     0
    .sgpr_spill_count: 0
    .symbol:         _ZN7rocprim17ROCPRIM_400000_NS6detail17trampoline_kernelINS0_14default_configENS1_25transform_config_selectorIsLb0EEEZNS1_14transform_implILb0ES3_S5_NS0_18transform_iteratorINS0_17counting_iteratorImlEEZNS1_24adjacent_difference_implIS3_Lb1ELb0EPsSB_N6thrust23THRUST_200600_302600_NS5minusIsEEEE10hipError_tPvRmT2_T3_mT4_P12ihipStream_tbEUlmE_sEESB_NS0_8identityIvEEEESG_SJ_SK_mSL_SN_bEUlT_E_NS1_11comp_targetILNS1_3genE4ELNS1_11target_archE910ELNS1_3gpuE8ELNS1_3repE0EEENS1_30default_config_static_selectorELNS0_4arch9wavefront6targetE0EEEvT1_.kd
    .uniform_work_group_size: 1
    .uses_dynamic_stack: false
    .vgpr_count:     0
    .vgpr_spill_count: 0
    .wavefront_size: 32
    .workgroup_processor_mode: 1
  - .args:
      - .offset:         0
        .size:           56
        .value_kind:     by_value
    .group_segment_fixed_size: 0
    .kernarg_segment_align: 8
    .kernarg_segment_size: 56
    .language:       OpenCL C
    .language_version:
      - 2
      - 0
    .max_flat_workgroup_size: 128
    .name:           _ZN7rocprim17ROCPRIM_400000_NS6detail17trampoline_kernelINS0_14default_configENS1_25transform_config_selectorIsLb0EEEZNS1_14transform_implILb0ES3_S5_NS0_18transform_iteratorINS0_17counting_iteratorImlEEZNS1_24adjacent_difference_implIS3_Lb1ELb0EPsSB_N6thrust23THRUST_200600_302600_NS5minusIsEEEE10hipError_tPvRmT2_T3_mT4_P12ihipStream_tbEUlmE_sEESB_NS0_8identityIvEEEESG_SJ_SK_mSL_SN_bEUlT_E_NS1_11comp_targetILNS1_3genE3ELNS1_11target_archE908ELNS1_3gpuE7ELNS1_3repE0EEENS1_30default_config_static_selectorELNS0_4arch9wavefront6targetE0EEEvT1_
    .private_segment_fixed_size: 0
    .sgpr_count:     0
    .sgpr_spill_count: 0
    .symbol:         _ZN7rocprim17ROCPRIM_400000_NS6detail17trampoline_kernelINS0_14default_configENS1_25transform_config_selectorIsLb0EEEZNS1_14transform_implILb0ES3_S5_NS0_18transform_iteratorINS0_17counting_iteratorImlEEZNS1_24adjacent_difference_implIS3_Lb1ELb0EPsSB_N6thrust23THRUST_200600_302600_NS5minusIsEEEE10hipError_tPvRmT2_T3_mT4_P12ihipStream_tbEUlmE_sEESB_NS0_8identityIvEEEESG_SJ_SK_mSL_SN_bEUlT_E_NS1_11comp_targetILNS1_3genE3ELNS1_11target_archE908ELNS1_3gpuE7ELNS1_3repE0EEENS1_30default_config_static_selectorELNS0_4arch9wavefront6targetE0EEEvT1_.kd
    .uniform_work_group_size: 1
    .uses_dynamic_stack: false
    .vgpr_count:     0
    .vgpr_spill_count: 0
    .wavefront_size: 32
    .workgroup_processor_mode: 1
  - .args:
      - .offset:         0
        .size:           56
        .value_kind:     by_value
    .group_segment_fixed_size: 0
    .kernarg_segment_align: 8
    .kernarg_segment_size: 56
    .language:       OpenCL C
    .language_version:
      - 2
      - 0
    .max_flat_workgroup_size: 512
    .name:           _ZN7rocprim17ROCPRIM_400000_NS6detail17trampoline_kernelINS0_14default_configENS1_25transform_config_selectorIsLb0EEEZNS1_14transform_implILb0ES3_S5_NS0_18transform_iteratorINS0_17counting_iteratorImlEEZNS1_24adjacent_difference_implIS3_Lb1ELb0EPsSB_N6thrust23THRUST_200600_302600_NS5minusIsEEEE10hipError_tPvRmT2_T3_mT4_P12ihipStream_tbEUlmE_sEESB_NS0_8identityIvEEEESG_SJ_SK_mSL_SN_bEUlT_E_NS1_11comp_targetILNS1_3genE2ELNS1_11target_archE906ELNS1_3gpuE6ELNS1_3repE0EEENS1_30default_config_static_selectorELNS0_4arch9wavefront6targetE0EEEvT1_
    .private_segment_fixed_size: 0
    .sgpr_count:     0
    .sgpr_spill_count: 0
    .symbol:         _ZN7rocprim17ROCPRIM_400000_NS6detail17trampoline_kernelINS0_14default_configENS1_25transform_config_selectorIsLb0EEEZNS1_14transform_implILb0ES3_S5_NS0_18transform_iteratorINS0_17counting_iteratorImlEEZNS1_24adjacent_difference_implIS3_Lb1ELb0EPsSB_N6thrust23THRUST_200600_302600_NS5minusIsEEEE10hipError_tPvRmT2_T3_mT4_P12ihipStream_tbEUlmE_sEESB_NS0_8identityIvEEEESG_SJ_SK_mSL_SN_bEUlT_E_NS1_11comp_targetILNS1_3genE2ELNS1_11target_archE906ELNS1_3gpuE6ELNS1_3repE0EEENS1_30default_config_static_selectorELNS0_4arch9wavefront6targetE0EEEvT1_.kd
    .uniform_work_group_size: 1
    .uses_dynamic_stack: false
    .vgpr_count:     0
    .vgpr_spill_count: 0
    .wavefront_size: 32
    .workgroup_processor_mode: 1
  - .args:
      - .offset:         0
        .size:           56
        .value_kind:     by_value
    .group_segment_fixed_size: 0
    .kernarg_segment_align: 8
    .kernarg_segment_size: 56
    .language:       OpenCL C
    .language_version:
      - 2
      - 0
    .max_flat_workgroup_size: 1024
    .name:           _ZN7rocprim17ROCPRIM_400000_NS6detail17trampoline_kernelINS0_14default_configENS1_25transform_config_selectorIsLb0EEEZNS1_14transform_implILb0ES3_S5_NS0_18transform_iteratorINS0_17counting_iteratorImlEEZNS1_24adjacent_difference_implIS3_Lb1ELb0EPsSB_N6thrust23THRUST_200600_302600_NS5minusIsEEEE10hipError_tPvRmT2_T3_mT4_P12ihipStream_tbEUlmE_sEESB_NS0_8identityIvEEEESG_SJ_SK_mSL_SN_bEUlT_E_NS1_11comp_targetILNS1_3genE10ELNS1_11target_archE1201ELNS1_3gpuE5ELNS1_3repE0EEENS1_30default_config_static_selectorELNS0_4arch9wavefront6targetE0EEEvT1_
    .private_segment_fixed_size: 0
    .sgpr_count:     0
    .sgpr_spill_count: 0
    .symbol:         _ZN7rocprim17ROCPRIM_400000_NS6detail17trampoline_kernelINS0_14default_configENS1_25transform_config_selectorIsLb0EEEZNS1_14transform_implILb0ES3_S5_NS0_18transform_iteratorINS0_17counting_iteratorImlEEZNS1_24adjacent_difference_implIS3_Lb1ELb0EPsSB_N6thrust23THRUST_200600_302600_NS5minusIsEEEE10hipError_tPvRmT2_T3_mT4_P12ihipStream_tbEUlmE_sEESB_NS0_8identityIvEEEESG_SJ_SK_mSL_SN_bEUlT_E_NS1_11comp_targetILNS1_3genE10ELNS1_11target_archE1201ELNS1_3gpuE5ELNS1_3repE0EEENS1_30default_config_static_selectorELNS0_4arch9wavefront6targetE0EEEvT1_.kd
    .uniform_work_group_size: 1
    .uses_dynamic_stack: false
    .vgpr_count:     0
    .vgpr_spill_count: 0
    .wavefront_size: 32
    .workgroup_processor_mode: 1
  - .args:
      - .offset:         0
        .size:           56
        .value_kind:     by_value
    .group_segment_fixed_size: 0
    .kernarg_segment_align: 8
    .kernarg_segment_size: 56
    .language:       OpenCL C
    .language_version:
      - 2
      - 0
    .max_flat_workgroup_size: 512
    .name:           _ZN7rocprim17ROCPRIM_400000_NS6detail17trampoline_kernelINS0_14default_configENS1_25transform_config_selectorIsLb0EEEZNS1_14transform_implILb0ES3_S5_NS0_18transform_iteratorINS0_17counting_iteratorImlEEZNS1_24adjacent_difference_implIS3_Lb1ELb0EPsSB_N6thrust23THRUST_200600_302600_NS5minusIsEEEE10hipError_tPvRmT2_T3_mT4_P12ihipStream_tbEUlmE_sEESB_NS0_8identityIvEEEESG_SJ_SK_mSL_SN_bEUlT_E_NS1_11comp_targetILNS1_3genE10ELNS1_11target_archE1200ELNS1_3gpuE4ELNS1_3repE0EEENS1_30default_config_static_selectorELNS0_4arch9wavefront6targetE0EEEvT1_
    .private_segment_fixed_size: 0
    .sgpr_count:     0
    .sgpr_spill_count: 0
    .symbol:         _ZN7rocprim17ROCPRIM_400000_NS6detail17trampoline_kernelINS0_14default_configENS1_25transform_config_selectorIsLb0EEEZNS1_14transform_implILb0ES3_S5_NS0_18transform_iteratorINS0_17counting_iteratorImlEEZNS1_24adjacent_difference_implIS3_Lb1ELb0EPsSB_N6thrust23THRUST_200600_302600_NS5minusIsEEEE10hipError_tPvRmT2_T3_mT4_P12ihipStream_tbEUlmE_sEESB_NS0_8identityIvEEEESG_SJ_SK_mSL_SN_bEUlT_E_NS1_11comp_targetILNS1_3genE10ELNS1_11target_archE1200ELNS1_3gpuE4ELNS1_3repE0EEENS1_30default_config_static_selectorELNS0_4arch9wavefront6targetE0EEEvT1_.kd
    .uniform_work_group_size: 1
    .uses_dynamic_stack: false
    .vgpr_count:     0
    .vgpr_spill_count: 0
    .wavefront_size: 32
    .workgroup_processor_mode: 1
  - .args:
      - .offset:         0
        .size:           56
        .value_kind:     by_value
      - .offset:         56
        .size:           4
        .value_kind:     hidden_block_count_x
      - .offset:         60
        .size:           4
        .value_kind:     hidden_block_count_y
      - .offset:         64
        .size:           4
        .value_kind:     hidden_block_count_z
      - .offset:         68
        .size:           2
        .value_kind:     hidden_group_size_x
      - .offset:         70
        .size:           2
        .value_kind:     hidden_group_size_y
      - .offset:         72
        .size:           2
        .value_kind:     hidden_group_size_z
      - .offset:         74
        .size:           2
        .value_kind:     hidden_remainder_x
      - .offset:         76
        .size:           2
        .value_kind:     hidden_remainder_y
      - .offset:         78
        .size:           2
        .value_kind:     hidden_remainder_z
      - .offset:         96
        .size:           8
        .value_kind:     hidden_global_offset_x
      - .offset:         104
        .size:           8
        .value_kind:     hidden_global_offset_y
      - .offset:         112
        .size:           8
        .value_kind:     hidden_global_offset_z
      - .offset:         120
        .size:           2
        .value_kind:     hidden_grid_dims
    .group_segment_fixed_size: 0
    .kernarg_segment_align: 8
    .kernarg_segment_size: 312
    .language:       OpenCL C
    .language_version:
      - 2
      - 0
    .max_flat_workgroup_size: 1024
    .name:           _ZN7rocprim17ROCPRIM_400000_NS6detail17trampoline_kernelINS0_14default_configENS1_25transform_config_selectorIsLb0EEEZNS1_14transform_implILb0ES3_S5_NS0_18transform_iteratorINS0_17counting_iteratorImlEEZNS1_24adjacent_difference_implIS3_Lb1ELb0EPsSB_N6thrust23THRUST_200600_302600_NS5minusIsEEEE10hipError_tPvRmT2_T3_mT4_P12ihipStream_tbEUlmE_sEESB_NS0_8identityIvEEEESG_SJ_SK_mSL_SN_bEUlT_E_NS1_11comp_targetILNS1_3genE9ELNS1_11target_archE1100ELNS1_3gpuE3ELNS1_3repE0EEENS1_30default_config_static_selectorELNS0_4arch9wavefront6targetE0EEEvT1_
    .private_segment_fixed_size: 0
    .sgpr_count:     20
    .sgpr_spill_count: 0
    .symbol:         _ZN7rocprim17ROCPRIM_400000_NS6detail17trampoline_kernelINS0_14default_configENS1_25transform_config_selectorIsLb0EEEZNS1_14transform_implILb0ES3_S5_NS0_18transform_iteratorINS0_17counting_iteratorImlEEZNS1_24adjacent_difference_implIS3_Lb1ELb0EPsSB_N6thrust23THRUST_200600_302600_NS5minusIsEEEE10hipError_tPvRmT2_T3_mT4_P12ihipStream_tbEUlmE_sEESB_NS0_8identityIvEEEESG_SJ_SK_mSL_SN_bEUlT_E_NS1_11comp_targetILNS1_3genE9ELNS1_11target_archE1100ELNS1_3gpuE3ELNS1_3repE0EEENS1_30default_config_static_selectorELNS0_4arch9wavefront6targetE0EEEvT1_.kd
    .uniform_work_group_size: 1
    .uses_dynamic_stack: false
    .vgpr_count:     8
    .vgpr_spill_count: 0
    .wavefront_size: 32
    .workgroup_processor_mode: 1
  - .args:
      - .offset:         0
        .size:           56
        .value_kind:     by_value
    .group_segment_fixed_size: 0
    .kernarg_segment_align: 8
    .kernarg_segment_size: 56
    .language:       OpenCL C
    .language_version:
      - 2
      - 0
    .max_flat_workgroup_size: 1024
    .name:           _ZN7rocprim17ROCPRIM_400000_NS6detail17trampoline_kernelINS0_14default_configENS1_25transform_config_selectorIsLb0EEEZNS1_14transform_implILb0ES3_S5_NS0_18transform_iteratorINS0_17counting_iteratorImlEEZNS1_24adjacent_difference_implIS3_Lb1ELb0EPsSB_N6thrust23THRUST_200600_302600_NS5minusIsEEEE10hipError_tPvRmT2_T3_mT4_P12ihipStream_tbEUlmE_sEESB_NS0_8identityIvEEEESG_SJ_SK_mSL_SN_bEUlT_E_NS1_11comp_targetILNS1_3genE8ELNS1_11target_archE1030ELNS1_3gpuE2ELNS1_3repE0EEENS1_30default_config_static_selectorELNS0_4arch9wavefront6targetE0EEEvT1_
    .private_segment_fixed_size: 0
    .sgpr_count:     0
    .sgpr_spill_count: 0
    .symbol:         _ZN7rocprim17ROCPRIM_400000_NS6detail17trampoline_kernelINS0_14default_configENS1_25transform_config_selectorIsLb0EEEZNS1_14transform_implILb0ES3_S5_NS0_18transform_iteratorINS0_17counting_iteratorImlEEZNS1_24adjacent_difference_implIS3_Lb1ELb0EPsSB_N6thrust23THRUST_200600_302600_NS5minusIsEEEE10hipError_tPvRmT2_T3_mT4_P12ihipStream_tbEUlmE_sEESB_NS0_8identityIvEEEESG_SJ_SK_mSL_SN_bEUlT_E_NS1_11comp_targetILNS1_3genE8ELNS1_11target_archE1030ELNS1_3gpuE2ELNS1_3repE0EEENS1_30default_config_static_selectorELNS0_4arch9wavefront6targetE0EEEvT1_.kd
    .uniform_work_group_size: 1
    .uses_dynamic_stack: false
    .vgpr_count:     0
    .vgpr_spill_count: 0
    .wavefront_size: 32
    .workgroup_processor_mode: 1
  - .args:
      - .offset:         0
        .size:           56
        .value_kind:     by_value
    .group_segment_fixed_size: 0
    .kernarg_segment_align: 8
    .kernarg_segment_size: 56
    .language:       OpenCL C
    .language_version:
      - 2
      - 0
    .max_flat_workgroup_size: 32
    .name:           _ZN7rocprim17ROCPRIM_400000_NS6detail17trampoline_kernelINS0_14default_configENS1_35adjacent_difference_config_selectorILb1EsEEZNS1_24adjacent_difference_implIS3_Lb1ELb0EPsS7_N6thrust23THRUST_200600_302600_NS5minusIsEEEE10hipError_tPvRmT2_T3_mT4_P12ihipStream_tbEUlT_E_NS1_11comp_targetILNS1_3genE0ELNS1_11target_archE4294967295ELNS1_3gpuE0ELNS1_3repE0EEENS1_30default_config_static_selectorELNS0_4arch9wavefront6targetE0EEEvT1_
    .private_segment_fixed_size: 0
    .sgpr_count:     0
    .sgpr_spill_count: 0
    .symbol:         _ZN7rocprim17ROCPRIM_400000_NS6detail17trampoline_kernelINS0_14default_configENS1_35adjacent_difference_config_selectorILb1EsEEZNS1_24adjacent_difference_implIS3_Lb1ELb0EPsS7_N6thrust23THRUST_200600_302600_NS5minusIsEEEE10hipError_tPvRmT2_T3_mT4_P12ihipStream_tbEUlT_E_NS1_11comp_targetILNS1_3genE0ELNS1_11target_archE4294967295ELNS1_3gpuE0ELNS1_3repE0EEENS1_30default_config_static_selectorELNS0_4arch9wavefront6targetE0EEEvT1_.kd
    .uniform_work_group_size: 1
    .uses_dynamic_stack: false
    .vgpr_count:     0
    .vgpr_spill_count: 0
    .wavefront_size: 32
    .workgroup_processor_mode: 1
  - .args:
      - .offset:         0
        .size:           56
        .value_kind:     by_value
    .group_segment_fixed_size: 0
    .kernarg_segment_align: 8
    .kernarg_segment_size: 56
    .language:       OpenCL C
    .language_version:
      - 2
      - 0
    .max_flat_workgroup_size: 512
    .name:           _ZN7rocprim17ROCPRIM_400000_NS6detail17trampoline_kernelINS0_14default_configENS1_35adjacent_difference_config_selectorILb1EsEEZNS1_24adjacent_difference_implIS3_Lb1ELb0EPsS7_N6thrust23THRUST_200600_302600_NS5minusIsEEEE10hipError_tPvRmT2_T3_mT4_P12ihipStream_tbEUlT_E_NS1_11comp_targetILNS1_3genE10ELNS1_11target_archE1201ELNS1_3gpuE5ELNS1_3repE0EEENS1_30default_config_static_selectorELNS0_4arch9wavefront6targetE0EEEvT1_
    .private_segment_fixed_size: 0
    .sgpr_count:     0
    .sgpr_spill_count: 0
    .symbol:         _ZN7rocprim17ROCPRIM_400000_NS6detail17trampoline_kernelINS0_14default_configENS1_35adjacent_difference_config_selectorILb1EsEEZNS1_24adjacent_difference_implIS3_Lb1ELb0EPsS7_N6thrust23THRUST_200600_302600_NS5minusIsEEEE10hipError_tPvRmT2_T3_mT4_P12ihipStream_tbEUlT_E_NS1_11comp_targetILNS1_3genE10ELNS1_11target_archE1201ELNS1_3gpuE5ELNS1_3repE0EEENS1_30default_config_static_selectorELNS0_4arch9wavefront6targetE0EEEvT1_.kd
    .uniform_work_group_size: 1
    .uses_dynamic_stack: false
    .vgpr_count:     0
    .vgpr_spill_count: 0
    .wavefront_size: 32
    .workgroup_processor_mode: 1
  - .args:
      - .offset:         0
        .size:           56
        .value_kind:     by_value
    .group_segment_fixed_size: 0
    .kernarg_segment_align: 8
    .kernarg_segment_size: 56
    .language:       OpenCL C
    .language_version:
      - 2
      - 0
    .max_flat_workgroup_size: 64
    .name:           _ZN7rocprim17ROCPRIM_400000_NS6detail17trampoline_kernelINS0_14default_configENS1_35adjacent_difference_config_selectorILb1EsEEZNS1_24adjacent_difference_implIS3_Lb1ELb0EPsS7_N6thrust23THRUST_200600_302600_NS5minusIsEEEE10hipError_tPvRmT2_T3_mT4_P12ihipStream_tbEUlT_E_NS1_11comp_targetILNS1_3genE5ELNS1_11target_archE942ELNS1_3gpuE9ELNS1_3repE0EEENS1_30default_config_static_selectorELNS0_4arch9wavefront6targetE0EEEvT1_
    .private_segment_fixed_size: 0
    .sgpr_count:     0
    .sgpr_spill_count: 0
    .symbol:         _ZN7rocprim17ROCPRIM_400000_NS6detail17trampoline_kernelINS0_14default_configENS1_35adjacent_difference_config_selectorILb1EsEEZNS1_24adjacent_difference_implIS3_Lb1ELb0EPsS7_N6thrust23THRUST_200600_302600_NS5minusIsEEEE10hipError_tPvRmT2_T3_mT4_P12ihipStream_tbEUlT_E_NS1_11comp_targetILNS1_3genE5ELNS1_11target_archE942ELNS1_3gpuE9ELNS1_3repE0EEENS1_30default_config_static_selectorELNS0_4arch9wavefront6targetE0EEEvT1_.kd
    .uniform_work_group_size: 1
    .uses_dynamic_stack: false
    .vgpr_count:     0
    .vgpr_spill_count: 0
    .wavefront_size: 32
    .workgroup_processor_mode: 1
  - .args:
      - .offset:         0
        .size:           56
        .value_kind:     by_value
    .group_segment_fixed_size: 0
    .kernarg_segment_align: 8
    .kernarg_segment_size: 56
    .language:       OpenCL C
    .language_version:
      - 2
      - 0
    .max_flat_workgroup_size: 64
    .name:           _ZN7rocprim17ROCPRIM_400000_NS6detail17trampoline_kernelINS0_14default_configENS1_35adjacent_difference_config_selectorILb1EsEEZNS1_24adjacent_difference_implIS3_Lb1ELb0EPsS7_N6thrust23THRUST_200600_302600_NS5minusIsEEEE10hipError_tPvRmT2_T3_mT4_P12ihipStream_tbEUlT_E_NS1_11comp_targetILNS1_3genE4ELNS1_11target_archE910ELNS1_3gpuE8ELNS1_3repE0EEENS1_30default_config_static_selectorELNS0_4arch9wavefront6targetE0EEEvT1_
    .private_segment_fixed_size: 0
    .sgpr_count:     0
    .sgpr_spill_count: 0
    .symbol:         _ZN7rocprim17ROCPRIM_400000_NS6detail17trampoline_kernelINS0_14default_configENS1_35adjacent_difference_config_selectorILb1EsEEZNS1_24adjacent_difference_implIS3_Lb1ELb0EPsS7_N6thrust23THRUST_200600_302600_NS5minusIsEEEE10hipError_tPvRmT2_T3_mT4_P12ihipStream_tbEUlT_E_NS1_11comp_targetILNS1_3genE4ELNS1_11target_archE910ELNS1_3gpuE8ELNS1_3repE0EEENS1_30default_config_static_selectorELNS0_4arch9wavefront6targetE0EEEvT1_.kd
    .uniform_work_group_size: 1
    .uses_dynamic_stack: false
    .vgpr_count:     0
    .vgpr_spill_count: 0
    .wavefront_size: 32
    .workgroup_processor_mode: 1
  - .args:
      - .offset:         0
        .size:           56
        .value_kind:     by_value
    .group_segment_fixed_size: 0
    .kernarg_segment_align: 8
    .kernarg_segment_size: 56
    .language:       OpenCL C
    .language_version:
      - 2
      - 0
    .max_flat_workgroup_size: 32
    .name:           _ZN7rocprim17ROCPRIM_400000_NS6detail17trampoline_kernelINS0_14default_configENS1_35adjacent_difference_config_selectorILb1EsEEZNS1_24adjacent_difference_implIS3_Lb1ELb0EPsS7_N6thrust23THRUST_200600_302600_NS5minusIsEEEE10hipError_tPvRmT2_T3_mT4_P12ihipStream_tbEUlT_E_NS1_11comp_targetILNS1_3genE3ELNS1_11target_archE908ELNS1_3gpuE7ELNS1_3repE0EEENS1_30default_config_static_selectorELNS0_4arch9wavefront6targetE0EEEvT1_
    .private_segment_fixed_size: 0
    .sgpr_count:     0
    .sgpr_spill_count: 0
    .symbol:         _ZN7rocprim17ROCPRIM_400000_NS6detail17trampoline_kernelINS0_14default_configENS1_35adjacent_difference_config_selectorILb1EsEEZNS1_24adjacent_difference_implIS3_Lb1ELb0EPsS7_N6thrust23THRUST_200600_302600_NS5minusIsEEEE10hipError_tPvRmT2_T3_mT4_P12ihipStream_tbEUlT_E_NS1_11comp_targetILNS1_3genE3ELNS1_11target_archE908ELNS1_3gpuE7ELNS1_3repE0EEENS1_30default_config_static_selectorELNS0_4arch9wavefront6targetE0EEEvT1_.kd
    .uniform_work_group_size: 1
    .uses_dynamic_stack: false
    .vgpr_count:     0
    .vgpr_spill_count: 0
    .wavefront_size: 32
    .workgroup_processor_mode: 1
  - .args:
      - .offset:         0
        .size:           56
        .value_kind:     by_value
    .group_segment_fixed_size: 0
    .kernarg_segment_align: 8
    .kernarg_segment_size: 56
    .language:       OpenCL C
    .language_version:
      - 2
      - 0
    .max_flat_workgroup_size: 64
    .name:           _ZN7rocprim17ROCPRIM_400000_NS6detail17trampoline_kernelINS0_14default_configENS1_35adjacent_difference_config_selectorILb1EsEEZNS1_24adjacent_difference_implIS3_Lb1ELb0EPsS7_N6thrust23THRUST_200600_302600_NS5minusIsEEEE10hipError_tPvRmT2_T3_mT4_P12ihipStream_tbEUlT_E_NS1_11comp_targetILNS1_3genE2ELNS1_11target_archE906ELNS1_3gpuE6ELNS1_3repE0EEENS1_30default_config_static_selectorELNS0_4arch9wavefront6targetE0EEEvT1_
    .private_segment_fixed_size: 0
    .sgpr_count:     0
    .sgpr_spill_count: 0
    .symbol:         _ZN7rocprim17ROCPRIM_400000_NS6detail17trampoline_kernelINS0_14default_configENS1_35adjacent_difference_config_selectorILb1EsEEZNS1_24adjacent_difference_implIS3_Lb1ELb0EPsS7_N6thrust23THRUST_200600_302600_NS5minusIsEEEE10hipError_tPvRmT2_T3_mT4_P12ihipStream_tbEUlT_E_NS1_11comp_targetILNS1_3genE2ELNS1_11target_archE906ELNS1_3gpuE6ELNS1_3repE0EEENS1_30default_config_static_selectorELNS0_4arch9wavefront6targetE0EEEvT1_.kd
    .uniform_work_group_size: 1
    .uses_dynamic_stack: false
    .vgpr_count:     0
    .vgpr_spill_count: 0
    .wavefront_size: 32
    .workgroup_processor_mode: 1
  - .args:
      - .offset:         0
        .size:           56
        .value_kind:     by_value
    .group_segment_fixed_size: 5888
    .kernarg_segment_align: 8
    .kernarg_segment_size: 56
    .language:       OpenCL C
    .language_version:
      - 2
      - 0
    .max_flat_workgroup_size: 128
    .name:           _ZN7rocprim17ROCPRIM_400000_NS6detail17trampoline_kernelINS0_14default_configENS1_35adjacent_difference_config_selectorILb1EsEEZNS1_24adjacent_difference_implIS3_Lb1ELb0EPsS7_N6thrust23THRUST_200600_302600_NS5minusIsEEEE10hipError_tPvRmT2_T3_mT4_P12ihipStream_tbEUlT_E_NS1_11comp_targetILNS1_3genE9ELNS1_11target_archE1100ELNS1_3gpuE3ELNS1_3repE0EEENS1_30default_config_static_selectorELNS0_4arch9wavefront6targetE0EEEvT1_
    .private_segment_fixed_size: 0
    .sgpr_count:     31
    .sgpr_spill_count: 0
    .symbol:         _ZN7rocprim17ROCPRIM_400000_NS6detail17trampoline_kernelINS0_14default_configENS1_35adjacent_difference_config_selectorILb1EsEEZNS1_24adjacent_difference_implIS3_Lb1ELb0EPsS7_N6thrust23THRUST_200600_302600_NS5minusIsEEEE10hipError_tPvRmT2_T3_mT4_P12ihipStream_tbEUlT_E_NS1_11comp_targetILNS1_3genE9ELNS1_11target_archE1100ELNS1_3gpuE3ELNS1_3repE0EEENS1_30default_config_static_selectorELNS0_4arch9wavefront6targetE0EEEvT1_.kd
    .uniform_work_group_size: 1
    .uses_dynamic_stack: false
    .vgpr_count:     49
    .vgpr_spill_count: 0
    .wavefront_size: 32
    .workgroup_processor_mode: 1
  - .args:
      - .offset:         0
        .size:           56
        .value_kind:     by_value
    .group_segment_fixed_size: 0
    .kernarg_segment_align: 8
    .kernarg_segment_size: 56
    .language:       OpenCL C
    .language_version:
      - 2
      - 0
    .max_flat_workgroup_size: 512
    .name:           _ZN7rocprim17ROCPRIM_400000_NS6detail17trampoline_kernelINS0_14default_configENS1_35adjacent_difference_config_selectorILb1EsEEZNS1_24adjacent_difference_implIS3_Lb1ELb0EPsS7_N6thrust23THRUST_200600_302600_NS5minusIsEEEE10hipError_tPvRmT2_T3_mT4_P12ihipStream_tbEUlT_E_NS1_11comp_targetILNS1_3genE8ELNS1_11target_archE1030ELNS1_3gpuE2ELNS1_3repE0EEENS1_30default_config_static_selectorELNS0_4arch9wavefront6targetE0EEEvT1_
    .private_segment_fixed_size: 0
    .sgpr_count:     0
    .sgpr_spill_count: 0
    .symbol:         _ZN7rocprim17ROCPRIM_400000_NS6detail17trampoline_kernelINS0_14default_configENS1_35adjacent_difference_config_selectorILb1EsEEZNS1_24adjacent_difference_implIS3_Lb1ELb0EPsS7_N6thrust23THRUST_200600_302600_NS5minusIsEEEE10hipError_tPvRmT2_T3_mT4_P12ihipStream_tbEUlT_E_NS1_11comp_targetILNS1_3genE8ELNS1_11target_archE1030ELNS1_3gpuE2ELNS1_3repE0EEENS1_30default_config_static_selectorELNS0_4arch9wavefront6targetE0EEEvT1_.kd
    .uniform_work_group_size: 1
    .uses_dynamic_stack: false
    .vgpr_count:     0
    .vgpr_spill_count: 0
    .wavefront_size: 32
    .workgroup_processor_mode: 1
  - .args:
      - .offset:         0
        .size:           56
        .value_kind:     by_value
    .group_segment_fixed_size: 0
    .kernarg_segment_align: 8
    .kernarg_segment_size: 56
    .language:       OpenCL C
    .language_version:
      - 2
      - 0
    .max_flat_workgroup_size: 64
    .name:           _ZN7rocprim17ROCPRIM_400000_NS6detail17trampoline_kernelINS0_14default_configENS1_35adjacent_difference_config_selectorILb0EsEEZNS1_24adjacent_difference_implIS3_Lb0ELb0EPsS7_N6thrust23THRUST_200600_302600_NS4plusIsEEEE10hipError_tPvRmT2_T3_mT4_P12ihipStream_tbEUlT_E_NS1_11comp_targetILNS1_3genE0ELNS1_11target_archE4294967295ELNS1_3gpuE0ELNS1_3repE0EEENS1_30default_config_static_selectorELNS0_4arch9wavefront6targetE0EEEvT1_
    .private_segment_fixed_size: 0
    .sgpr_count:     0
    .sgpr_spill_count: 0
    .symbol:         _ZN7rocprim17ROCPRIM_400000_NS6detail17trampoline_kernelINS0_14default_configENS1_35adjacent_difference_config_selectorILb0EsEEZNS1_24adjacent_difference_implIS3_Lb0ELb0EPsS7_N6thrust23THRUST_200600_302600_NS4plusIsEEEE10hipError_tPvRmT2_T3_mT4_P12ihipStream_tbEUlT_E_NS1_11comp_targetILNS1_3genE0ELNS1_11target_archE4294967295ELNS1_3gpuE0ELNS1_3repE0EEENS1_30default_config_static_selectorELNS0_4arch9wavefront6targetE0EEEvT1_.kd
    .uniform_work_group_size: 1
    .uses_dynamic_stack: false
    .vgpr_count:     0
    .vgpr_spill_count: 0
    .wavefront_size: 32
    .workgroup_processor_mode: 1
  - .args:
      - .offset:         0
        .size:           56
        .value_kind:     by_value
    .group_segment_fixed_size: 0
    .kernarg_segment_align: 8
    .kernarg_segment_size: 56
    .language:       OpenCL C
    .language_version:
      - 2
      - 0
    .max_flat_workgroup_size: 128
    .name:           _ZN7rocprim17ROCPRIM_400000_NS6detail17trampoline_kernelINS0_14default_configENS1_35adjacent_difference_config_selectorILb0EsEEZNS1_24adjacent_difference_implIS3_Lb0ELb0EPsS7_N6thrust23THRUST_200600_302600_NS4plusIsEEEE10hipError_tPvRmT2_T3_mT4_P12ihipStream_tbEUlT_E_NS1_11comp_targetILNS1_3genE10ELNS1_11target_archE1201ELNS1_3gpuE5ELNS1_3repE0EEENS1_30default_config_static_selectorELNS0_4arch9wavefront6targetE0EEEvT1_
    .private_segment_fixed_size: 0
    .sgpr_count:     0
    .sgpr_spill_count: 0
    .symbol:         _ZN7rocprim17ROCPRIM_400000_NS6detail17trampoline_kernelINS0_14default_configENS1_35adjacent_difference_config_selectorILb0EsEEZNS1_24adjacent_difference_implIS3_Lb0ELb0EPsS7_N6thrust23THRUST_200600_302600_NS4plusIsEEEE10hipError_tPvRmT2_T3_mT4_P12ihipStream_tbEUlT_E_NS1_11comp_targetILNS1_3genE10ELNS1_11target_archE1201ELNS1_3gpuE5ELNS1_3repE0EEENS1_30default_config_static_selectorELNS0_4arch9wavefront6targetE0EEEvT1_.kd
    .uniform_work_group_size: 1
    .uses_dynamic_stack: false
    .vgpr_count:     0
    .vgpr_spill_count: 0
    .wavefront_size: 32
    .workgroup_processor_mode: 1
  - .args:
      - .offset:         0
        .size:           56
        .value_kind:     by_value
    .group_segment_fixed_size: 0
    .kernarg_segment_align: 8
    .kernarg_segment_size: 56
    .language:       OpenCL C
    .language_version:
      - 2
      - 0
    .max_flat_workgroup_size: 256
    .name:           _ZN7rocprim17ROCPRIM_400000_NS6detail17trampoline_kernelINS0_14default_configENS1_35adjacent_difference_config_selectorILb0EsEEZNS1_24adjacent_difference_implIS3_Lb0ELb0EPsS7_N6thrust23THRUST_200600_302600_NS4plusIsEEEE10hipError_tPvRmT2_T3_mT4_P12ihipStream_tbEUlT_E_NS1_11comp_targetILNS1_3genE5ELNS1_11target_archE942ELNS1_3gpuE9ELNS1_3repE0EEENS1_30default_config_static_selectorELNS0_4arch9wavefront6targetE0EEEvT1_
    .private_segment_fixed_size: 0
    .sgpr_count:     0
    .sgpr_spill_count: 0
    .symbol:         _ZN7rocprim17ROCPRIM_400000_NS6detail17trampoline_kernelINS0_14default_configENS1_35adjacent_difference_config_selectorILb0EsEEZNS1_24adjacent_difference_implIS3_Lb0ELb0EPsS7_N6thrust23THRUST_200600_302600_NS4plusIsEEEE10hipError_tPvRmT2_T3_mT4_P12ihipStream_tbEUlT_E_NS1_11comp_targetILNS1_3genE5ELNS1_11target_archE942ELNS1_3gpuE9ELNS1_3repE0EEENS1_30default_config_static_selectorELNS0_4arch9wavefront6targetE0EEEvT1_.kd
    .uniform_work_group_size: 1
    .uses_dynamic_stack: false
    .vgpr_count:     0
    .vgpr_spill_count: 0
    .wavefront_size: 32
    .workgroup_processor_mode: 1
  - .args:
      - .offset:         0
        .size:           56
        .value_kind:     by_value
    .group_segment_fixed_size: 0
    .kernarg_segment_align: 8
    .kernarg_segment_size: 56
    .language:       OpenCL C
    .language_version:
      - 2
      - 0
    .max_flat_workgroup_size: 64
    .name:           _ZN7rocprim17ROCPRIM_400000_NS6detail17trampoline_kernelINS0_14default_configENS1_35adjacent_difference_config_selectorILb0EsEEZNS1_24adjacent_difference_implIS3_Lb0ELb0EPsS7_N6thrust23THRUST_200600_302600_NS4plusIsEEEE10hipError_tPvRmT2_T3_mT4_P12ihipStream_tbEUlT_E_NS1_11comp_targetILNS1_3genE4ELNS1_11target_archE910ELNS1_3gpuE8ELNS1_3repE0EEENS1_30default_config_static_selectorELNS0_4arch9wavefront6targetE0EEEvT1_
    .private_segment_fixed_size: 0
    .sgpr_count:     0
    .sgpr_spill_count: 0
    .symbol:         _ZN7rocprim17ROCPRIM_400000_NS6detail17trampoline_kernelINS0_14default_configENS1_35adjacent_difference_config_selectorILb0EsEEZNS1_24adjacent_difference_implIS3_Lb0ELb0EPsS7_N6thrust23THRUST_200600_302600_NS4plusIsEEEE10hipError_tPvRmT2_T3_mT4_P12ihipStream_tbEUlT_E_NS1_11comp_targetILNS1_3genE4ELNS1_11target_archE910ELNS1_3gpuE8ELNS1_3repE0EEENS1_30default_config_static_selectorELNS0_4arch9wavefront6targetE0EEEvT1_.kd
    .uniform_work_group_size: 1
    .uses_dynamic_stack: false
    .vgpr_count:     0
    .vgpr_spill_count: 0
    .wavefront_size: 32
    .workgroup_processor_mode: 1
  - .args:
      - .offset:         0
        .size:           56
        .value_kind:     by_value
    .group_segment_fixed_size: 0
    .kernarg_segment_align: 8
    .kernarg_segment_size: 56
    .language:       OpenCL C
    .language_version:
      - 2
      - 0
    .max_flat_workgroup_size: 64
    .name:           _ZN7rocprim17ROCPRIM_400000_NS6detail17trampoline_kernelINS0_14default_configENS1_35adjacent_difference_config_selectorILb0EsEEZNS1_24adjacent_difference_implIS3_Lb0ELb0EPsS7_N6thrust23THRUST_200600_302600_NS4plusIsEEEE10hipError_tPvRmT2_T3_mT4_P12ihipStream_tbEUlT_E_NS1_11comp_targetILNS1_3genE3ELNS1_11target_archE908ELNS1_3gpuE7ELNS1_3repE0EEENS1_30default_config_static_selectorELNS0_4arch9wavefront6targetE0EEEvT1_
    .private_segment_fixed_size: 0
    .sgpr_count:     0
    .sgpr_spill_count: 0
    .symbol:         _ZN7rocprim17ROCPRIM_400000_NS6detail17trampoline_kernelINS0_14default_configENS1_35adjacent_difference_config_selectorILb0EsEEZNS1_24adjacent_difference_implIS3_Lb0ELb0EPsS7_N6thrust23THRUST_200600_302600_NS4plusIsEEEE10hipError_tPvRmT2_T3_mT4_P12ihipStream_tbEUlT_E_NS1_11comp_targetILNS1_3genE3ELNS1_11target_archE908ELNS1_3gpuE7ELNS1_3repE0EEENS1_30default_config_static_selectorELNS0_4arch9wavefront6targetE0EEEvT1_.kd
    .uniform_work_group_size: 1
    .uses_dynamic_stack: false
    .vgpr_count:     0
    .vgpr_spill_count: 0
    .wavefront_size: 32
    .workgroup_processor_mode: 1
  - .args:
      - .offset:         0
        .size:           56
        .value_kind:     by_value
    .group_segment_fixed_size: 0
    .kernarg_segment_align: 8
    .kernarg_segment_size: 56
    .language:       OpenCL C
    .language_version:
      - 2
      - 0
    .max_flat_workgroup_size: 64
    .name:           _ZN7rocprim17ROCPRIM_400000_NS6detail17trampoline_kernelINS0_14default_configENS1_35adjacent_difference_config_selectorILb0EsEEZNS1_24adjacent_difference_implIS3_Lb0ELb0EPsS7_N6thrust23THRUST_200600_302600_NS4plusIsEEEE10hipError_tPvRmT2_T3_mT4_P12ihipStream_tbEUlT_E_NS1_11comp_targetILNS1_3genE2ELNS1_11target_archE906ELNS1_3gpuE6ELNS1_3repE0EEENS1_30default_config_static_selectorELNS0_4arch9wavefront6targetE0EEEvT1_
    .private_segment_fixed_size: 0
    .sgpr_count:     0
    .sgpr_spill_count: 0
    .symbol:         _ZN7rocprim17ROCPRIM_400000_NS6detail17trampoline_kernelINS0_14default_configENS1_35adjacent_difference_config_selectorILb0EsEEZNS1_24adjacent_difference_implIS3_Lb0ELb0EPsS7_N6thrust23THRUST_200600_302600_NS4plusIsEEEE10hipError_tPvRmT2_T3_mT4_P12ihipStream_tbEUlT_E_NS1_11comp_targetILNS1_3genE2ELNS1_11target_archE906ELNS1_3gpuE6ELNS1_3repE0EEENS1_30default_config_static_selectorELNS0_4arch9wavefront6targetE0EEEvT1_.kd
    .uniform_work_group_size: 1
    .uses_dynamic_stack: false
    .vgpr_count:     0
    .vgpr_spill_count: 0
    .wavefront_size: 32
    .workgroup_processor_mode: 1
  - .args:
      - .offset:         0
        .size:           56
        .value_kind:     by_value
    .group_segment_fixed_size: 896
    .kernarg_segment_align: 8
    .kernarg_segment_size: 56
    .language:       OpenCL C
    .language_version:
      - 2
      - 0
    .max_flat_workgroup_size: 64
    .name:           _ZN7rocprim17ROCPRIM_400000_NS6detail17trampoline_kernelINS0_14default_configENS1_35adjacent_difference_config_selectorILb0EsEEZNS1_24adjacent_difference_implIS3_Lb0ELb0EPsS7_N6thrust23THRUST_200600_302600_NS4plusIsEEEE10hipError_tPvRmT2_T3_mT4_P12ihipStream_tbEUlT_E_NS1_11comp_targetILNS1_3genE9ELNS1_11target_archE1100ELNS1_3gpuE3ELNS1_3repE0EEENS1_30default_config_static_selectorELNS0_4arch9wavefront6targetE0EEEvT1_
    .private_segment_fixed_size: 0
    .sgpr_count:     23
    .sgpr_spill_count: 0
    .symbol:         _ZN7rocprim17ROCPRIM_400000_NS6detail17trampoline_kernelINS0_14default_configENS1_35adjacent_difference_config_selectorILb0EsEEZNS1_24adjacent_difference_implIS3_Lb0ELb0EPsS7_N6thrust23THRUST_200600_302600_NS4plusIsEEEE10hipError_tPvRmT2_T3_mT4_P12ihipStream_tbEUlT_E_NS1_11comp_targetILNS1_3genE9ELNS1_11target_archE1100ELNS1_3gpuE3ELNS1_3repE0EEENS1_30default_config_static_selectorELNS0_4arch9wavefront6targetE0EEEvT1_.kd
    .uniform_work_group_size: 1
    .uses_dynamic_stack: false
    .vgpr_count:     22
    .vgpr_spill_count: 0
    .wavefront_size: 32
    .workgroup_processor_mode: 1
  - .args:
      - .offset:         0
        .size:           56
        .value_kind:     by_value
    .group_segment_fixed_size: 0
    .kernarg_segment_align: 8
    .kernarg_segment_size: 56
    .language:       OpenCL C
    .language_version:
      - 2
      - 0
    .max_flat_workgroup_size: 1024
    .name:           _ZN7rocprim17ROCPRIM_400000_NS6detail17trampoline_kernelINS0_14default_configENS1_35adjacent_difference_config_selectorILb0EsEEZNS1_24adjacent_difference_implIS3_Lb0ELb0EPsS7_N6thrust23THRUST_200600_302600_NS4plusIsEEEE10hipError_tPvRmT2_T3_mT4_P12ihipStream_tbEUlT_E_NS1_11comp_targetILNS1_3genE8ELNS1_11target_archE1030ELNS1_3gpuE2ELNS1_3repE0EEENS1_30default_config_static_selectorELNS0_4arch9wavefront6targetE0EEEvT1_
    .private_segment_fixed_size: 0
    .sgpr_count:     0
    .sgpr_spill_count: 0
    .symbol:         _ZN7rocprim17ROCPRIM_400000_NS6detail17trampoline_kernelINS0_14default_configENS1_35adjacent_difference_config_selectorILb0EsEEZNS1_24adjacent_difference_implIS3_Lb0ELb0EPsS7_N6thrust23THRUST_200600_302600_NS4plusIsEEEE10hipError_tPvRmT2_T3_mT4_P12ihipStream_tbEUlT_E_NS1_11comp_targetILNS1_3genE8ELNS1_11target_archE1030ELNS1_3gpuE2ELNS1_3repE0EEENS1_30default_config_static_selectorELNS0_4arch9wavefront6targetE0EEEvT1_.kd
    .uniform_work_group_size: 1
    .uses_dynamic_stack: false
    .vgpr_count:     0
    .vgpr_spill_count: 0
    .wavefront_size: 32
    .workgroup_processor_mode: 1
  - .args:
      - .offset:         0
        .size:           56
        .value_kind:     by_value
    .group_segment_fixed_size: 0
    .kernarg_segment_align: 8
    .kernarg_segment_size: 56
    .language:       OpenCL C
    .language_version:
      - 2
      - 0
    .max_flat_workgroup_size: 128
    .name:           _ZN7rocprim17ROCPRIM_400000_NS6detail17trampoline_kernelINS0_14default_configENS1_25transform_config_selectorIsLb0EEEZNS1_14transform_implILb0ES3_S5_NS0_18transform_iteratorINS0_17counting_iteratorImlEEZNS1_24adjacent_difference_implIS3_Lb1ELb0EPsSB_N6thrust23THRUST_200600_302600_NS4plusIsEEEE10hipError_tPvRmT2_T3_mT4_P12ihipStream_tbEUlmE_sEESB_NS0_8identityIvEEEESG_SJ_SK_mSL_SN_bEUlT_E_NS1_11comp_targetILNS1_3genE0ELNS1_11target_archE4294967295ELNS1_3gpuE0ELNS1_3repE0EEENS1_30default_config_static_selectorELNS0_4arch9wavefront6targetE0EEEvT1_
    .private_segment_fixed_size: 0
    .sgpr_count:     0
    .sgpr_spill_count: 0
    .symbol:         _ZN7rocprim17ROCPRIM_400000_NS6detail17trampoline_kernelINS0_14default_configENS1_25transform_config_selectorIsLb0EEEZNS1_14transform_implILb0ES3_S5_NS0_18transform_iteratorINS0_17counting_iteratorImlEEZNS1_24adjacent_difference_implIS3_Lb1ELb0EPsSB_N6thrust23THRUST_200600_302600_NS4plusIsEEEE10hipError_tPvRmT2_T3_mT4_P12ihipStream_tbEUlmE_sEESB_NS0_8identityIvEEEESG_SJ_SK_mSL_SN_bEUlT_E_NS1_11comp_targetILNS1_3genE0ELNS1_11target_archE4294967295ELNS1_3gpuE0ELNS1_3repE0EEENS1_30default_config_static_selectorELNS0_4arch9wavefront6targetE0EEEvT1_.kd
    .uniform_work_group_size: 1
    .uses_dynamic_stack: false
    .vgpr_count:     0
    .vgpr_spill_count: 0
    .wavefront_size: 32
    .workgroup_processor_mode: 1
  - .args:
      - .offset:         0
        .size:           56
        .value_kind:     by_value
    .group_segment_fixed_size: 0
    .kernarg_segment_align: 8
    .kernarg_segment_size: 56
    .language:       OpenCL C
    .language_version:
      - 2
      - 0
    .max_flat_workgroup_size: 256
    .name:           _ZN7rocprim17ROCPRIM_400000_NS6detail17trampoline_kernelINS0_14default_configENS1_25transform_config_selectorIsLb0EEEZNS1_14transform_implILb0ES3_S5_NS0_18transform_iteratorINS0_17counting_iteratorImlEEZNS1_24adjacent_difference_implIS3_Lb1ELb0EPsSB_N6thrust23THRUST_200600_302600_NS4plusIsEEEE10hipError_tPvRmT2_T3_mT4_P12ihipStream_tbEUlmE_sEESB_NS0_8identityIvEEEESG_SJ_SK_mSL_SN_bEUlT_E_NS1_11comp_targetILNS1_3genE5ELNS1_11target_archE942ELNS1_3gpuE9ELNS1_3repE0EEENS1_30default_config_static_selectorELNS0_4arch9wavefront6targetE0EEEvT1_
    .private_segment_fixed_size: 0
    .sgpr_count:     0
    .sgpr_spill_count: 0
    .symbol:         _ZN7rocprim17ROCPRIM_400000_NS6detail17trampoline_kernelINS0_14default_configENS1_25transform_config_selectorIsLb0EEEZNS1_14transform_implILb0ES3_S5_NS0_18transform_iteratorINS0_17counting_iteratorImlEEZNS1_24adjacent_difference_implIS3_Lb1ELb0EPsSB_N6thrust23THRUST_200600_302600_NS4plusIsEEEE10hipError_tPvRmT2_T3_mT4_P12ihipStream_tbEUlmE_sEESB_NS0_8identityIvEEEESG_SJ_SK_mSL_SN_bEUlT_E_NS1_11comp_targetILNS1_3genE5ELNS1_11target_archE942ELNS1_3gpuE9ELNS1_3repE0EEENS1_30default_config_static_selectorELNS0_4arch9wavefront6targetE0EEEvT1_.kd
    .uniform_work_group_size: 1
    .uses_dynamic_stack: false
    .vgpr_count:     0
    .vgpr_spill_count: 0
    .wavefront_size: 32
    .workgroup_processor_mode: 1
  - .args:
      - .offset:         0
        .size:           56
        .value_kind:     by_value
    .group_segment_fixed_size: 0
    .kernarg_segment_align: 8
    .kernarg_segment_size: 56
    .language:       OpenCL C
    .language_version:
      - 2
      - 0
    .max_flat_workgroup_size: 64
    .name:           _ZN7rocprim17ROCPRIM_400000_NS6detail17trampoline_kernelINS0_14default_configENS1_25transform_config_selectorIsLb0EEEZNS1_14transform_implILb0ES3_S5_NS0_18transform_iteratorINS0_17counting_iteratorImlEEZNS1_24adjacent_difference_implIS3_Lb1ELb0EPsSB_N6thrust23THRUST_200600_302600_NS4plusIsEEEE10hipError_tPvRmT2_T3_mT4_P12ihipStream_tbEUlmE_sEESB_NS0_8identityIvEEEESG_SJ_SK_mSL_SN_bEUlT_E_NS1_11comp_targetILNS1_3genE4ELNS1_11target_archE910ELNS1_3gpuE8ELNS1_3repE0EEENS1_30default_config_static_selectorELNS0_4arch9wavefront6targetE0EEEvT1_
    .private_segment_fixed_size: 0
    .sgpr_count:     0
    .sgpr_spill_count: 0
    .symbol:         _ZN7rocprim17ROCPRIM_400000_NS6detail17trampoline_kernelINS0_14default_configENS1_25transform_config_selectorIsLb0EEEZNS1_14transform_implILb0ES3_S5_NS0_18transform_iteratorINS0_17counting_iteratorImlEEZNS1_24adjacent_difference_implIS3_Lb1ELb0EPsSB_N6thrust23THRUST_200600_302600_NS4plusIsEEEE10hipError_tPvRmT2_T3_mT4_P12ihipStream_tbEUlmE_sEESB_NS0_8identityIvEEEESG_SJ_SK_mSL_SN_bEUlT_E_NS1_11comp_targetILNS1_3genE4ELNS1_11target_archE910ELNS1_3gpuE8ELNS1_3repE0EEENS1_30default_config_static_selectorELNS0_4arch9wavefront6targetE0EEEvT1_.kd
    .uniform_work_group_size: 1
    .uses_dynamic_stack: false
    .vgpr_count:     0
    .vgpr_spill_count: 0
    .wavefront_size: 32
    .workgroup_processor_mode: 1
  - .args:
      - .offset:         0
        .size:           56
        .value_kind:     by_value
    .group_segment_fixed_size: 0
    .kernarg_segment_align: 8
    .kernarg_segment_size: 56
    .language:       OpenCL C
    .language_version:
      - 2
      - 0
    .max_flat_workgroup_size: 128
    .name:           _ZN7rocprim17ROCPRIM_400000_NS6detail17trampoline_kernelINS0_14default_configENS1_25transform_config_selectorIsLb0EEEZNS1_14transform_implILb0ES3_S5_NS0_18transform_iteratorINS0_17counting_iteratorImlEEZNS1_24adjacent_difference_implIS3_Lb1ELb0EPsSB_N6thrust23THRUST_200600_302600_NS4plusIsEEEE10hipError_tPvRmT2_T3_mT4_P12ihipStream_tbEUlmE_sEESB_NS0_8identityIvEEEESG_SJ_SK_mSL_SN_bEUlT_E_NS1_11comp_targetILNS1_3genE3ELNS1_11target_archE908ELNS1_3gpuE7ELNS1_3repE0EEENS1_30default_config_static_selectorELNS0_4arch9wavefront6targetE0EEEvT1_
    .private_segment_fixed_size: 0
    .sgpr_count:     0
    .sgpr_spill_count: 0
    .symbol:         _ZN7rocprim17ROCPRIM_400000_NS6detail17trampoline_kernelINS0_14default_configENS1_25transform_config_selectorIsLb0EEEZNS1_14transform_implILb0ES3_S5_NS0_18transform_iteratorINS0_17counting_iteratorImlEEZNS1_24adjacent_difference_implIS3_Lb1ELb0EPsSB_N6thrust23THRUST_200600_302600_NS4plusIsEEEE10hipError_tPvRmT2_T3_mT4_P12ihipStream_tbEUlmE_sEESB_NS0_8identityIvEEEESG_SJ_SK_mSL_SN_bEUlT_E_NS1_11comp_targetILNS1_3genE3ELNS1_11target_archE908ELNS1_3gpuE7ELNS1_3repE0EEENS1_30default_config_static_selectorELNS0_4arch9wavefront6targetE0EEEvT1_.kd
    .uniform_work_group_size: 1
    .uses_dynamic_stack: false
    .vgpr_count:     0
    .vgpr_spill_count: 0
    .wavefront_size: 32
    .workgroup_processor_mode: 1
  - .args:
      - .offset:         0
        .size:           56
        .value_kind:     by_value
    .group_segment_fixed_size: 0
    .kernarg_segment_align: 8
    .kernarg_segment_size: 56
    .language:       OpenCL C
    .language_version:
      - 2
      - 0
    .max_flat_workgroup_size: 512
    .name:           _ZN7rocprim17ROCPRIM_400000_NS6detail17trampoline_kernelINS0_14default_configENS1_25transform_config_selectorIsLb0EEEZNS1_14transform_implILb0ES3_S5_NS0_18transform_iteratorINS0_17counting_iteratorImlEEZNS1_24adjacent_difference_implIS3_Lb1ELb0EPsSB_N6thrust23THRUST_200600_302600_NS4plusIsEEEE10hipError_tPvRmT2_T3_mT4_P12ihipStream_tbEUlmE_sEESB_NS0_8identityIvEEEESG_SJ_SK_mSL_SN_bEUlT_E_NS1_11comp_targetILNS1_3genE2ELNS1_11target_archE906ELNS1_3gpuE6ELNS1_3repE0EEENS1_30default_config_static_selectorELNS0_4arch9wavefront6targetE0EEEvT1_
    .private_segment_fixed_size: 0
    .sgpr_count:     0
    .sgpr_spill_count: 0
    .symbol:         _ZN7rocprim17ROCPRIM_400000_NS6detail17trampoline_kernelINS0_14default_configENS1_25transform_config_selectorIsLb0EEEZNS1_14transform_implILb0ES3_S5_NS0_18transform_iteratorINS0_17counting_iteratorImlEEZNS1_24adjacent_difference_implIS3_Lb1ELb0EPsSB_N6thrust23THRUST_200600_302600_NS4plusIsEEEE10hipError_tPvRmT2_T3_mT4_P12ihipStream_tbEUlmE_sEESB_NS0_8identityIvEEEESG_SJ_SK_mSL_SN_bEUlT_E_NS1_11comp_targetILNS1_3genE2ELNS1_11target_archE906ELNS1_3gpuE6ELNS1_3repE0EEENS1_30default_config_static_selectorELNS0_4arch9wavefront6targetE0EEEvT1_.kd
    .uniform_work_group_size: 1
    .uses_dynamic_stack: false
    .vgpr_count:     0
    .vgpr_spill_count: 0
    .wavefront_size: 32
    .workgroup_processor_mode: 1
  - .args:
      - .offset:         0
        .size:           56
        .value_kind:     by_value
    .group_segment_fixed_size: 0
    .kernarg_segment_align: 8
    .kernarg_segment_size: 56
    .language:       OpenCL C
    .language_version:
      - 2
      - 0
    .max_flat_workgroup_size: 1024
    .name:           _ZN7rocprim17ROCPRIM_400000_NS6detail17trampoline_kernelINS0_14default_configENS1_25transform_config_selectorIsLb0EEEZNS1_14transform_implILb0ES3_S5_NS0_18transform_iteratorINS0_17counting_iteratorImlEEZNS1_24adjacent_difference_implIS3_Lb1ELb0EPsSB_N6thrust23THRUST_200600_302600_NS4plusIsEEEE10hipError_tPvRmT2_T3_mT4_P12ihipStream_tbEUlmE_sEESB_NS0_8identityIvEEEESG_SJ_SK_mSL_SN_bEUlT_E_NS1_11comp_targetILNS1_3genE10ELNS1_11target_archE1201ELNS1_3gpuE5ELNS1_3repE0EEENS1_30default_config_static_selectorELNS0_4arch9wavefront6targetE0EEEvT1_
    .private_segment_fixed_size: 0
    .sgpr_count:     0
    .sgpr_spill_count: 0
    .symbol:         _ZN7rocprim17ROCPRIM_400000_NS6detail17trampoline_kernelINS0_14default_configENS1_25transform_config_selectorIsLb0EEEZNS1_14transform_implILb0ES3_S5_NS0_18transform_iteratorINS0_17counting_iteratorImlEEZNS1_24adjacent_difference_implIS3_Lb1ELb0EPsSB_N6thrust23THRUST_200600_302600_NS4plusIsEEEE10hipError_tPvRmT2_T3_mT4_P12ihipStream_tbEUlmE_sEESB_NS0_8identityIvEEEESG_SJ_SK_mSL_SN_bEUlT_E_NS1_11comp_targetILNS1_3genE10ELNS1_11target_archE1201ELNS1_3gpuE5ELNS1_3repE0EEENS1_30default_config_static_selectorELNS0_4arch9wavefront6targetE0EEEvT1_.kd
    .uniform_work_group_size: 1
    .uses_dynamic_stack: false
    .vgpr_count:     0
    .vgpr_spill_count: 0
    .wavefront_size: 32
    .workgroup_processor_mode: 1
  - .args:
      - .offset:         0
        .size:           56
        .value_kind:     by_value
    .group_segment_fixed_size: 0
    .kernarg_segment_align: 8
    .kernarg_segment_size: 56
    .language:       OpenCL C
    .language_version:
      - 2
      - 0
    .max_flat_workgroup_size: 512
    .name:           _ZN7rocprim17ROCPRIM_400000_NS6detail17trampoline_kernelINS0_14default_configENS1_25transform_config_selectorIsLb0EEEZNS1_14transform_implILb0ES3_S5_NS0_18transform_iteratorINS0_17counting_iteratorImlEEZNS1_24adjacent_difference_implIS3_Lb1ELb0EPsSB_N6thrust23THRUST_200600_302600_NS4plusIsEEEE10hipError_tPvRmT2_T3_mT4_P12ihipStream_tbEUlmE_sEESB_NS0_8identityIvEEEESG_SJ_SK_mSL_SN_bEUlT_E_NS1_11comp_targetILNS1_3genE10ELNS1_11target_archE1200ELNS1_3gpuE4ELNS1_3repE0EEENS1_30default_config_static_selectorELNS0_4arch9wavefront6targetE0EEEvT1_
    .private_segment_fixed_size: 0
    .sgpr_count:     0
    .sgpr_spill_count: 0
    .symbol:         _ZN7rocprim17ROCPRIM_400000_NS6detail17trampoline_kernelINS0_14default_configENS1_25transform_config_selectorIsLb0EEEZNS1_14transform_implILb0ES3_S5_NS0_18transform_iteratorINS0_17counting_iteratorImlEEZNS1_24adjacent_difference_implIS3_Lb1ELb0EPsSB_N6thrust23THRUST_200600_302600_NS4plusIsEEEE10hipError_tPvRmT2_T3_mT4_P12ihipStream_tbEUlmE_sEESB_NS0_8identityIvEEEESG_SJ_SK_mSL_SN_bEUlT_E_NS1_11comp_targetILNS1_3genE10ELNS1_11target_archE1200ELNS1_3gpuE4ELNS1_3repE0EEENS1_30default_config_static_selectorELNS0_4arch9wavefront6targetE0EEEvT1_.kd
    .uniform_work_group_size: 1
    .uses_dynamic_stack: false
    .vgpr_count:     0
    .vgpr_spill_count: 0
    .wavefront_size: 32
    .workgroup_processor_mode: 1
  - .args:
      - .offset:         0
        .size:           56
        .value_kind:     by_value
      - .offset:         56
        .size:           4
        .value_kind:     hidden_block_count_x
      - .offset:         60
        .size:           4
        .value_kind:     hidden_block_count_y
      - .offset:         64
        .size:           4
        .value_kind:     hidden_block_count_z
      - .offset:         68
        .size:           2
        .value_kind:     hidden_group_size_x
      - .offset:         70
        .size:           2
        .value_kind:     hidden_group_size_y
      - .offset:         72
        .size:           2
        .value_kind:     hidden_group_size_z
      - .offset:         74
        .size:           2
        .value_kind:     hidden_remainder_x
      - .offset:         76
        .size:           2
        .value_kind:     hidden_remainder_y
      - .offset:         78
        .size:           2
        .value_kind:     hidden_remainder_z
      - .offset:         96
        .size:           8
        .value_kind:     hidden_global_offset_x
      - .offset:         104
        .size:           8
        .value_kind:     hidden_global_offset_y
      - .offset:         112
        .size:           8
        .value_kind:     hidden_global_offset_z
      - .offset:         120
        .size:           2
        .value_kind:     hidden_grid_dims
    .group_segment_fixed_size: 0
    .kernarg_segment_align: 8
    .kernarg_segment_size: 312
    .language:       OpenCL C
    .language_version:
      - 2
      - 0
    .max_flat_workgroup_size: 1024
    .name:           _ZN7rocprim17ROCPRIM_400000_NS6detail17trampoline_kernelINS0_14default_configENS1_25transform_config_selectorIsLb0EEEZNS1_14transform_implILb0ES3_S5_NS0_18transform_iteratorINS0_17counting_iteratorImlEEZNS1_24adjacent_difference_implIS3_Lb1ELb0EPsSB_N6thrust23THRUST_200600_302600_NS4plusIsEEEE10hipError_tPvRmT2_T3_mT4_P12ihipStream_tbEUlmE_sEESB_NS0_8identityIvEEEESG_SJ_SK_mSL_SN_bEUlT_E_NS1_11comp_targetILNS1_3genE9ELNS1_11target_archE1100ELNS1_3gpuE3ELNS1_3repE0EEENS1_30default_config_static_selectorELNS0_4arch9wavefront6targetE0EEEvT1_
    .private_segment_fixed_size: 0
    .sgpr_count:     20
    .sgpr_spill_count: 0
    .symbol:         _ZN7rocprim17ROCPRIM_400000_NS6detail17trampoline_kernelINS0_14default_configENS1_25transform_config_selectorIsLb0EEEZNS1_14transform_implILb0ES3_S5_NS0_18transform_iteratorINS0_17counting_iteratorImlEEZNS1_24adjacent_difference_implIS3_Lb1ELb0EPsSB_N6thrust23THRUST_200600_302600_NS4plusIsEEEE10hipError_tPvRmT2_T3_mT4_P12ihipStream_tbEUlmE_sEESB_NS0_8identityIvEEEESG_SJ_SK_mSL_SN_bEUlT_E_NS1_11comp_targetILNS1_3genE9ELNS1_11target_archE1100ELNS1_3gpuE3ELNS1_3repE0EEENS1_30default_config_static_selectorELNS0_4arch9wavefront6targetE0EEEvT1_.kd
    .uniform_work_group_size: 1
    .uses_dynamic_stack: false
    .vgpr_count:     8
    .vgpr_spill_count: 0
    .wavefront_size: 32
    .workgroup_processor_mode: 1
  - .args:
      - .offset:         0
        .size:           56
        .value_kind:     by_value
    .group_segment_fixed_size: 0
    .kernarg_segment_align: 8
    .kernarg_segment_size: 56
    .language:       OpenCL C
    .language_version:
      - 2
      - 0
    .max_flat_workgroup_size: 1024
    .name:           _ZN7rocprim17ROCPRIM_400000_NS6detail17trampoline_kernelINS0_14default_configENS1_25transform_config_selectorIsLb0EEEZNS1_14transform_implILb0ES3_S5_NS0_18transform_iteratorINS0_17counting_iteratorImlEEZNS1_24adjacent_difference_implIS3_Lb1ELb0EPsSB_N6thrust23THRUST_200600_302600_NS4plusIsEEEE10hipError_tPvRmT2_T3_mT4_P12ihipStream_tbEUlmE_sEESB_NS0_8identityIvEEEESG_SJ_SK_mSL_SN_bEUlT_E_NS1_11comp_targetILNS1_3genE8ELNS1_11target_archE1030ELNS1_3gpuE2ELNS1_3repE0EEENS1_30default_config_static_selectorELNS0_4arch9wavefront6targetE0EEEvT1_
    .private_segment_fixed_size: 0
    .sgpr_count:     0
    .sgpr_spill_count: 0
    .symbol:         _ZN7rocprim17ROCPRIM_400000_NS6detail17trampoline_kernelINS0_14default_configENS1_25transform_config_selectorIsLb0EEEZNS1_14transform_implILb0ES3_S5_NS0_18transform_iteratorINS0_17counting_iteratorImlEEZNS1_24adjacent_difference_implIS3_Lb1ELb0EPsSB_N6thrust23THRUST_200600_302600_NS4plusIsEEEE10hipError_tPvRmT2_T3_mT4_P12ihipStream_tbEUlmE_sEESB_NS0_8identityIvEEEESG_SJ_SK_mSL_SN_bEUlT_E_NS1_11comp_targetILNS1_3genE8ELNS1_11target_archE1030ELNS1_3gpuE2ELNS1_3repE0EEENS1_30default_config_static_selectorELNS0_4arch9wavefront6targetE0EEEvT1_.kd
    .uniform_work_group_size: 1
    .uses_dynamic_stack: false
    .vgpr_count:     0
    .vgpr_spill_count: 0
    .wavefront_size: 32
    .workgroup_processor_mode: 1
  - .args:
      - .offset:         0
        .size:           56
        .value_kind:     by_value
    .group_segment_fixed_size: 0
    .kernarg_segment_align: 8
    .kernarg_segment_size: 56
    .language:       OpenCL C
    .language_version:
      - 2
      - 0
    .max_flat_workgroup_size: 32
    .name:           _ZN7rocprim17ROCPRIM_400000_NS6detail17trampoline_kernelINS0_14default_configENS1_35adjacent_difference_config_selectorILb1EsEEZNS1_24adjacent_difference_implIS3_Lb1ELb0EPsS7_N6thrust23THRUST_200600_302600_NS4plusIsEEEE10hipError_tPvRmT2_T3_mT4_P12ihipStream_tbEUlT_E_NS1_11comp_targetILNS1_3genE0ELNS1_11target_archE4294967295ELNS1_3gpuE0ELNS1_3repE0EEENS1_30default_config_static_selectorELNS0_4arch9wavefront6targetE0EEEvT1_
    .private_segment_fixed_size: 0
    .sgpr_count:     0
    .sgpr_spill_count: 0
    .symbol:         _ZN7rocprim17ROCPRIM_400000_NS6detail17trampoline_kernelINS0_14default_configENS1_35adjacent_difference_config_selectorILb1EsEEZNS1_24adjacent_difference_implIS3_Lb1ELb0EPsS7_N6thrust23THRUST_200600_302600_NS4plusIsEEEE10hipError_tPvRmT2_T3_mT4_P12ihipStream_tbEUlT_E_NS1_11comp_targetILNS1_3genE0ELNS1_11target_archE4294967295ELNS1_3gpuE0ELNS1_3repE0EEENS1_30default_config_static_selectorELNS0_4arch9wavefront6targetE0EEEvT1_.kd
    .uniform_work_group_size: 1
    .uses_dynamic_stack: false
    .vgpr_count:     0
    .vgpr_spill_count: 0
    .wavefront_size: 32
    .workgroup_processor_mode: 1
  - .args:
      - .offset:         0
        .size:           56
        .value_kind:     by_value
    .group_segment_fixed_size: 0
    .kernarg_segment_align: 8
    .kernarg_segment_size: 56
    .language:       OpenCL C
    .language_version:
      - 2
      - 0
    .max_flat_workgroup_size: 512
    .name:           _ZN7rocprim17ROCPRIM_400000_NS6detail17trampoline_kernelINS0_14default_configENS1_35adjacent_difference_config_selectorILb1EsEEZNS1_24adjacent_difference_implIS3_Lb1ELb0EPsS7_N6thrust23THRUST_200600_302600_NS4plusIsEEEE10hipError_tPvRmT2_T3_mT4_P12ihipStream_tbEUlT_E_NS1_11comp_targetILNS1_3genE10ELNS1_11target_archE1201ELNS1_3gpuE5ELNS1_3repE0EEENS1_30default_config_static_selectorELNS0_4arch9wavefront6targetE0EEEvT1_
    .private_segment_fixed_size: 0
    .sgpr_count:     0
    .sgpr_spill_count: 0
    .symbol:         _ZN7rocprim17ROCPRIM_400000_NS6detail17trampoline_kernelINS0_14default_configENS1_35adjacent_difference_config_selectorILb1EsEEZNS1_24adjacent_difference_implIS3_Lb1ELb0EPsS7_N6thrust23THRUST_200600_302600_NS4plusIsEEEE10hipError_tPvRmT2_T3_mT4_P12ihipStream_tbEUlT_E_NS1_11comp_targetILNS1_3genE10ELNS1_11target_archE1201ELNS1_3gpuE5ELNS1_3repE0EEENS1_30default_config_static_selectorELNS0_4arch9wavefront6targetE0EEEvT1_.kd
    .uniform_work_group_size: 1
    .uses_dynamic_stack: false
    .vgpr_count:     0
    .vgpr_spill_count: 0
    .wavefront_size: 32
    .workgroup_processor_mode: 1
  - .args:
      - .offset:         0
        .size:           56
        .value_kind:     by_value
    .group_segment_fixed_size: 0
    .kernarg_segment_align: 8
    .kernarg_segment_size: 56
    .language:       OpenCL C
    .language_version:
      - 2
      - 0
    .max_flat_workgroup_size: 64
    .name:           _ZN7rocprim17ROCPRIM_400000_NS6detail17trampoline_kernelINS0_14default_configENS1_35adjacent_difference_config_selectorILb1EsEEZNS1_24adjacent_difference_implIS3_Lb1ELb0EPsS7_N6thrust23THRUST_200600_302600_NS4plusIsEEEE10hipError_tPvRmT2_T3_mT4_P12ihipStream_tbEUlT_E_NS1_11comp_targetILNS1_3genE5ELNS1_11target_archE942ELNS1_3gpuE9ELNS1_3repE0EEENS1_30default_config_static_selectorELNS0_4arch9wavefront6targetE0EEEvT1_
    .private_segment_fixed_size: 0
    .sgpr_count:     0
    .sgpr_spill_count: 0
    .symbol:         _ZN7rocprim17ROCPRIM_400000_NS6detail17trampoline_kernelINS0_14default_configENS1_35adjacent_difference_config_selectorILb1EsEEZNS1_24adjacent_difference_implIS3_Lb1ELb0EPsS7_N6thrust23THRUST_200600_302600_NS4plusIsEEEE10hipError_tPvRmT2_T3_mT4_P12ihipStream_tbEUlT_E_NS1_11comp_targetILNS1_3genE5ELNS1_11target_archE942ELNS1_3gpuE9ELNS1_3repE0EEENS1_30default_config_static_selectorELNS0_4arch9wavefront6targetE0EEEvT1_.kd
    .uniform_work_group_size: 1
    .uses_dynamic_stack: false
    .vgpr_count:     0
    .vgpr_spill_count: 0
    .wavefront_size: 32
    .workgroup_processor_mode: 1
  - .args:
      - .offset:         0
        .size:           56
        .value_kind:     by_value
    .group_segment_fixed_size: 0
    .kernarg_segment_align: 8
    .kernarg_segment_size: 56
    .language:       OpenCL C
    .language_version:
      - 2
      - 0
    .max_flat_workgroup_size: 64
    .name:           _ZN7rocprim17ROCPRIM_400000_NS6detail17trampoline_kernelINS0_14default_configENS1_35adjacent_difference_config_selectorILb1EsEEZNS1_24adjacent_difference_implIS3_Lb1ELb0EPsS7_N6thrust23THRUST_200600_302600_NS4plusIsEEEE10hipError_tPvRmT2_T3_mT4_P12ihipStream_tbEUlT_E_NS1_11comp_targetILNS1_3genE4ELNS1_11target_archE910ELNS1_3gpuE8ELNS1_3repE0EEENS1_30default_config_static_selectorELNS0_4arch9wavefront6targetE0EEEvT1_
    .private_segment_fixed_size: 0
    .sgpr_count:     0
    .sgpr_spill_count: 0
    .symbol:         _ZN7rocprim17ROCPRIM_400000_NS6detail17trampoline_kernelINS0_14default_configENS1_35adjacent_difference_config_selectorILb1EsEEZNS1_24adjacent_difference_implIS3_Lb1ELb0EPsS7_N6thrust23THRUST_200600_302600_NS4plusIsEEEE10hipError_tPvRmT2_T3_mT4_P12ihipStream_tbEUlT_E_NS1_11comp_targetILNS1_3genE4ELNS1_11target_archE910ELNS1_3gpuE8ELNS1_3repE0EEENS1_30default_config_static_selectorELNS0_4arch9wavefront6targetE0EEEvT1_.kd
    .uniform_work_group_size: 1
    .uses_dynamic_stack: false
    .vgpr_count:     0
    .vgpr_spill_count: 0
    .wavefront_size: 32
    .workgroup_processor_mode: 1
  - .args:
      - .offset:         0
        .size:           56
        .value_kind:     by_value
    .group_segment_fixed_size: 0
    .kernarg_segment_align: 8
    .kernarg_segment_size: 56
    .language:       OpenCL C
    .language_version:
      - 2
      - 0
    .max_flat_workgroup_size: 32
    .name:           _ZN7rocprim17ROCPRIM_400000_NS6detail17trampoline_kernelINS0_14default_configENS1_35adjacent_difference_config_selectorILb1EsEEZNS1_24adjacent_difference_implIS3_Lb1ELb0EPsS7_N6thrust23THRUST_200600_302600_NS4plusIsEEEE10hipError_tPvRmT2_T3_mT4_P12ihipStream_tbEUlT_E_NS1_11comp_targetILNS1_3genE3ELNS1_11target_archE908ELNS1_3gpuE7ELNS1_3repE0EEENS1_30default_config_static_selectorELNS0_4arch9wavefront6targetE0EEEvT1_
    .private_segment_fixed_size: 0
    .sgpr_count:     0
    .sgpr_spill_count: 0
    .symbol:         _ZN7rocprim17ROCPRIM_400000_NS6detail17trampoline_kernelINS0_14default_configENS1_35adjacent_difference_config_selectorILb1EsEEZNS1_24adjacent_difference_implIS3_Lb1ELb0EPsS7_N6thrust23THRUST_200600_302600_NS4plusIsEEEE10hipError_tPvRmT2_T3_mT4_P12ihipStream_tbEUlT_E_NS1_11comp_targetILNS1_3genE3ELNS1_11target_archE908ELNS1_3gpuE7ELNS1_3repE0EEENS1_30default_config_static_selectorELNS0_4arch9wavefront6targetE0EEEvT1_.kd
    .uniform_work_group_size: 1
    .uses_dynamic_stack: false
    .vgpr_count:     0
    .vgpr_spill_count: 0
    .wavefront_size: 32
    .workgroup_processor_mode: 1
  - .args:
      - .offset:         0
        .size:           56
        .value_kind:     by_value
    .group_segment_fixed_size: 0
    .kernarg_segment_align: 8
    .kernarg_segment_size: 56
    .language:       OpenCL C
    .language_version:
      - 2
      - 0
    .max_flat_workgroup_size: 64
    .name:           _ZN7rocprim17ROCPRIM_400000_NS6detail17trampoline_kernelINS0_14default_configENS1_35adjacent_difference_config_selectorILb1EsEEZNS1_24adjacent_difference_implIS3_Lb1ELb0EPsS7_N6thrust23THRUST_200600_302600_NS4plusIsEEEE10hipError_tPvRmT2_T3_mT4_P12ihipStream_tbEUlT_E_NS1_11comp_targetILNS1_3genE2ELNS1_11target_archE906ELNS1_3gpuE6ELNS1_3repE0EEENS1_30default_config_static_selectorELNS0_4arch9wavefront6targetE0EEEvT1_
    .private_segment_fixed_size: 0
    .sgpr_count:     0
    .sgpr_spill_count: 0
    .symbol:         _ZN7rocprim17ROCPRIM_400000_NS6detail17trampoline_kernelINS0_14default_configENS1_35adjacent_difference_config_selectorILb1EsEEZNS1_24adjacent_difference_implIS3_Lb1ELb0EPsS7_N6thrust23THRUST_200600_302600_NS4plusIsEEEE10hipError_tPvRmT2_T3_mT4_P12ihipStream_tbEUlT_E_NS1_11comp_targetILNS1_3genE2ELNS1_11target_archE906ELNS1_3gpuE6ELNS1_3repE0EEENS1_30default_config_static_selectorELNS0_4arch9wavefront6targetE0EEEvT1_.kd
    .uniform_work_group_size: 1
    .uses_dynamic_stack: false
    .vgpr_count:     0
    .vgpr_spill_count: 0
    .wavefront_size: 32
    .workgroup_processor_mode: 1
  - .args:
      - .offset:         0
        .size:           56
        .value_kind:     by_value
    .group_segment_fixed_size: 5888
    .kernarg_segment_align: 8
    .kernarg_segment_size: 56
    .language:       OpenCL C
    .language_version:
      - 2
      - 0
    .max_flat_workgroup_size: 128
    .name:           _ZN7rocprim17ROCPRIM_400000_NS6detail17trampoline_kernelINS0_14default_configENS1_35adjacent_difference_config_selectorILb1EsEEZNS1_24adjacent_difference_implIS3_Lb1ELb0EPsS7_N6thrust23THRUST_200600_302600_NS4plusIsEEEE10hipError_tPvRmT2_T3_mT4_P12ihipStream_tbEUlT_E_NS1_11comp_targetILNS1_3genE9ELNS1_11target_archE1100ELNS1_3gpuE3ELNS1_3repE0EEENS1_30default_config_static_selectorELNS0_4arch9wavefront6targetE0EEEvT1_
    .private_segment_fixed_size: 0
    .sgpr_count:     28
    .sgpr_spill_count: 0
    .symbol:         _ZN7rocprim17ROCPRIM_400000_NS6detail17trampoline_kernelINS0_14default_configENS1_35adjacent_difference_config_selectorILb1EsEEZNS1_24adjacent_difference_implIS3_Lb1ELb0EPsS7_N6thrust23THRUST_200600_302600_NS4plusIsEEEE10hipError_tPvRmT2_T3_mT4_P12ihipStream_tbEUlT_E_NS1_11comp_targetILNS1_3genE9ELNS1_11target_archE1100ELNS1_3gpuE3ELNS1_3repE0EEENS1_30default_config_static_selectorELNS0_4arch9wavefront6targetE0EEEvT1_.kd
    .uniform_work_group_size: 1
    .uses_dynamic_stack: false
    .vgpr_count:     41
    .vgpr_spill_count: 0
    .wavefront_size: 32
    .workgroup_processor_mode: 1
  - .args:
      - .offset:         0
        .size:           56
        .value_kind:     by_value
    .group_segment_fixed_size: 0
    .kernarg_segment_align: 8
    .kernarg_segment_size: 56
    .language:       OpenCL C
    .language_version:
      - 2
      - 0
    .max_flat_workgroup_size: 512
    .name:           _ZN7rocprim17ROCPRIM_400000_NS6detail17trampoline_kernelINS0_14default_configENS1_35adjacent_difference_config_selectorILb1EsEEZNS1_24adjacent_difference_implIS3_Lb1ELb0EPsS7_N6thrust23THRUST_200600_302600_NS4plusIsEEEE10hipError_tPvRmT2_T3_mT4_P12ihipStream_tbEUlT_E_NS1_11comp_targetILNS1_3genE8ELNS1_11target_archE1030ELNS1_3gpuE2ELNS1_3repE0EEENS1_30default_config_static_selectorELNS0_4arch9wavefront6targetE0EEEvT1_
    .private_segment_fixed_size: 0
    .sgpr_count:     0
    .sgpr_spill_count: 0
    .symbol:         _ZN7rocprim17ROCPRIM_400000_NS6detail17trampoline_kernelINS0_14default_configENS1_35adjacent_difference_config_selectorILb1EsEEZNS1_24adjacent_difference_implIS3_Lb1ELb0EPsS7_N6thrust23THRUST_200600_302600_NS4plusIsEEEE10hipError_tPvRmT2_T3_mT4_P12ihipStream_tbEUlT_E_NS1_11comp_targetILNS1_3genE8ELNS1_11target_archE1030ELNS1_3gpuE2ELNS1_3repE0EEENS1_30default_config_static_selectorELNS0_4arch9wavefront6targetE0EEEvT1_.kd
    .uniform_work_group_size: 1
    .uses_dynamic_stack: false
    .vgpr_count:     0
    .vgpr_spill_count: 0
    .wavefront_size: 32
    .workgroup_processor_mode: 1
  - .args:
      - .offset:         0
        .size:           72
        .value_kind:     by_value
    .group_segment_fixed_size: 0
    .kernarg_segment_align: 8
    .kernarg_segment_size: 72
    .language:       OpenCL C
    .language_version:
      - 2
      - 0
    .max_flat_workgroup_size: 128
    .name:           _ZN7rocprim17ROCPRIM_400000_NS6detail17trampoline_kernelINS0_14default_configENS1_22reduce_config_selectorIN6thrust23THRUST_200600_302600_NS5tupleIblNS6_9null_typeES8_S8_S8_S8_S8_S8_S8_EEEEZNS1_11reduce_implILb1ES3_PS9_SC_S9_NS6_11hip_rocprim9__find_if7functorIS9_EEEE10hipError_tPvRmT1_T2_T3_mT4_P12ihipStream_tbEUlT_E0_NS1_11comp_targetILNS1_3genE0ELNS1_11target_archE4294967295ELNS1_3gpuE0ELNS1_3repE0EEENS1_30default_config_static_selectorELNS0_4arch9wavefront6targetE0EEEvSK_
    .private_segment_fixed_size: 0
    .sgpr_count:     0
    .sgpr_spill_count: 0
    .symbol:         _ZN7rocprim17ROCPRIM_400000_NS6detail17trampoline_kernelINS0_14default_configENS1_22reduce_config_selectorIN6thrust23THRUST_200600_302600_NS5tupleIblNS6_9null_typeES8_S8_S8_S8_S8_S8_S8_EEEEZNS1_11reduce_implILb1ES3_PS9_SC_S9_NS6_11hip_rocprim9__find_if7functorIS9_EEEE10hipError_tPvRmT1_T2_T3_mT4_P12ihipStream_tbEUlT_E0_NS1_11comp_targetILNS1_3genE0ELNS1_11target_archE4294967295ELNS1_3gpuE0ELNS1_3repE0EEENS1_30default_config_static_selectorELNS0_4arch9wavefront6targetE0EEEvSK_.kd
    .uniform_work_group_size: 1
    .uses_dynamic_stack: false
    .vgpr_count:     0
    .vgpr_spill_count: 0
    .wavefront_size: 32
    .workgroup_processor_mode: 1
  - .args:
      - .offset:         0
        .size:           72
        .value_kind:     by_value
    .group_segment_fixed_size: 0
    .kernarg_segment_align: 8
    .kernarg_segment_size: 72
    .language:       OpenCL C
    .language_version:
      - 2
      - 0
    .max_flat_workgroup_size: 256
    .name:           _ZN7rocprim17ROCPRIM_400000_NS6detail17trampoline_kernelINS0_14default_configENS1_22reduce_config_selectorIN6thrust23THRUST_200600_302600_NS5tupleIblNS6_9null_typeES8_S8_S8_S8_S8_S8_S8_EEEEZNS1_11reduce_implILb1ES3_PS9_SC_S9_NS6_11hip_rocprim9__find_if7functorIS9_EEEE10hipError_tPvRmT1_T2_T3_mT4_P12ihipStream_tbEUlT_E0_NS1_11comp_targetILNS1_3genE5ELNS1_11target_archE942ELNS1_3gpuE9ELNS1_3repE0EEENS1_30default_config_static_selectorELNS0_4arch9wavefront6targetE0EEEvSK_
    .private_segment_fixed_size: 0
    .sgpr_count:     0
    .sgpr_spill_count: 0
    .symbol:         _ZN7rocprim17ROCPRIM_400000_NS6detail17trampoline_kernelINS0_14default_configENS1_22reduce_config_selectorIN6thrust23THRUST_200600_302600_NS5tupleIblNS6_9null_typeES8_S8_S8_S8_S8_S8_S8_EEEEZNS1_11reduce_implILb1ES3_PS9_SC_S9_NS6_11hip_rocprim9__find_if7functorIS9_EEEE10hipError_tPvRmT1_T2_T3_mT4_P12ihipStream_tbEUlT_E0_NS1_11comp_targetILNS1_3genE5ELNS1_11target_archE942ELNS1_3gpuE9ELNS1_3repE0EEENS1_30default_config_static_selectorELNS0_4arch9wavefront6targetE0EEEvSK_.kd
    .uniform_work_group_size: 1
    .uses_dynamic_stack: false
    .vgpr_count:     0
    .vgpr_spill_count: 0
    .wavefront_size: 32
    .workgroup_processor_mode: 1
  - .args:
      - .offset:         0
        .size:           72
        .value_kind:     by_value
    .group_segment_fixed_size: 0
    .kernarg_segment_align: 8
    .kernarg_segment_size: 72
    .language:       OpenCL C
    .language_version:
      - 2
      - 0
    .max_flat_workgroup_size: 256
    .name:           _ZN7rocprim17ROCPRIM_400000_NS6detail17trampoline_kernelINS0_14default_configENS1_22reduce_config_selectorIN6thrust23THRUST_200600_302600_NS5tupleIblNS6_9null_typeES8_S8_S8_S8_S8_S8_S8_EEEEZNS1_11reduce_implILb1ES3_PS9_SC_S9_NS6_11hip_rocprim9__find_if7functorIS9_EEEE10hipError_tPvRmT1_T2_T3_mT4_P12ihipStream_tbEUlT_E0_NS1_11comp_targetILNS1_3genE4ELNS1_11target_archE910ELNS1_3gpuE8ELNS1_3repE0EEENS1_30default_config_static_selectorELNS0_4arch9wavefront6targetE0EEEvSK_
    .private_segment_fixed_size: 0
    .sgpr_count:     0
    .sgpr_spill_count: 0
    .symbol:         _ZN7rocprim17ROCPRIM_400000_NS6detail17trampoline_kernelINS0_14default_configENS1_22reduce_config_selectorIN6thrust23THRUST_200600_302600_NS5tupleIblNS6_9null_typeES8_S8_S8_S8_S8_S8_S8_EEEEZNS1_11reduce_implILb1ES3_PS9_SC_S9_NS6_11hip_rocprim9__find_if7functorIS9_EEEE10hipError_tPvRmT1_T2_T3_mT4_P12ihipStream_tbEUlT_E0_NS1_11comp_targetILNS1_3genE4ELNS1_11target_archE910ELNS1_3gpuE8ELNS1_3repE0EEENS1_30default_config_static_selectorELNS0_4arch9wavefront6targetE0EEEvSK_.kd
    .uniform_work_group_size: 1
    .uses_dynamic_stack: false
    .vgpr_count:     0
    .vgpr_spill_count: 0
    .wavefront_size: 32
    .workgroup_processor_mode: 1
  - .args:
      - .offset:         0
        .size:           72
        .value_kind:     by_value
    .group_segment_fixed_size: 0
    .kernarg_segment_align: 8
    .kernarg_segment_size: 72
    .language:       OpenCL C
    .language_version:
      - 2
      - 0
    .max_flat_workgroup_size: 128
    .name:           _ZN7rocprim17ROCPRIM_400000_NS6detail17trampoline_kernelINS0_14default_configENS1_22reduce_config_selectorIN6thrust23THRUST_200600_302600_NS5tupleIblNS6_9null_typeES8_S8_S8_S8_S8_S8_S8_EEEEZNS1_11reduce_implILb1ES3_PS9_SC_S9_NS6_11hip_rocprim9__find_if7functorIS9_EEEE10hipError_tPvRmT1_T2_T3_mT4_P12ihipStream_tbEUlT_E0_NS1_11comp_targetILNS1_3genE3ELNS1_11target_archE908ELNS1_3gpuE7ELNS1_3repE0EEENS1_30default_config_static_selectorELNS0_4arch9wavefront6targetE0EEEvSK_
    .private_segment_fixed_size: 0
    .sgpr_count:     0
    .sgpr_spill_count: 0
    .symbol:         _ZN7rocprim17ROCPRIM_400000_NS6detail17trampoline_kernelINS0_14default_configENS1_22reduce_config_selectorIN6thrust23THRUST_200600_302600_NS5tupleIblNS6_9null_typeES8_S8_S8_S8_S8_S8_S8_EEEEZNS1_11reduce_implILb1ES3_PS9_SC_S9_NS6_11hip_rocprim9__find_if7functorIS9_EEEE10hipError_tPvRmT1_T2_T3_mT4_P12ihipStream_tbEUlT_E0_NS1_11comp_targetILNS1_3genE3ELNS1_11target_archE908ELNS1_3gpuE7ELNS1_3repE0EEENS1_30default_config_static_selectorELNS0_4arch9wavefront6targetE0EEEvSK_.kd
    .uniform_work_group_size: 1
    .uses_dynamic_stack: false
    .vgpr_count:     0
    .vgpr_spill_count: 0
    .wavefront_size: 32
    .workgroup_processor_mode: 1
  - .args:
      - .offset:         0
        .size:           72
        .value_kind:     by_value
    .group_segment_fixed_size: 0
    .kernarg_segment_align: 8
    .kernarg_segment_size: 72
    .language:       OpenCL C
    .language_version:
      - 2
      - 0
    .max_flat_workgroup_size: 128
    .name:           _ZN7rocprim17ROCPRIM_400000_NS6detail17trampoline_kernelINS0_14default_configENS1_22reduce_config_selectorIN6thrust23THRUST_200600_302600_NS5tupleIblNS6_9null_typeES8_S8_S8_S8_S8_S8_S8_EEEEZNS1_11reduce_implILb1ES3_PS9_SC_S9_NS6_11hip_rocprim9__find_if7functorIS9_EEEE10hipError_tPvRmT1_T2_T3_mT4_P12ihipStream_tbEUlT_E0_NS1_11comp_targetILNS1_3genE2ELNS1_11target_archE906ELNS1_3gpuE6ELNS1_3repE0EEENS1_30default_config_static_selectorELNS0_4arch9wavefront6targetE0EEEvSK_
    .private_segment_fixed_size: 0
    .sgpr_count:     0
    .sgpr_spill_count: 0
    .symbol:         _ZN7rocprim17ROCPRIM_400000_NS6detail17trampoline_kernelINS0_14default_configENS1_22reduce_config_selectorIN6thrust23THRUST_200600_302600_NS5tupleIblNS6_9null_typeES8_S8_S8_S8_S8_S8_S8_EEEEZNS1_11reduce_implILb1ES3_PS9_SC_S9_NS6_11hip_rocprim9__find_if7functorIS9_EEEE10hipError_tPvRmT1_T2_T3_mT4_P12ihipStream_tbEUlT_E0_NS1_11comp_targetILNS1_3genE2ELNS1_11target_archE906ELNS1_3gpuE6ELNS1_3repE0EEENS1_30default_config_static_selectorELNS0_4arch9wavefront6targetE0EEEvSK_.kd
    .uniform_work_group_size: 1
    .uses_dynamic_stack: false
    .vgpr_count:     0
    .vgpr_spill_count: 0
    .wavefront_size: 32
    .workgroup_processor_mode: 1
  - .args:
      - .offset:         0
        .size:           72
        .value_kind:     by_value
    .group_segment_fixed_size: 0
    .kernarg_segment_align: 8
    .kernarg_segment_size: 72
    .language:       OpenCL C
    .language_version:
      - 2
      - 0
    .max_flat_workgroup_size: 256
    .name:           _ZN7rocprim17ROCPRIM_400000_NS6detail17trampoline_kernelINS0_14default_configENS1_22reduce_config_selectorIN6thrust23THRUST_200600_302600_NS5tupleIblNS6_9null_typeES8_S8_S8_S8_S8_S8_S8_EEEEZNS1_11reduce_implILb1ES3_PS9_SC_S9_NS6_11hip_rocprim9__find_if7functorIS9_EEEE10hipError_tPvRmT1_T2_T3_mT4_P12ihipStream_tbEUlT_E0_NS1_11comp_targetILNS1_3genE10ELNS1_11target_archE1201ELNS1_3gpuE5ELNS1_3repE0EEENS1_30default_config_static_selectorELNS0_4arch9wavefront6targetE0EEEvSK_
    .private_segment_fixed_size: 0
    .sgpr_count:     0
    .sgpr_spill_count: 0
    .symbol:         _ZN7rocprim17ROCPRIM_400000_NS6detail17trampoline_kernelINS0_14default_configENS1_22reduce_config_selectorIN6thrust23THRUST_200600_302600_NS5tupleIblNS6_9null_typeES8_S8_S8_S8_S8_S8_S8_EEEEZNS1_11reduce_implILb1ES3_PS9_SC_S9_NS6_11hip_rocprim9__find_if7functorIS9_EEEE10hipError_tPvRmT1_T2_T3_mT4_P12ihipStream_tbEUlT_E0_NS1_11comp_targetILNS1_3genE10ELNS1_11target_archE1201ELNS1_3gpuE5ELNS1_3repE0EEENS1_30default_config_static_selectorELNS0_4arch9wavefront6targetE0EEEvSK_.kd
    .uniform_work_group_size: 1
    .uses_dynamic_stack: false
    .vgpr_count:     0
    .vgpr_spill_count: 0
    .wavefront_size: 32
    .workgroup_processor_mode: 1
  - .args:
      - .offset:         0
        .size:           72
        .value_kind:     by_value
    .group_segment_fixed_size: 0
    .kernarg_segment_align: 8
    .kernarg_segment_size: 72
    .language:       OpenCL C
    .language_version:
      - 2
      - 0
    .max_flat_workgroup_size: 256
    .name:           _ZN7rocprim17ROCPRIM_400000_NS6detail17trampoline_kernelINS0_14default_configENS1_22reduce_config_selectorIN6thrust23THRUST_200600_302600_NS5tupleIblNS6_9null_typeES8_S8_S8_S8_S8_S8_S8_EEEEZNS1_11reduce_implILb1ES3_PS9_SC_S9_NS6_11hip_rocprim9__find_if7functorIS9_EEEE10hipError_tPvRmT1_T2_T3_mT4_P12ihipStream_tbEUlT_E0_NS1_11comp_targetILNS1_3genE10ELNS1_11target_archE1200ELNS1_3gpuE4ELNS1_3repE0EEENS1_30default_config_static_selectorELNS0_4arch9wavefront6targetE0EEEvSK_
    .private_segment_fixed_size: 0
    .sgpr_count:     0
    .sgpr_spill_count: 0
    .symbol:         _ZN7rocprim17ROCPRIM_400000_NS6detail17trampoline_kernelINS0_14default_configENS1_22reduce_config_selectorIN6thrust23THRUST_200600_302600_NS5tupleIblNS6_9null_typeES8_S8_S8_S8_S8_S8_S8_EEEEZNS1_11reduce_implILb1ES3_PS9_SC_S9_NS6_11hip_rocprim9__find_if7functorIS9_EEEE10hipError_tPvRmT1_T2_T3_mT4_P12ihipStream_tbEUlT_E0_NS1_11comp_targetILNS1_3genE10ELNS1_11target_archE1200ELNS1_3gpuE4ELNS1_3repE0EEENS1_30default_config_static_selectorELNS0_4arch9wavefront6targetE0EEEvSK_.kd
    .uniform_work_group_size: 1
    .uses_dynamic_stack: false
    .vgpr_count:     0
    .vgpr_spill_count: 0
    .wavefront_size: 32
    .workgroup_processor_mode: 1
  - .args:
      - .offset:         0
        .size:           72
        .value_kind:     by_value
    .group_segment_fixed_size: 256
    .kernarg_segment_align: 8
    .kernarg_segment_size: 72
    .language:       OpenCL C
    .language_version:
      - 2
      - 0
    .max_flat_workgroup_size: 256
    .name:           _ZN7rocprim17ROCPRIM_400000_NS6detail17trampoline_kernelINS0_14default_configENS1_22reduce_config_selectorIN6thrust23THRUST_200600_302600_NS5tupleIblNS6_9null_typeES8_S8_S8_S8_S8_S8_S8_EEEEZNS1_11reduce_implILb1ES3_PS9_SC_S9_NS6_11hip_rocprim9__find_if7functorIS9_EEEE10hipError_tPvRmT1_T2_T3_mT4_P12ihipStream_tbEUlT_E0_NS1_11comp_targetILNS1_3genE9ELNS1_11target_archE1100ELNS1_3gpuE3ELNS1_3repE0EEENS1_30default_config_static_selectorELNS0_4arch9wavefront6targetE0EEEvSK_
    .private_segment_fixed_size: 0
    .sgpr_count:     22
    .sgpr_spill_count: 0
    .symbol:         _ZN7rocprim17ROCPRIM_400000_NS6detail17trampoline_kernelINS0_14default_configENS1_22reduce_config_selectorIN6thrust23THRUST_200600_302600_NS5tupleIblNS6_9null_typeES8_S8_S8_S8_S8_S8_S8_EEEEZNS1_11reduce_implILb1ES3_PS9_SC_S9_NS6_11hip_rocprim9__find_if7functorIS9_EEEE10hipError_tPvRmT1_T2_T3_mT4_P12ihipStream_tbEUlT_E0_NS1_11comp_targetILNS1_3genE9ELNS1_11target_archE1100ELNS1_3gpuE3ELNS1_3repE0EEENS1_30default_config_static_selectorELNS0_4arch9wavefront6targetE0EEEvSK_.kd
    .uniform_work_group_size: 1
    .uses_dynamic_stack: false
    .vgpr_count:     16
    .vgpr_spill_count: 0
    .wavefront_size: 32
    .workgroup_processor_mode: 1
  - .args:
      - .offset:         0
        .size:           72
        .value_kind:     by_value
    .group_segment_fixed_size: 0
    .kernarg_segment_align: 8
    .kernarg_segment_size: 72
    .language:       OpenCL C
    .language_version:
      - 2
      - 0
    .max_flat_workgroup_size: 256
    .name:           _ZN7rocprim17ROCPRIM_400000_NS6detail17trampoline_kernelINS0_14default_configENS1_22reduce_config_selectorIN6thrust23THRUST_200600_302600_NS5tupleIblNS6_9null_typeES8_S8_S8_S8_S8_S8_S8_EEEEZNS1_11reduce_implILb1ES3_PS9_SC_S9_NS6_11hip_rocprim9__find_if7functorIS9_EEEE10hipError_tPvRmT1_T2_T3_mT4_P12ihipStream_tbEUlT_E0_NS1_11comp_targetILNS1_3genE8ELNS1_11target_archE1030ELNS1_3gpuE2ELNS1_3repE0EEENS1_30default_config_static_selectorELNS0_4arch9wavefront6targetE0EEEvSK_
    .private_segment_fixed_size: 0
    .sgpr_count:     0
    .sgpr_spill_count: 0
    .symbol:         _ZN7rocprim17ROCPRIM_400000_NS6detail17trampoline_kernelINS0_14default_configENS1_22reduce_config_selectorIN6thrust23THRUST_200600_302600_NS5tupleIblNS6_9null_typeES8_S8_S8_S8_S8_S8_S8_EEEEZNS1_11reduce_implILb1ES3_PS9_SC_S9_NS6_11hip_rocprim9__find_if7functorIS9_EEEE10hipError_tPvRmT1_T2_T3_mT4_P12ihipStream_tbEUlT_E0_NS1_11comp_targetILNS1_3genE8ELNS1_11target_archE1030ELNS1_3gpuE2ELNS1_3repE0EEENS1_30default_config_static_selectorELNS0_4arch9wavefront6targetE0EEEvSK_.kd
    .uniform_work_group_size: 1
    .uses_dynamic_stack: false
    .vgpr_count:     0
    .vgpr_spill_count: 0
    .wavefront_size: 32
    .workgroup_processor_mode: 1
  - .args:
      - .offset:         0
        .size:           56
        .value_kind:     by_value
    .group_segment_fixed_size: 0
    .kernarg_segment_align: 8
    .kernarg_segment_size: 56
    .language:       OpenCL C
    .language_version:
      - 2
      - 0
    .max_flat_workgroup_size: 128
    .name:           _ZN7rocprim17ROCPRIM_400000_NS6detail17trampoline_kernelINS0_14default_configENS1_22reduce_config_selectorIN6thrust23THRUST_200600_302600_NS5tupleIblNS6_9null_typeES8_S8_S8_S8_S8_S8_S8_EEEEZNS1_11reduce_implILb1ES3_PS9_SC_S9_NS6_11hip_rocprim9__find_if7functorIS9_EEEE10hipError_tPvRmT1_T2_T3_mT4_P12ihipStream_tbEUlT_E1_NS1_11comp_targetILNS1_3genE0ELNS1_11target_archE4294967295ELNS1_3gpuE0ELNS1_3repE0EEENS1_30default_config_static_selectorELNS0_4arch9wavefront6targetE0EEEvSK_
    .private_segment_fixed_size: 0
    .sgpr_count:     0
    .sgpr_spill_count: 0
    .symbol:         _ZN7rocprim17ROCPRIM_400000_NS6detail17trampoline_kernelINS0_14default_configENS1_22reduce_config_selectorIN6thrust23THRUST_200600_302600_NS5tupleIblNS6_9null_typeES8_S8_S8_S8_S8_S8_S8_EEEEZNS1_11reduce_implILb1ES3_PS9_SC_S9_NS6_11hip_rocprim9__find_if7functorIS9_EEEE10hipError_tPvRmT1_T2_T3_mT4_P12ihipStream_tbEUlT_E1_NS1_11comp_targetILNS1_3genE0ELNS1_11target_archE4294967295ELNS1_3gpuE0ELNS1_3repE0EEENS1_30default_config_static_selectorELNS0_4arch9wavefront6targetE0EEEvSK_.kd
    .uniform_work_group_size: 1
    .uses_dynamic_stack: false
    .vgpr_count:     0
    .vgpr_spill_count: 0
    .wavefront_size: 32
    .workgroup_processor_mode: 1
  - .args:
      - .offset:         0
        .size:           56
        .value_kind:     by_value
    .group_segment_fixed_size: 0
    .kernarg_segment_align: 8
    .kernarg_segment_size: 56
    .language:       OpenCL C
    .language_version:
      - 2
      - 0
    .max_flat_workgroup_size: 256
    .name:           _ZN7rocprim17ROCPRIM_400000_NS6detail17trampoline_kernelINS0_14default_configENS1_22reduce_config_selectorIN6thrust23THRUST_200600_302600_NS5tupleIblNS6_9null_typeES8_S8_S8_S8_S8_S8_S8_EEEEZNS1_11reduce_implILb1ES3_PS9_SC_S9_NS6_11hip_rocprim9__find_if7functorIS9_EEEE10hipError_tPvRmT1_T2_T3_mT4_P12ihipStream_tbEUlT_E1_NS1_11comp_targetILNS1_3genE5ELNS1_11target_archE942ELNS1_3gpuE9ELNS1_3repE0EEENS1_30default_config_static_selectorELNS0_4arch9wavefront6targetE0EEEvSK_
    .private_segment_fixed_size: 0
    .sgpr_count:     0
    .sgpr_spill_count: 0
    .symbol:         _ZN7rocprim17ROCPRIM_400000_NS6detail17trampoline_kernelINS0_14default_configENS1_22reduce_config_selectorIN6thrust23THRUST_200600_302600_NS5tupleIblNS6_9null_typeES8_S8_S8_S8_S8_S8_S8_EEEEZNS1_11reduce_implILb1ES3_PS9_SC_S9_NS6_11hip_rocprim9__find_if7functorIS9_EEEE10hipError_tPvRmT1_T2_T3_mT4_P12ihipStream_tbEUlT_E1_NS1_11comp_targetILNS1_3genE5ELNS1_11target_archE942ELNS1_3gpuE9ELNS1_3repE0EEENS1_30default_config_static_selectorELNS0_4arch9wavefront6targetE0EEEvSK_.kd
    .uniform_work_group_size: 1
    .uses_dynamic_stack: false
    .vgpr_count:     0
    .vgpr_spill_count: 0
    .wavefront_size: 32
    .workgroup_processor_mode: 1
  - .args:
      - .offset:         0
        .size:           56
        .value_kind:     by_value
    .group_segment_fixed_size: 0
    .kernarg_segment_align: 8
    .kernarg_segment_size: 56
    .language:       OpenCL C
    .language_version:
      - 2
      - 0
    .max_flat_workgroup_size: 256
    .name:           _ZN7rocprim17ROCPRIM_400000_NS6detail17trampoline_kernelINS0_14default_configENS1_22reduce_config_selectorIN6thrust23THRUST_200600_302600_NS5tupleIblNS6_9null_typeES8_S8_S8_S8_S8_S8_S8_EEEEZNS1_11reduce_implILb1ES3_PS9_SC_S9_NS6_11hip_rocprim9__find_if7functorIS9_EEEE10hipError_tPvRmT1_T2_T3_mT4_P12ihipStream_tbEUlT_E1_NS1_11comp_targetILNS1_3genE4ELNS1_11target_archE910ELNS1_3gpuE8ELNS1_3repE0EEENS1_30default_config_static_selectorELNS0_4arch9wavefront6targetE0EEEvSK_
    .private_segment_fixed_size: 0
    .sgpr_count:     0
    .sgpr_spill_count: 0
    .symbol:         _ZN7rocprim17ROCPRIM_400000_NS6detail17trampoline_kernelINS0_14default_configENS1_22reduce_config_selectorIN6thrust23THRUST_200600_302600_NS5tupleIblNS6_9null_typeES8_S8_S8_S8_S8_S8_S8_EEEEZNS1_11reduce_implILb1ES3_PS9_SC_S9_NS6_11hip_rocprim9__find_if7functorIS9_EEEE10hipError_tPvRmT1_T2_T3_mT4_P12ihipStream_tbEUlT_E1_NS1_11comp_targetILNS1_3genE4ELNS1_11target_archE910ELNS1_3gpuE8ELNS1_3repE0EEENS1_30default_config_static_selectorELNS0_4arch9wavefront6targetE0EEEvSK_.kd
    .uniform_work_group_size: 1
    .uses_dynamic_stack: false
    .vgpr_count:     0
    .vgpr_spill_count: 0
    .wavefront_size: 32
    .workgroup_processor_mode: 1
  - .args:
      - .offset:         0
        .size:           56
        .value_kind:     by_value
    .group_segment_fixed_size: 0
    .kernarg_segment_align: 8
    .kernarg_segment_size: 56
    .language:       OpenCL C
    .language_version:
      - 2
      - 0
    .max_flat_workgroup_size: 128
    .name:           _ZN7rocprim17ROCPRIM_400000_NS6detail17trampoline_kernelINS0_14default_configENS1_22reduce_config_selectorIN6thrust23THRUST_200600_302600_NS5tupleIblNS6_9null_typeES8_S8_S8_S8_S8_S8_S8_EEEEZNS1_11reduce_implILb1ES3_PS9_SC_S9_NS6_11hip_rocprim9__find_if7functorIS9_EEEE10hipError_tPvRmT1_T2_T3_mT4_P12ihipStream_tbEUlT_E1_NS1_11comp_targetILNS1_3genE3ELNS1_11target_archE908ELNS1_3gpuE7ELNS1_3repE0EEENS1_30default_config_static_selectorELNS0_4arch9wavefront6targetE0EEEvSK_
    .private_segment_fixed_size: 0
    .sgpr_count:     0
    .sgpr_spill_count: 0
    .symbol:         _ZN7rocprim17ROCPRIM_400000_NS6detail17trampoline_kernelINS0_14default_configENS1_22reduce_config_selectorIN6thrust23THRUST_200600_302600_NS5tupleIblNS6_9null_typeES8_S8_S8_S8_S8_S8_S8_EEEEZNS1_11reduce_implILb1ES3_PS9_SC_S9_NS6_11hip_rocprim9__find_if7functorIS9_EEEE10hipError_tPvRmT1_T2_T3_mT4_P12ihipStream_tbEUlT_E1_NS1_11comp_targetILNS1_3genE3ELNS1_11target_archE908ELNS1_3gpuE7ELNS1_3repE0EEENS1_30default_config_static_selectorELNS0_4arch9wavefront6targetE0EEEvSK_.kd
    .uniform_work_group_size: 1
    .uses_dynamic_stack: false
    .vgpr_count:     0
    .vgpr_spill_count: 0
    .wavefront_size: 32
    .workgroup_processor_mode: 1
  - .args:
      - .offset:         0
        .size:           56
        .value_kind:     by_value
    .group_segment_fixed_size: 0
    .kernarg_segment_align: 8
    .kernarg_segment_size: 56
    .language:       OpenCL C
    .language_version:
      - 2
      - 0
    .max_flat_workgroup_size: 128
    .name:           _ZN7rocprim17ROCPRIM_400000_NS6detail17trampoline_kernelINS0_14default_configENS1_22reduce_config_selectorIN6thrust23THRUST_200600_302600_NS5tupleIblNS6_9null_typeES8_S8_S8_S8_S8_S8_S8_EEEEZNS1_11reduce_implILb1ES3_PS9_SC_S9_NS6_11hip_rocprim9__find_if7functorIS9_EEEE10hipError_tPvRmT1_T2_T3_mT4_P12ihipStream_tbEUlT_E1_NS1_11comp_targetILNS1_3genE2ELNS1_11target_archE906ELNS1_3gpuE6ELNS1_3repE0EEENS1_30default_config_static_selectorELNS0_4arch9wavefront6targetE0EEEvSK_
    .private_segment_fixed_size: 0
    .sgpr_count:     0
    .sgpr_spill_count: 0
    .symbol:         _ZN7rocprim17ROCPRIM_400000_NS6detail17trampoline_kernelINS0_14default_configENS1_22reduce_config_selectorIN6thrust23THRUST_200600_302600_NS5tupleIblNS6_9null_typeES8_S8_S8_S8_S8_S8_S8_EEEEZNS1_11reduce_implILb1ES3_PS9_SC_S9_NS6_11hip_rocprim9__find_if7functorIS9_EEEE10hipError_tPvRmT1_T2_T3_mT4_P12ihipStream_tbEUlT_E1_NS1_11comp_targetILNS1_3genE2ELNS1_11target_archE906ELNS1_3gpuE6ELNS1_3repE0EEENS1_30default_config_static_selectorELNS0_4arch9wavefront6targetE0EEEvSK_.kd
    .uniform_work_group_size: 1
    .uses_dynamic_stack: false
    .vgpr_count:     0
    .vgpr_spill_count: 0
    .wavefront_size: 32
    .workgroup_processor_mode: 1
  - .args:
      - .offset:         0
        .size:           56
        .value_kind:     by_value
    .group_segment_fixed_size: 0
    .kernarg_segment_align: 8
    .kernarg_segment_size: 56
    .language:       OpenCL C
    .language_version:
      - 2
      - 0
    .max_flat_workgroup_size: 256
    .name:           _ZN7rocprim17ROCPRIM_400000_NS6detail17trampoline_kernelINS0_14default_configENS1_22reduce_config_selectorIN6thrust23THRUST_200600_302600_NS5tupleIblNS6_9null_typeES8_S8_S8_S8_S8_S8_S8_EEEEZNS1_11reduce_implILb1ES3_PS9_SC_S9_NS6_11hip_rocprim9__find_if7functorIS9_EEEE10hipError_tPvRmT1_T2_T3_mT4_P12ihipStream_tbEUlT_E1_NS1_11comp_targetILNS1_3genE10ELNS1_11target_archE1201ELNS1_3gpuE5ELNS1_3repE0EEENS1_30default_config_static_selectorELNS0_4arch9wavefront6targetE0EEEvSK_
    .private_segment_fixed_size: 0
    .sgpr_count:     0
    .sgpr_spill_count: 0
    .symbol:         _ZN7rocprim17ROCPRIM_400000_NS6detail17trampoline_kernelINS0_14default_configENS1_22reduce_config_selectorIN6thrust23THRUST_200600_302600_NS5tupleIblNS6_9null_typeES8_S8_S8_S8_S8_S8_S8_EEEEZNS1_11reduce_implILb1ES3_PS9_SC_S9_NS6_11hip_rocprim9__find_if7functorIS9_EEEE10hipError_tPvRmT1_T2_T3_mT4_P12ihipStream_tbEUlT_E1_NS1_11comp_targetILNS1_3genE10ELNS1_11target_archE1201ELNS1_3gpuE5ELNS1_3repE0EEENS1_30default_config_static_selectorELNS0_4arch9wavefront6targetE0EEEvSK_.kd
    .uniform_work_group_size: 1
    .uses_dynamic_stack: false
    .vgpr_count:     0
    .vgpr_spill_count: 0
    .wavefront_size: 32
    .workgroup_processor_mode: 1
  - .args:
      - .offset:         0
        .size:           56
        .value_kind:     by_value
    .group_segment_fixed_size: 0
    .kernarg_segment_align: 8
    .kernarg_segment_size: 56
    .language:       OpenCL C
    .language_version:
      - 2
      - 0
    .max_flat_workgroup_size: 256
    .name:           _ZN7rocprim17ROCPRIM_400000_NS6detail17trampoline_kernelINS0_14default_configENS1_22reduce_config_selectorIN6thrust23THRUST_200600_302600_NS5tupleIblNS6_9null_typeES8_S8_S8_S8_S8_S8_S8_EEEEZNS1_11reduce_implILb1ES3_PS9_SC_S9_NS6_11hip_rocprim9__find_if7functorIS9_EEEE10hipError_tPvRmT1_T2_T3_mT4_P12ihipStream_tbEUlT_E1_NS1_11comp_targetILNS1_3genE10ELNS1_11target_archE1200ELNS1_3gpuE4ELNS1_3repE0EEENS1_30default_config_static_selectorELNS0_4arch9wavefront6targetE0EEEvSK_
    .private_segment_fixed_size: 0
    .sgpr_count:     0
    .sgpr_spill_count: 0
    .symbol:         _ZN7rocprim17ROCPRIM_400000_NS6detail17trampoline_kernelINS0_14default_configENS1_22reduce_config_selectorIN6thrust23THRUST_200600_302600_NS5tupleIblNS6_9null_typeES8_S8_S8_S8_S8_S8_S8_EEEEZNS1_11reduce_implILb1ES3_PS9_SC_S9_NS6_11hip_rocprim9__find_if7functorIS9_EEEE10hipError_tPvRmT1_T2_T3_mT4_P12ihipStream_tbEUlT_E1_NS1_11comp_targetILNS1_3genE10ELNS1_11target_archE1200ELNS1_3gpuE4ELNS1_3repE0EEENS1_30default_config_static_selectorELNS0_4arch9wavefront6targetE0EEEvSK_.kd
    .uniform_work_group_size: 1
    .uses_dynamic_stack: false
    .vgpr_count:     0
    .vgpr_spill_count: 0
    .wavefront_size: 32
    .workgroup_processor_mode: 1
  - .args:
      - .offset:         0
        .size:           56
        .value_kind:     by_value
    .group_segment_fixed_size: 640
    .kernarg_segment_align: 8
    .kernarg_segment_size: 56
    .language:       OpenCL C
    .language_version:
      - 2
      - 0
    .max_flat_workgroup_size: 256
    .name:           _ZN7rocprim17ROCPRIM_400000_NS6detail17trampoline_kernelINS0_14default_configENS1_22reduce_config_selectorIN6thrust23THRUST_200600_302600_NS5tupleIblNS6_9null_typeES8_S8_S8_S8_S8_S8_S8_EEEEZNS1_11reduce_implILb1ES3_PS9_SC_S9_NS6_11hip_rocprim9__find_if7functorIS9_EEEE10hipError_tPvRmT1_T2_T3_mT4_P12ihipStream_tbEUlT_E1_NS1_11comp_targetILNS1_3genE9ELNS1_11target_archE1100ELNS1_3gpuE3ELNS1_3repE0EEENS1_30default_config_static_selectorELNS0_4arch9wavefront6targetE0EEEvSK_
    .private_segment_fixed_size: 0
    .sgpr_count:     25
    .sgpr_spill_count: 0
    .symbol:         _ZN7rocprim17ROCPRIM_400000_NS6detail17trampoline_kernelINS0_14default_configENS1_22reduce_config_selectorIN6thrust23THRUST_200600_302600_NS5tupleIblNS6_9null_typeES8_S8_S8_S8_S8_S8_S8_EEEEZNS1_11reduce_implILb1ES3_PS9_SC_S9_NS6_11hip_rocprim9__find_if7functorIS9_EEEE10hipError_tPvRmT1_T2_T3_mT4_P12ihipStream_tbEUlT_E1_NS1_11comp_targetILNS1_3genE9ELNS1_11target_archE1100ELNS1_3gpuE3ELNS1_3repE0EEENS1_30default_config_static_selectorELNS0_4arch9wavefront6targetE0EEEvSK_.kd
    .uniform_work_group_size: 1
    .uses_dynamic_stack: false
    .vgpr_count:     30
    .vgpr_spill_count: 0
    .wavefront_size: 32
    .workgroup_processor_mode: 1
  - .args:
      - .offset:         0
        .size:           56
        .value_kind:     by_value
    .group_segment_fixed_size: 0
    .kernarg_segment_align: 8
    .kernarg_segment_size: 56
    .language:       OpenCL C
    .language_version:
      - 2
      - 0
    .max_flat_workgroup_size: 256
    .name:           _ZN7rocprim17ROCPRIM_400000_NS6detail17trampoline_kernelINS0_14default_configENS1_22reduce_config_selectorIN6thrust23THRUST_200600_302600_NS5tupleIblNS6_9null_typeES8_S8_S8_S8_S8_S8_S8_EEEEZNS1_11reduce_implILb1ES3_PS9_SC_S9_NS6_11hip_rocprim9__find_if7functorIS9_EEEE10hipError_tPvRmT1_T2_T3_mT4_P12ihipStream_tbEUlT_E1_NS1_11comp_targetILNS1_3genE8ELNS1_11target_archE1030ELNS1_3gpuE2ELNS1_3repE0EEENS1_30default_config_static_selectorELNS0_4arch9wavefront6targetE0EEEvSK_
    .private_segment_fixed_size: 0
    .sgpr_count:     0
    .sgpr_spill_count: 0
    .symbol:         _ZN7rocprim17ROCPRIM_400000_NS6detail17trampoline_kernelINS0_14default_configENS1_22reduce_config_selectorIN6thrust23THRUST_200600_302600_NS5tupleIblNS6_9null_typeES8_S8_S8_S8_S8_S8_S8_EEEEZNS1_11reduce_implILb1ES3_PS9_SC_S9_NS6_11hip_rocprim9__find_if7functorIS9_EEEE10hipError_tPvRmT1_T2_T3_mT4_P12ihipStream_tbEUlT_E1_NS1_11comp_targetILNS1_3genE8ELNS1_11target_archE1030ELNS1_3gpuE2ELNS1_3repE0EEENS1_30default_config_static_selectorELNS0_4arch9wavefront6targetE0EEEvSK_.kd
    .uniform_work_group_size: 1
    .uses_dynamic_stack: false
    .vgpr_count:     0
    .vgpr_spill_count: 0
    .wavefront_size: 32
    .workgroup_processor_mode: 1
  - .args:
      - .offset:         0
        .size:           104
        .value_kind:     by_value
    .group_segment_fixed_size: 0
    .kernarg_segment_align: 8
    .kernarg_segment_size: 104
    .language:       OpenCL C
    .language_version:
      - 2
      - 0
    .max_flat_workgroup_size: 128
    .name:           _ZN7rocprim17ROCPRIM_400000_NS6detail17trampoline_kernelINS0_14default_configENS1_22reduce_config_selectorIN6thrust23THRUST_200600_302600_NS5tupleIblNS6_9null_typeES8_S8_S8_S8_S8_S8_S8_EEEEZNS1_11reduce_implILb1ES3_NS6_12zip_iteratorINS7_INS6_11hip_rocprim26transform_input_iterator_tIbNSD_35transform_pair_of_input_iterators_tIbNS6_6detail15normal_iteratorINS6_10device_ptrIKdEEEESL_NS6_8equal_toIdEEEENSG_9not_fun_tINSD_8identityEEEEENSD_19counting_iterator_tIlEES8_S8_S8_S8_S8_S8_S8_S8_EEEEPS9_S9_NSD_9__find_if7functorIS9_EEEE10hipError_tPvRmT1_T2_T3_mT4_P12ihipStream_tbEUlT_E0_NS1_11comp_targetILNS1_3genE0ELNS1_11target_archE4294967295ELNS1_3gpuE0ELNS1_3repE0EEENS1_30default_config_static_selectorELNS0_4arch9wavefront6targetE0EEEvS14_
    .private_segment_fixed_size: 0
    .sgpr_count:     0
    .sgpr_spill_count: 0
    .symbol:         _ZN7rocprim17ROCPRIM_400000_NS6detail17trampoline_kernelINS0_14default_configENS1_22reduce_config_selectorIN6thrust23THRUST_200600_302600_NS5tupleIblNS6_9null_typeES8_S8_S8_S8_S8_S8_S8_EEEEZNS1_11reduce_implILb1ES3_NS6_12zip_iteratorINS7_INS6_11hip_rocprim26transform_input_iterator_tIbNSD_35transform_pair_of_input_iterators_tIbNS6_6detail15normal_iteratorINS6_10device_ptrIKdEEEESL_NS6_8equal_toIdEEEENSG_9not_fun_tINSD_8identityEEEEENSD_19counting_iterator_tIlEES8_S8_S8_S8_S8_S8_S8_S8_EEEEPS9_S9_NSD_9__find_if7functorIS9_EEEE10hipError_tPvRmT1_T2_T3_mT4_P12ihipStream_tbEUlT_E0_NS1_11comp_targetILNS1_3genE0ELNS1_11target_archE4294967295ELNS1_3gpuE0ELNS1_3repE0EEENS1_30default_config_static_selectorELNS0_4arch9wavefront6targetE0EEEvS14_.kd
    .uniform_work_group_size: 1
    .uses_dynamic_stack: false
    .vgpr_count:     0
    .vgpr_spill_count: 0
    .wavefront_size: 32
    .workgroup_processor_mode: 1
  - .args:
      - .offset:         0
        .size:           104
        .value_kind:     by_value
    .group_segment_fixed_size: 0
    .kernarg_segment_align: 8
    .kernarg_segment_size: 104
    .language:       OpenCL C
    .language_version:
      - 2
      - 0
    .max_flat_workgroup_size: 256
    .name:           _ZN7rocprim17ROCPRIM_400000_NS6detail17trampoline_kernelINS0_14default_configENS1_22reduce_config_selectorIN6thrust23THRUST_200600_302600_NS5tupleIblNS6_9null_typeES8_S8_S8_S8_S8_S8_S8_EEEEZNS1_11reduce_implILb1ES3_NS6_12zip_iteratorINS7_INS6_11hip_rocprim26transform_input_iterator_tIbNSD_35transform_pair_of_input_iterators_tIbNS6_6detail15normal_iteratorINS6_10device_ptrIKdEEEESL_NS6_8equal_toIdEEEENSG_9not_fun_tINSD_8identityEEEEENSD_19counting_iterator_tIlEES8_S8_S8_S8_S8_S8_S8_S8_EEEEPS9_S9_NSD_9__find_if7functorIS9_EEEE10hipError_tPvRmT1_T2_T3_mT4_P12ihipStream_tbEUlT_E0_NS1_11comp_targetILNS1_3genE5ELNS1_11target_archE942ELNS1_3gpuE9ELNS1_3repE0EEENS1_30default_config_static_selectorELNS0_4arch9wavefront6targetE0EEEvS14_
    .private_segment_fixed_size: 0
    .sgpr_count:     0
    .sgpr_spill_count: 0
    .symbol:         _ZN7rocprim17ROCPRIM_400000_NS6detail17trampoline_kernelINS0_14default_configENS1_22reduce_config_selectorIN6thrust23THRUST_200600_302600_NS5tupleIblNS6_9null_typeES8_S8_S8_S8_S8_S8_S8_EEEEZNS1_11reduce_implILb1ES3_NS6_12zip_iteratorINS7_INS6_11hip_rocprim26transform_input_iterator_tIbNSD_35transform_pair_of_input_iterators_tIbNS6_6detail15normal_iteratorINS6_10device_ptrIKdEEEESL_NS6_8equal_toIdEEEENSG_9not_fun_tINSD_8identityEEEEENSD_19counting_iterator_tIlEES8_S8_S8_S8_S8_S8_S8_S8_EEEEPS9_S9_NSD_9__find_if7functorIS9_EEEE10hipError_tPvRmT1_T2_T3_mT4_P12ihipStream_tbEUlT_E0_NS1_11comp_targetILNS1_3genE5ELNS1_11target_archE942ELNS1_3gpuE9ELNS1_3repE0EEENS1_30default_config_static_selectorELNS0_4arch9wavefront6targetE0EEEvS14_.kd
    .uniform_work_group_size: 1
    .uses_dynamic_stack: false
    .vgpr_count:     0
    .vgpr_spill_count: 0
    .wavefront_size: 32
    .workgroup_processor_mode: 1
  - .args:
      - .offset:         0
        .size:           104
        .value_kind:     by_value
    .group_segment_fixed_size: 0
    .kernarg_segment_align: 8
    .kernarg_segment_size: 104
    .language:       OpenCL C
    .language_version:
      - 2
      - 0
    .max_flat_workgroup_size: 256
    .name:           _ZN7rocprim17ROCPRIM_400000_NS6detail17trampoline_kernelINS0_14default_configENS1_22reduce_config_selectorIN6thrust23THRUST_200600_302600_NS5tupleIblNS6_9null_typeES8_S8_S8_S8_S8_S8_S8_EEEEZNS1_11reduce_implILb1ES3_NS6_12zip_iteratorINS7_INS6_11hip_rocprim26transform_input_iterator_tIbNSD_35transform_pair_of_input_iterators_tIbNS6_6detail15normal_iteratorINS6_10device_ptrIKdEEEESL_NS6_8equal_toIdEEEENSG_9not_fun_tINSD_8identityEEEEENSD_19counting_iterator_tIlEES8_S8_S8_S8_S8_S8_S8_S8_EEEEPS9_S9_NSD_9__find_if7functorIS9_EEEE10hipError_tPvRmT1_T2_T3_mT4_P12ihipStream_tbEUlT_E0_NS1_11comp_targetILNS1_3genE4ELNS1_11target_archE910ELNS1_3gpuE8ELNS1_3repE0EEENS1_30default_config_static_selectorELNS0_4arch9wavefront6targetE0EEEvS14_
    .private_segment_fixed_size: 0
    .sgpr_count:     0
    .sgpr_spill_count: 0
    .symbol:         _ZN7rocprim17ROCPRIM_400000_NS6detail17trampoline_kernelINS0_14default_configENS1_22reduce_config_selectorIN6thrust23THRUST_200600_302600_NS5tupleIblNS6_9null_typeES8_S8_S8_S8_S8_S8_S8_EEEEZNS1_11reduce_implILb1ES3_NS6_12zip_iteratorINS7_INS6_11hip_rocprim26transform_input_iterator_tIbNSD_35transform_pair_of_input_iterators_tIbNS6_6detail15normal_iteratorINS6_10device_ptrIKdEEEESL_NS6_8equal_toIdEEEENSG_9not_fun_tINSD_8identityEEEEENSD_19counting_iterator_tIlEES8_S8_S8_S8_S8_S8_S8_S8_EEEEPS9_S9_NSD_9__find_if7functorIS9_EEEE10hipError_tPvRmT1_T2_T3_mT4_P12ihipStream_tbEUlT_E0_NS1_11comp_targetILNS1_3genE4ELNS1_11target_archE910ELNS1_3gpuE8ELNS1_3repE0EEENS1_30default_config_static_selectorELNS0_4arch9wavefront6targetE0EEEvS14_.kd
    .uniform_work_group_size: 1
    .uses_dynamic_stack: false
    .vgpr_count:     0
    .vgpr_spill_count: 0
    .wavefront_size: 32
    .workgroup_processor_mode: 1
  - .args:
      - .offset:         0
        .size:           104
        .value_kind:     by_value
    .group_segment_fixed_size: 0
    .kernarg_segment_align: 8
    .kernarg_segment_size: 104
    .language:       OpenCL C
    .language_version:
      - 2
      - 0
    .max_flat_workgroup_size: 128
    .name:           _ZN7rocprim17ROCPRIM_400000_NS6detail17trampoline_kernelINS0_14default_configENS1_22reduce_config_selectorIN6thrust23THRUST_200600_302600_NS5tupleIblNS6_9null_typeES8_S8_S8_S8_S8_S8_S8_EEEEZNS1_11reduce_implILb1ES3_NS6_12zip_iteratorINS7_INS6_11hip_rocprim26transform_input_iterator_tIbNSD_35transform_pair_of_input_iterators_tIbNS6_6detail15normal_iteratorINS6_10device_ptrIKdEEEESL_NS6_8equal_toIdEEEENSG_9not_fun_tINSD_8identityEEEEENSD_19counting_iterator_tIlEES8_S8_S8_S8_S8_S8_S8_S8_EEEEPS9_S9_NSD_9__find_if7functorIS9_EEEE10hipError_tPvRmT1_T2_T3_mT4_P12ihipStream_tbEUlT_E0_NS1_11comp_targetILNS1_3genE3ELNS1_11target_archE908ELNS1_3gpuE7ELNS1_3repE0EEENS1_30default_config_static_selectorELNS0_4arch9wavefront6targetE0EEEvS14_
    .private_segment_fixed_size: 0
    .sgpr_count:     0
    .sgpr_spill_count: 0
    .symbol:         _ZN7rocprim17ROCPRIM_400000_NS6detail17trampoline_kernelINS0_14default_configENS1_22reduce_config_selectorIN6thrust23THRUST_200600_302600_NS5tupleIblNS6_9null_typeES8_S8_S8_S8_S8_S8_S8_EEEEZNS1_11reduce_implILb1ES3_NS6_12zip_iteratorINS7_INS6_11hip_rocprim26transform_input_iterator_tIbNSD_35transform_pair_of_input_iterators_tIbNS6_6detail15normal_iteratorINS6_10device_ptrIKdEEEESL_NS6_8equal_toIdEEEENSG_9not_fun_tINSD_8identityEEEEENSD_19counting_iterator_tIlEES8_S8_S8_S8_S8_S8_S8_S8_EEEEPS9_S9_NSD_9__find_if7functorIS9_EEEE10hipError_tPvRmT1_T2_T3_mT4_P12ihipStream_tbEUlT_E0_NS1_11comp_targetILNS1_3genE3ELNS1_11target_archE908ELNS1_3gpuE7ELNS1_3repE0EEENS1_30default_config_static_selectorELNS0_4arch9wavefront6targetE0EEEvS14_.kd
    .uniform_work_group_size: 1
    .uses_dynamic_stack: false
    .vgpr_count:     0
    .vgpr_spill_count: 0
    .wavefront_size: 32
    .workgroup_processor_mode: 1
  - .args:
      - .offset:         0
        .size:           104
        .value_kind:     by_value
    .group_segment_fixed_size: 0
    .kernarg_segment_align: 8
    .kernarg_segment_size: 104
    .language:       OpenCL C
    .language_version:
      - 2
      - 0
    .max_flat_workgroup_size: 128
    .name:           _ZN7rocprim17ROCPRIM_400000_NS6detail17trampoline_kernelINS0_14default_configENS1_22reduce_config_selectorIN6thrust23THRUST_200600_302600_NS5tupleIblNS6_9null_typeES8_S8_S8_S8_S8_S8_S8_EEEEZNS1_11reduce_implILb1ES3_NS6_12zip_iteratorINS7_INS6_11hip_rocprim26transform_input_iterator_tIbNSD_35transform_pair_of_input_iterators_tIbNS6_6detail15normal_iteratorINS6_10device_ptrIKdEEEESL_NS6_8equal_toIdEEEENSG_9not_fun_tINSD_8identityEEEEENSD_19counting_iterator_tIlEES8_S8_S8_S8_S8_S8_S8_S8_EEEEPS9_S9_NSD_9__find_if7functorIS9_EEEE10hipError_tPvRmT1_T2_T3_mT4_P12ihipStream_tbEUlT_E0_NS1_11comp_targetILNS1_3genE2ELNS1_11target_archE906ELNS1_3gpuE6ELNS1_3repE0EEENS1_30default_config_static_selectorELNS0_4arch9wavefront6targetE0EEEvS14_
    .private_segment_fixed_size: 0
    .sgpr_count:     0
    .sgpr_spill_count: 0
    .symbol:         _ZN7rocprim17ROCPRIM_400000_NS6detail17trampoline_kernelINS0_14default_configENS1_22reduce_config_selectorIN6thrust23THRUST_200600_302600_NS5tupleIblNS6_9null_typeES8_S8_S8_S8_S8_S8_S8_EEEEZNS1_11reduce_implILb1ES3_NS6_12zip_iteratorINS7_INS6_11hip_rocprim26transform_input_iterator_tIbNSD_35transform_pair_of_input_iterators_tIbNS6_6detail15normal_iteratorINS6_10device_ptrIKdEEEESL_NS6_8equal_toIdEEEENSG_9not_fun_tINSD_8identityEEEEENSD_19counting_iterator_tIlEES8_S8_S8_S8_S8_S8_S8_S8_EEEEPS9_S9_NSD_9__find_if7functorIS9_EEEE10hipError_tPvRmT1_T2_T3_mT4_P12ihipStream_tbEUlT_E0_NS1_11comp_targetILNS1_3genE2ELNS1_11target_archE906ELNS1_3gpuE6ELNS1_3repE0EEENS1_30default_config_static_selectorELNS0_4arch9wavefront6targetE0EEEvS14_.kd
    .uniform_work_group_size: 1
    .uses_dynamic_stack: false
    .vgpr_count:     0
    .vgpr_spill_count: 0
    .wavefront_size: 32
    .workgroup_processor_mode: 1
  - .args:
      - .offset:         0
        .size:           104
        .value_kind:     by_value
    .group_segment_fixed_size: 0
    .kernarg_segment_align: 8
    .kernarg_segment_size: 104
    .language:       OpenCL C
    .language_version:
      - 2
      - 0
    .max_flat_workgroup_size: 256
    .name:           _ZN7rocprim17ROCPRIM_400000_NS6detail17trampoline_kernelINS0_14default_configENS1_22reduce_config_selectorIN6thrust23THRUST_200600_302600_NS5tupleIblNS6_9null_typeES8_S8_S8_S8_S8_S8_S8_EEEEZNS1_11reduce_implILb1ES3_NS6_12zip_iteratorINS7_INS6_11hip_rocprim26transform_input_iterator_tIbNSD_35transform_pair_of_input_iterators_tIbNS6_6detail15normal_iteratorINS6_10device_ptrIKdEEEESL_NS6_8equal_toIdEEEENSG_9not_fun_tINSD_8identityEEEEENSD_19counting_iterator_tIlEES8_S8_S8_S8_S8_S8_S8_S8_EEEEPS9_S9_NSD_9__find_if7functorIS9_EEEE10hipError_tPvRmT1_T2_T3_mT4_P12ihipStream_tbEUlT_E0_NS1_11comp_targetILNS1_3genE10ELNS1_11target_archE1201ELNS1_3gpuE5ELNS1_3repE0EEENS1_30default_config_static_selectorELNS0_4arch9wavefront6targetE0EEEvS14_
    .private_segment_fixed_size: 0
    .sgpr_count:     0
    .sgpr_spill_count: 0
    .symbol:         _ZN7rocprim17ROCPRIM_400000_NS6detail17trampoline_kernelINS0_14default_configENS1_22reduce_config_selectorIN6thrust23THRUST_200600_302600_NS5tupleIblNS6_9null_typeES8_S8_S8_S8_S8_S8_S8_EEEEZNS1_11reduce_implILb1ES3_NS6_12zip_iteratorINS7_INS6_11hip_rocprim26transform_input_iterator_tIbNSD_35transform_pair_of_input_iterators_tIbNS6_6detail15normal_iteratorINS6_10device_ptrIKdEEEESL_NS6_8equal_toIdEEEENSG_9not_fun_tINSD_8identityEEEEENSD_19counting_iterator_tIlEES8_S8_S8_S8_S8_S8_S8_S8_EEEEPS9_S9_NSD_9__find_if7functorIS9_EEEE10hipError_tPvRmT1_T2_T3_mT4_P12ihipStream_tbEUlT_E0_NS1_11comp_targetILNS1_3genE10ELNS1_11target_archE1201ELNS1_3gpuE5ELNS1_3repE0EEENS1_30default_config_static_selectorELNS0_4arch9wavefront6targetE0EEEvS14_.kd
    .uniform_work_group_size: 1
    .uses_dynamic_stack: false
    .vgpr_count:     0
    .vgpr_spill_count: 0
    .wavefront_size: 32
    .workgroup_processor_mode: 1
  - .args:
      - .offset:         0
        .size:           104
        .value_kind:     by_value
    .group_segment_fixed_size: 0
    .kernarg_segment_align: 8
    .kernarg_segment_size: 104
    .language:       OpenCL C
    .language_version:
      - 2
      - 0
    .max_flat_workgroup_size: 256
    .name:           _ZN7rocprim17ROCPRIM_400000_NS6detail17trampoline_kernelINS0_14default_configENS1_22reduce_config_selectorIN6thrust23THRUST_200600_302600_NS5tupleIblNS6_9null_typeES8_S8_S8_S8_S8_S8_S8_EEEEZNS1_11reduce_implILb1ES3_NS6_12zip_iteratorINS7_INS6_11hip_rocprim26transform_input_iterator_tIbNSD_35transform_pair_of_input_iterators_tIbNS6_6detail15normal_iteratorINS6_10device_ptrIKdEEEESL_NS6_8equal_toIdEEEENSG_9not_fun_tINSD_8identityEEEEENSD_19counting_iterator_tIlEES8_S8_S8_S8_S8_S8_S8_S8_EEEEPS9_S9_NSD_9__find_if7functorIS9_EEEE10hipError_tPvRmT1_T2_T3_mT4_P12ihipStream_tbEUlT_E0_NS1_11comp_targetILNS1_3genE10ELNS1_11target_archE1200ELNS1_3gpuE4ELNS1_3repE0EEENS1_30default_config_static_selectorELNS0_4arch9wavefront6targetE0EEEvS14_
    .private_segment_fixed_size: 0
    .sgpr_count:     0
    .sgpr_spill_count: 0
    .symbol:         _ZN7rocprim17ROCPRIM_400000_NS6detail17trampoline_kernelINS0_14default_configENS1_22reduce_config_selectorIN6thrust23THRUST_200600_302600_NS5tupleIblNS6_9null_typeES8_S8_S8_S8_S8_S8_S8_EEEEZNS1_11reduce_implILb1ES3_NS6_12zip_iteratorINS7_INS6_11hip_rocprim26transform_input_iterator_tIbNSD_35transform_pair_of_input_iterators_tIbNS6_6detail15normal_iteratorINS6_10device_ptrIKdEEEESL_NS6_8equal_toIdEEEENSG_9not_fun_tINSD_8identityEEEEENSD_19counting_iterator_tIlEES8_S8_S8_S8_S8_S8_S8_S8_EEEEPS9_S9_NSD_9__find_if7functorIS9_EEEE10hipError_tPvRmT1_T2_T3_mT4_P12ihipStream_tbEUlT_E0_NS1_11comp_targetILNS1_3genE10ELNS1_11target_archE1200ELNS1_3gpuE4ELNS1_3repE0EEENS1_30default_config_static_selectorELNS0_4arch9wavefront6targetE0EEEvS14_.kd
    .uniform_work_group_size: 1
    .uses_dynamic_stack: false
    .vgpr_count:     0
    .vgpr_spill_count: 0
    .wavefront_size: 32
    .workgroup_processor_mode: 1
  - .args:
      - .offset:         0
        .size:           104
        .value_kind:     by_value
    .group_segment_fixed_size: 256
    .kernarg_segment_align: 8
    .kernarg_segment_size: 104
    .language:       OpenCL C
    .language_version:
      - 2
      - 0
    .max_flat_workgroup_size: 256
    .name:           _ZN7rocprim17ROCPRIM_400000_NS6detail17trampoline_kernelINS0_14default_configENS1_22reduce_config_selectorIN6thrust23THRUST_200600_302600_NS5tupleIblNS6_9null_typeES8_S8_S8_S8_S8_S8_S8_EEEEZNS1_11reduce_implILb1ES3_NS6_12zip_iteratorINS7_INS6_11hip_rocprim26transform_input_iterator_tIbNSD_35transform_pair_of_input_iterators_tIbNS6_6detail15normal_iteratorINS6_10device_ptrIKdEEEESL_NS6_8equal_toIdEEEENSG_9not_fun_tINSD_8identityEEEEENSD_19counting_iterator_tIlEES8_S8_S8_S8_S8_S8_S8_S8_EEEEPS9_S9_NSD_9__find_if7functorIS9_EEEE10hipError_tPvRmT1_T2_T3_mT4_P12ihipStream_tbEUlT_E0_NS1_11comp_targetILNS1_3genE9ELNS1_11target_archE1100ELNS1_3gpuE3ELNS1_3repE0EEENS1_30default_config_static_selectorELNS0_4arch9wavefront6targetE0EEEvS14_
    .private_segment_fixed_size: 0
    .sgpr_count:     30
    .sgpr_spill_count: 0
    .symbol:         _ZN7rocprim17ROCPRIM_400000_NS6detail17trampoline_kernelINS0_14default_configENS1_22reduce_config_selectorIN6thrust23THRUST_200600_302600_NS5tupleIblNS6_9null_typeES8_S8_S8_S8_S8_S8_S8_EEEEZNS1_11reduce_implILb1ES3_NS6_12zip_iteratorINS7_INS6_11hip_rocprim26transform_input_iterator_tIbNSD_35transform_pair_of_input_iterators_tIbNS6_6detail15normal_iteratorINS6_10device_ptrIKdEEEESL_NS6_8equal_toIdEEEENSG_9not_fun_tINSD_8identityEEEEENSD_19counting_iterator_tIlEES8_S8_S8_S8_S8_S8_S8_S8_EEEEPS9_S9_NSD_9__find_if7functorIS9_EEEE10hipError_tPvRmT1_T2_T3_mT4_P12ihipStream_tbEUlT_E0_NS1_11comp_targetILNS1_3genE9ELNS1_11target_archE1100ELNS1_3gpuE3ELNS1_3repE0EEENS1_30default_config_static_selectorELNS0_4arch9wavefront6targetE0EEEvS14_.kd
    .uniform_work_group_size: 1
    .uses_dynamic_stack: false
    .vgpr_count:     19
    .vgpr_spill_count: 0
    .wavefront_size: 32
    .workgroup_processor_mode: 1
  - .args:
      - .offset:         0
        .size:           104
        .value_kind:     by_value
    .group_segment_fixed_size: 0
    .kernarg_segment_align: 8
    .kernarg_segment_size: 104
    .language:       OpenCL C
    .language_version:
      - 2
      - 0
    .max_flat_workgroup_size: 256
    .name:           _ZN7rocprim17ROCPRIM_400000_NS6detail17trampoline_kernelINS0_14default_configENS1_22reduce_config_selectorIN6thrust23THRUST_200600_302600_NS5tupleIblNS6_9null_typeES8_S8_S8_S8_S8_S8_S8_EEEEZNS1_11reduce_implILb1ES3_NS6_12zip_iteratorINS7_INS6_11hip_rocprim26transform_input_iterator_tIbNSD_35transform_pair_of_input_iterators_tIbNS6_6detail15normal_iteratorINS6_10device_ptrIKdEEEESL_NS6_8equal_toIdEEEENSG_9not_fun_tINSD_8identityEEEEENSD_19counting_iterator_tIlEES8_S8_S8_S8_S8_S8_S8_S8_EEEEPS9_S9_NSD_9__find_if7functorIS9_EEEE10hipError_tPvRmT1_T2_T3_mT4_P12ihipStream_tbEUlT_E0_NS1_11comp_targetILNS1_3genE8ELNS1_11target_archE1030ELNS1_3gpuE2ELNS1_3repE0EEENS1_30default_config_static_selectorELNS0_4arch9wavefront6targetE0EEEvS14_
    .private_segment_fixed_size: 0
    .sgpr_count:     0
    .sgpr_spill_count: 0
    .symbol:         _ZN7rocprim17ROCPRIM_400000_NS6detail17trampoline_kernelINS0_14default_configENS1_22reduce_config_selectorIN6thrust23THRUST_200600_302600_NS5tupleIblNS6_9null_typeES8_S8_S8_S8_S8_S8_S8_EEEEZNS1_11reduce_implILb1ES3_NS6_12zip_iteratorINS7_INS6_11hip_rocprim26transform_input_iterator_tIbNSD_35transform_pair_of_input_iterators_tIbNS6_6detail15normal_iteratorINS6_10device_ptrIKdEEEESL_NS6_8equal_toIdEEEENSG_9not_fun_tINSD_8identityEEEEENSD_19counting_iterator_tIlEES8_S8_S8_S8_S8_S8_S8_S8_EEEEPS9_S9_NSD_9__find_if7functorIS9_EEEE10hipError_tPvRmT1_T2_T3_mT4_P12ihipStream_tbEUlT_E0_NS1_11comp_targetILNS1_3genE8ELNS1_11target_archE1030ELNS1_3gpuE2ELNS1_3repE0EEENS1_30default_config_static_selectorELNS0_4arch9wavefront6targetE0EEEvS14_.kd
    .uniform_work_group_size: 1
    .uses_dynamic_stack: false
    .vgpr_count:     0
    .vgpr_spill_count: 0
    .wavefront_size: 32
    .workgroup_processor_mode: 1
  - .args:
      - .offset:         0
        .size:           88
        .value_kind:     by_value
    .group_segment_fixed_size: 0
    .kernarg_segment_align: 8
    .kernarg_segment_size: 88
    .language:       OpenCL C
    .language_version:
      - 2
      - 0
    .max_flat_workgroup_size: 128
    .name:           _ZN7rocprim17ROCPRIM_400000_NS6detail17trampoline_kernelINS0_14default_configENS1_22reduce_config_selectorIN6thrust23THRUST_200600_302600_NS5tupleIblNS6_9null_typeES8_S8_S8_S8_S8_S8_S8_EEEEZNS1_11reduce_implILb1ES3_NS6_12zip_iteratorINS7_INS6_11hip_rocprim26transform_input_iterator_tIbNSD_35transform_pair_of_input_iterators_tIbNS6_6detail15normal_iteratorINS6_10device_ptrIKdEEEESL_NS6_8equal_toIdEEEENSG_9not_fun_tINSD_8identityEEEEENSD_19counting_iterator_tIlEES8_S8_S8_S8_S8_S8_S8_S8_EEEEPS9_S9_NSD_9__find_if7functorIS9_EEEE10hipError_tPvRmT1_T2_T3_mT4_P12ihipStream_tbEUlT_E1_NS1_11comp_targetILNS1_3genE0ELNS1_11target_archE4294967295ELNS1_3gpuE0ELNS1_3repE0EEENS1_30default_config_static_selectorELNS0_4arch9wavefront6targetE0EEEvS14_
    .private_segment_fixed_size: 0
    .sgpr_count:     0
    .sgpr_spill_count: 0
    .symbol:         _ZN7rocprim17ROCPRIM_400000_NS6detail17trampoline_kernelINS0_14default_configENS1_22reduce_config_selectorIN6thrust23THRUST_200600_302600_NS5tupleIblNS6_9null_typeES8_S8_S8_S8_S8_S8_S8_EEEEZNS1_11reduce_implILb1ES3_NS6_12zip_iteratorINS7_INS6_11hip_rocprim26transform_input_iterator_tIbNSD_35transform_pair_of_input_iterators_tIbNS6_6detail15normal_iteratorINS6_10device_ptrIKdEEEESL_NS6_8equal_toIdEEEENSG_9not_fun_tINSD_8identityEEEEENSD_19counting_iterator_tIlEES8_S8_S8_S8_S8_S8_S8_S8_EEEEPS9_S9_NSD_9__find_if7functorIS9_EEEE10hipError_tPvRmT1_T2_T3_mT4_P12ihipStream_tbEUlT_E1_NS1_11comp_targetILNS1_3genE0ELNS1_11target_archE4294967295ELNS1_3gpuE0ELNS1_3repE0EEENS1_30default_config_static_selectorELNS0_4arch9wavefront6targetE0EEEvS14_.kd
    .uniform_work_group_size: 1
    .uses_dynamic_stack: false
    .vgpr_count:     0
    .vgpr_spill_count: 0
    .wavefront_size: 32
    .workgroup_processor_mode: 1
  - .args:
      - .offset:         0
        .size:           88
        .value_kind:     by_value
    .group_segment_fixed_size: 0
    .kernarg_segment_align: 8
    .kernarg_segment_size: 88
    .language:       OpenCL C
    .language_version:
      - 2
      - 0
    .max_flat_workgroup_size: 256
    .name:           _ZN7rocprim17ROCPRIM_400000_NS6detail17trampoline_kernelINS0_14default_configENS1_22reduce_config_selectorIN6thrust23THRUST_200600_302600_NS5tupleIblNS6_9null_typeES8_S8_S8_S8_S8_S8_S8_EEEEZNS1_11reduce_implILb1ES3_NS6_12zip_iteratorINS7_INS6_11hip_rocprim26transform_input_iterator_tIbNSD_35transform_pair_of_input_iterators_tIbNS6_6detail15normal_iteratorINS6_10device_ptrIKdEEEESL_NS6_8equal_toIdEEEENSG_9not_fun_tINSD_8identityEEEEENSD_19counting_iterator_tIlEES8_S8_S8_S8_S8_S8_S8_S8_EEEEPS9_S9_NSD_9__find_if7functorIS9_EEEE10hipError_tPvRmT1_T2_T3_mT4_P12ihipStream_tbEUlT_E1_NS1_11comp_targetILNS1_3genE5ELNS1_11target_archE942ELNS1_3gpuE9ELNS1_3repE0EEENS1_30default_config_static_selectorELNS0_4arch9wavefront6targetE0EEEvS14_
    .private_segment_fixed_size: 0
    .sgpr_count:     0
    .sgpr_spill_count: 0
    .symbol:         _ZN7rocprim17ROCPRIM_400000_NS6detail17trampoline_kernelINS0_14default_configENS1_22reduce_config_selectorIN6thrust23THRUST_200600_302600_NS5tupleIblNS6_9null_typeES8_S8_S8_S8_S8_S8_S8_EEEEZNS1_11reduce_implILb1ES3_NS6_12zip_iteratorINS7_INS6_11hip_rocprim26transform_input_iterator_tIbNSD_35transform_pair_of_input_iterators_tIbNS6_6detail15normal_iteratorINS6_10device_ptrIKdEEEESL_NS6_8equal_toIdEEEENSG_9not_fun_tINSD_8identityEEEEENSD_19counting_iterator_tIlEES8_S8_S8_S8_S8_S8_S8_S8_EEEEPS9_S9_NSD_9__find_if7functorIS9_EEEE10hipError_tPvRmT1_T2_T3_mT4_P12ihipStream_tbEUlT_E1_NS1_11comp_targetILNS1_3genE5ELNS1_11target_archE942ELNS1_3gpuE9ELNS1_3repE0EEENS1_30default_config_static_selectorELNS0_4arch9wavefront6targetE0EEEvS14_.kd
    .uniform_work_group_size: 1
    .uses_dynamic_stack: false
    .vgpr_count:     0
    .vgpr_spill_count: 0
    .wavefront_size: 32
    .workgroup_processor_mode: 1
  - .args:
      - .offset:         0
        .size:           88
        .value_kind:     by_value
    .group_segment_fixed_size: 0
    .kernarg_segment_align: 8
    .kernarg_segment_size: 88
    .language:       OpenCL C
    .language_version:
      - 2
      - 0
    .max_flat_workgroup_size: 256
    .name:           _ZN7rocprim17ROCPRIM_400000_NS6detail17trampoline_kernelINS0_14default_configENS1_22reduce_config_selectorIN6thrust23THRUST_200600_302600_NS5tupleIblNS6_9null_typeES8_S8_S8_S8_S8_S8_S8_EEEEZNS1_11reduce_implILb1ES3_NS6_12zip_iteratorINS7_INS6_11hip_rocprim26transform_input_iterator_tIbNSD_35transform_pair_of_input_iterators_tIbNS6_6detail15normal_iteratorINS6_10device_ptrIKdEEEESL_NS6_8equal_toIdEEEENSG_9not_fun_tINSD_8identityEEEEENSD_19counting_iterator_tIlEES8_S8_S8_S8_S8_S8_S8_S8_EEEEPS9_S9_NSD_9__find_if7functorIS9_EEEE10hipError_tPvRmT1_T2_T3_mT4_P12ihipStream_tbEUlT_E1_NS1_11comp_targetILNS1_3genE4ELNS1_11target_archE910ELNS1_3gpuE8ELNS1_3repE0EEENS1_30default_config_static_selectorELNS0_4arch9wavefront6targetE0EEEvS14_
    .private_segment_fixed_size: 0
    .sgpr_count:     0
    .sgpr_spill_count: 0
    .symbol:         _ZN7rocprim17ROCPRIM_400000_NS6detail17trampoline_kernelINS0_14default_configENS1_22reduce_config_selectorIN6thrust23THRUST_200600_302600_NS5tupleIblNS6_9null_typeES8_S8_S8_S8_S8_S8_S8_EEEEZNS1_11reduce_implILb1ES3_NS6_12zip_iteratorINS7_INS6_11hip_rocprim26transform_input_iterator_tIbNSD_35transform_pair_of_input_iterators_tIbNS6_6detail15normal_iteratorINS6_10device_ptrIKdEEEESL_NS6_8equal_toIdEEEENSG_9not_fun_tINSD_8identityEEEEENSD_19counting_iterator_tIlEES8_S8_S8_S8_S8_S8_S8_S8_EEEEPS9_S9_NSD_9__find_if7functorIS9_EEEE10hipError_tPvRmT1_T2_T3_mT4_P12ihipStream_tbEUlT_E1_NS1_11comp_targetILNS1_3genE4ELNS1_11target_archE910ELNS1_3gpuE8ELNS1_3repE0EEENS1_30default_config_static_selectorELNS0_4arch9wavefront6targetE0EEEvS14_.kd
    .uniform_work_group_size: 1
    .uses_dynamic_stack: false
    .vgpr_count:     0
    .vgpr_spill_count: 0
    .wavefront_size: 32
    .workgroup_processor_mode: 1
  - .args:
      - .offset:         0
        .size:           88
        .value_kind:     by_value
    .group_segment_fixed_size: 0
    .kernarg_segment_align: 8
    .kernarg_segment_size: 88
    .language:       OpenCL C
    .language_version:
      - 2
      - 0
    .max_flat_workgroup_size: 128
    .name:           _ZN7rocprim17ROCPRIM_400000_NS6detail17trampoline_kernelINS0_14default_configENS1_22reduce_config_selectorIN6thrust23THRUST_200600_302600_NS5tupleIblNS6_9null_typeES8_S8_S8_S8_S8_S8_S8_EEEEZNS1_11reduce_implILb1ES3_NS6_12zip_iteratorINS7_INS6_11hip_rocprim26transform_input_iterator_tIbNSD_35transform_pair_of_input_iterators_tIbNS6_6detail15normal_iteratorINS6_10device_ptrIKdEEEESL_NS6_8equal_toIdEEEENSG_9not_fun_tINSD_8identityEEEEENSD_19counting_iterator_tIlEES8_S8_S8_S8_S8_S8_S8_S8_EEEEPS9_S9_NSD_9__find_if7functorIS9_EEEE10hipError_tPvRmT1_T2_T3_mT4_P12ihipStream_tbEUlT_E1_NS1_11comp_targetILNS1_3genE3ELNS1_11target_archE908ELNS1_3gpuE7ELNS1_3repE0EEENS1_30default_config_static_selectorELNS0_4arch9wavefront6targetE0EEEvS14_
    .private_segment_fixed_size: 0
    .sgpr_count:     0
    .sgpr_spill_count: 0
    .symbol:         _ZN7rocprim17ROCPRIM_400000_NS6detail17trampoline_kernelINS0_14default_configENS1_22reduce_config_selectorIN6thrust23THRUST_200600_302600_NS5tupleIblNS6_9null_typeES8_S8_S8_S8_S8_S8_S8_EEEEZNS1_11reduce_implILb1ES3_NS6_12zip_iteratorINS7_INS6_11hip_rocprim26transform_input_iterator_tIbNSD_35transform_pair_of_input_iterators_tIbNS6_6detail15normal_iteratorINS6_10device_ptrIKdEEEESL_NS6_8equal_toIdEEEENSG_9not_fun_tINSD_8identityEEEEENSD_19counting_iterator_tIlEES8_S8_S8_S8_S8_S8_S8_S8_EEEEPS9_S9_NSD_9__find_if7functorIS9_EEEE10hipError_tPvRmT1_T2_T3_mT4_P12ihipStream_tbEUlT_E1_NS1_11comp_targetILNS1_3genE3ELNS1_11target_archE908ELNS1_3gpuE7ELNS1_3repE0EEENS1_30default_config_static_selectorELNS0_4arch9wavefront6targetE0EEEvS14_.kd
    .uniform_work_group_size: 1
    .uses_dynamic_stack: false
    .vgpr_count:     0
    .vgpr_spill_count: 0
    .wavefront_size: 32
    .workgroup_processor_mode: 1
  - .args:
      - .offset:         0
        .size:           88
        .value_kind:     by_value
    .group_segment_fixed_size: 0
    .kernarg_segment_align: 8
    .kernarg_segment_size: 88
    .language:       OpenCL C
    .language_version:
      - 2
      - 0
    .max_flat_workgroup_size: 128
    .name:           _ZN7rocprim17ROCPRIM_400000_NS6detail17trampoline_kernelINS0_14default_configENS1_22reduce_config_selectorIN6thrust23THRUST_200600_302600_NS5tupleIblNS6_9null_typeES8_S8_S8_S8_S8_S8_S8_EEEEZNS1_11reduce_implILb1ES3_NS6_12zip_iteratorINS7_INS6_11hip_rocprim26transform_input_iterator_tIbNSD_35transform_pair_of_input_iterators_tIbNS6_6detail15normal_iteratorINS6_10device_ptrIKdEEEESL_NS6_8equal_toIdEEEENSG_9not_fun_tINSD_8identityEEEEENSD_19counting_iterator_tIlEES8_S8_S8_S8_S8_S8_S8_S8_EEEEPS9_S9_NSD_9__find_if7functorIS9_EEEE10hipError_tPvRmT1_T2_T3_mT4_P12ihipStream_tbEUlT_E1_NS1_11comp_targetILNS1_3genE2ELNS1_11target_archE906ELNS1_3gpuE6ELNS1_3repE0EEENS1_30default_config_static_selectorELNS0_4arch9wavefront6targetE0EEEvS14_
    .private_segment_fixed_size: 0
    .sgpr_count:     0
    .sgpr_spill_count: 0
    .symbol:         _ZN7rocprim17ROCPRIM_400000_NS6detail17trampoline_kernelINS0_14default_configENS1_22reduce_config_selectorIN6thrust23THRUST_200600_302600_NS5tupleIblNS6_9null_typeES8_S8_S8_S8_S8_S8_S8_EEEEZNS1_11reduce_implILb1ES3_NS6_12zip_iteratorINS7_INS6_11hip_rocprim26transform_input_iterator_tIbNSD_35transform_pair_of_input_iterators_tIbNS6_6detail15normal_iteratorINS6_10device_ptrIKdEEEESL_NS6_8equal_toIdEEEENSG_9not_fun_tINSD_8identityEEEEENSD_19counting_iterator_tIlEES8_S8_S8_S8_S8_S8_S8_S8_EEEEPS9_S9_NSD_9__find_if7functorIS9_EEEE10hipError_tPvRmT1_T2_T3_mT4_P12ihipStream_tbEUlT_E1_NS1_11comp_targetILNS1_3genE2ELNS1_11target_archE906ELNS1_3gpuE6ELNS1_3repE0EEENS1_30default_config_static_selectorELNS0_4arch9wavefront6targetE0EEEvS14_.kd
    .uniform_work_group_size: 1
    .uses_dynamic_stack: false
    .vgpr_count:     0
    .vgpr_spill_count: 0
    .wavefront_size: 32
    .workgroup_processor_mode: 1
  - .args:
      - .offset:         0
        .size:           88
        .value_kind:     by_value
    .group_segment_fixed_size: 0
    .kernarg_segment_align: 8
    .kernarg_segment_size: 88
    .language:       OpenCL C
    .language_version:
      - 2
      - 0
    .max_flat_workgroup_size: 256
    .name:           _ZN7rocprim17ROCPRIM_400000_NS6detail17trampoline_kernelINS0_14default_configENS1_22reduce_config_selectorIN6thrust23THRUST_200600_302600_NS5tupleIblNS6_9null_typeES8_S8_S8_S8_S8_S8_S8_EEEEZNS1_11reduce_implILb1ES3_NS6_12zip_iteratorINS7_INS6_11hip_rocprim26transform_input_iterator_tIbNSD_35transform_pair_of_input_iterators_tIbNS6_6detail15normal_iteratorINS6_10device_ptrIKdEEEESL_NS6_8equal_toIdEEEENSG_9not_fun_tINSD_8identityEEEEENSD_19counting_iterator_tIlEES8_S8_S8_S8_S8_S8_S8_S8_EEEEPS9_S9_NSD_9__find_if7functorIS9_EEEE10hipError_tPvRmT1_T2_T3_mT4_P12ihipStream_tbEUlT_E1_NS1_11comp_targetILNS1_3genE10ELNS1_11target_archE1201ELNS1_3gpuE5ELNS1_3repE0EEENS1_30default_config_static_selectorELNS0_4arch9wavefront6targetE0EEEvS14_
    .private_segment_fixed_size: 0
    .sgpr_count:     0
    .sgpr_spill_count: 0
    .symbol:         _ZN7rocprim17ROCPRIM_400000_NS6detail17trampoline_kernelINS0_14default_configENS1_22reduce_config_selectorIN6thrust23THRUST_200600_302600_NS5tupleIblNS6_9null_typeES8_S8_S8_S8_S8_S8_S8_EEEEZNS1_11reduce_implILb1ES3_NS6_12zip_iteratorINS7_INS6_11hip_rocprim26transform_input_iterator_tIbNSD_35transform_pair_of_input_iterators_tIbNS6_6detail15normal_iteratorINS6_10device_ptrIKdEEEESL_NS6_8equal_toIdEEEENSG_9not_fun_tINSD_8identityEEEEENSD_19counting_iterator_tIlEES8_S8_S8_S8_S8_S8_S8_S8_EEEEPS9_S9_NSD_9__find_if7functorIS9_EEEE10hipError_tPvRmT1_T2_T3_mT4_P12ihipStream_tbEUlT_E1_NS1_11comp_targetILNS1_3genE10ELNS1_11target_archE1201ELNS1_3gpuE5ELNS1_3repE0EEENS1_30default_config_static_selectorELNS0_4arch9wavefront6targetE0EEEvS14_.kd
    .uniform_work_group_size: 1
    .uses_dynamic_stack: false
    .vgpr_count:     0
    .vgpr_spill_count: 0
    .wavefront_size: 32
    .workgroup_processor_mode: 1
  - .args:
      - .offset:         0
        .size:           88
        .value_kind:     by_value
    .group_segment_fixed_size: 0
    .kernarg_segment_align: 8
    .kernarg_segment_size: 88
    .language:       OpenCL C
    .language_version:
      - 2
      - 0
    .max_flat_workgroup_size: 256
    .name:           _ZN7rocprim17ROCPRIM_400000_NS6detail17trampoline_kernelINS0_14default_configENS1_22reduce_config_selectorIN6thrust23THRUST_200600_302600_NS5tupleIblNS6_9null_typeES8_S8_S8_S8_S8_S8_S8_EEEEZNS1_11reduce_implILb1ES3_NS6_12zip_iteratorINS7_INS6_11hip_rocprim26transform_input_iterator_tIbNSD_35transform_pair_of_input_iterators_tIbNS6_6detail15normal_iteratorINS6_10device_ptrIKdEEEESL_NS6_8equal_toIdEEEENSG_9not_fun_tINSD_8identityEEEEENSD_19counting_iterator_tIlEES8_S8_S8_S8_S8_S8_S8_S8_EEEEPS9_S9_NSD_9__find_if7functorIS9_EEEE10hipError_tPvRmT1_T2_T3_mT4_P12ihipStream_tbEUlT_E1_NS1_11comp_targetILNS1_3genE10ELNS1_11target_archE1200ELNS1_3gpuE4ELNS1_3repE0EEENS1_30default_config_static_selectorELNS0_4arch9wavefront6targetE0EEEvS14_
    .private_segment_fixed_size: 0
    .sgpr_count:     0
    .sgpr_spill_count: 0
    .symbol:         _ZN7rocprim17ROCPRIM_400000_NS6detail17trampoline_kernelINS0_14default_configENS1_22reduce_config_selectorIN6thrust23THRUST_200600_302600_NS5tupleIblNS6_9null_typeES8_S8_S8_S8_S8_S8_S8_EEEEZNS1_11reduce_implILb1ES3_NS6_12zip_iteratorINS7_INS6_11hip_rocprim26transform_input_iterator_tIbNSD_35transform_pair_of_input_iterators_tIbNS6_6detail15normal_iteratorINS6_10device_ptrIKdEEEESL_NS6_8equal_toIdEEEENSG_9not_fun_tINSD_8identityEEEEENSD_19counting_iterator_tIlEES8_S8_S8_S8_S8_S8_S8_S8_EEEEPS9_S9_NSD_9__find_if7functorIS9_EEEE10hipError_tPvRmT1_T2_T3_mT4_P12ihipStream_tbEUlT_E1_NS1_11comp_targetILNS1_3genE10ELNS1_11target_archE1200ELNS1_3gpuE4ELNS1_3repE0EEENS1_30default_config_static_selectorELNS0_4arch9wavefront6targetE0EEEvS14_.kd
    .uniform_work_group_size: 1
    .uses_dynamic_stack: false
    .vgpr_count:     0
    .vgpr_spill_count: 0
    .wavefront_size: 32
    .workgroup_processor_mode: 1
  - .args:
      - .offset:         0
        .size:           88
        .value_kind:     by_value
    .group_segment_fixed_size: 640
    .kernarg_segment_align: 8
    .kernarg_segment_size: 88
    .language:       OpenCL C
    .language_version:
      - 2
      - 0
    .max_flat_workgroup_size: 256
    .name:           _ZN7rocprim17ROCPRIM_400000_NS6detail17trampoline_kernelINS0_14default_configENS1_22reduce_config_selectorIN6thrust23THRUST_200600_302600_NS5tupleIblNS6_9null_typeES8_S8_S8_S8_S8_S8_S8_EEEEZNS1_11reduce_implILb1ES3_NS6_12zip_iteratorINS7_INS6_11hip_rocprim26transform_input_iterator_tIbNSD_35transform_pair_of_input_iterators_tIbNS6_6detail15normal_iteratorINS6_10device_ptrIKdEEEESL_NS6_8equal_toIdEEEENSG_9not_fun_tINSD_8identityEEEEENSD_19counting_iterator_tIlEES8_S8_S8_S8_S8_S8_S8_S8_EEEEPS9_S9_NSD_9__find_if7functorIS9_EEEE10hipError_tPvRmT1_T2_T3_mT4_P12ihipStream_tbEUlT_E1_NS1_11comp_targetILNS1_3genE9ELNS1_11target_archE1100ELNS1_3gpuE3ELNS1_3repE0EEENS1_30default_config_static_selectorELNS0_4arch9wavefront6targetE0EEEvS14_
    .private_segment_fixed_size: 0
    .sgpr_count:     34
    .sgpr_spill_count: 0
    .symbol:         _ZN7rocprim17ROCPRIM_400000_NS6detail17trampoline_kernelINS0_14default_configENS1_22reduce_config_selectorIN6thrust23THRUST_200600_302600_NS5tupleIblNS6_9null_typeES8_S8_S8_S8_S8_S8_S8_EEEEZNS1_11reduce_implILb1ES3_NS6_12zip_iteratorINS7_INS6_11hip_rocprim26transform_input_iterator_tIbNSD_35transform_pair_of_input_iterators_tIbNS6_6detail15normal_iteratorINS6_10device_ptrIKdEEEESL_NS6_8equal_toIdEEEENSG_9not_fun_tINSD_8identityEEEEENSD_19counting_iterator_tIlEES8_S8_S8_S8_S8_S8_S8_S8_EEEEPS9_S9_NSD_9__find_if7functorIS9_EEEE10hipError_tPvRmT1_T2_T3_mT4_P12ihipStream_tbEUlT_E1_NS1_11comp_targetILNS1_3genE9ELNS1_11target_archE1100ELNS1_3gpuE3ELNS1_3repE0EEENS1_30default_config_static_selectorELNS0_4arch9wavefront6targetE0EEEvS14_.kd
    .uniform_work_group_size: 1
    .uses_dynamic_stack: false
    .vgpr_count:     34
    .vgpr_spill_count: 0
    .wavefront_size: 32
    .workgroup_processor_mode: 1
  - .args:
      - .offset:         0
        .size:           88
        .value_kind:     by_value
    .group_segment_fixed_size: 0
    .kernarg_segment_align: 8
    .kernarg_segment_size: 88
    .language:       OpenCL C
    .language_version:
      - 2
      - 0
    .max_flat_workgroup_size: 256
    .name:           _ZN7rocprim17ROCPRIM_400000_NS6detail17trampoline_kernelINS0_14default_configENS1_22reduce_config_selectorIN6thrust23THRUST_200600_302600_NS5tupleIblNS6_9null_typeES8_S8_S8_S8_S8_S8_S8_EEEEZNS1_11reduce_implILb1ES3_NS6_12zip_iteratorINS7_INS6_11hip_rocprim26transform_input_iterator_tIbNSD_35transform_pair_of_input_iterators_tIbNS6_6detail15normal_iteratorINS6_10device_ptrIKdEEEESL_NS6_8equal_toIdEEEENSG_9not_fun_tINSD_8identityEEEEENSD_19counting_iterator_tIlEES8_S8_S8_S8_S8_S8_S8_S8_EEEEPS9_S9_NSD_9__find_if7functorIS9_EEEE10hipError_tPvRmT1_T2_T3_mT4_P12ihipStream_tbEUlT_E1_NS1_11comp_targetILNS1_3genE8ELNS1_11target_archE1030ELNS1_3gpuE2ELNS1_3repE0EEENS1_30default_config_static_selectorELNS0_4arch9wavefront6targetE0EEEvS14_
    .private_segment_fixed_size: 0
    .sgpr_count:     0
    .sgpr_spill_count: 0
    .symbol:         _ZN7rocprim17ROCPRIM_400000_NS6detail17trampoline_kernelINS0_14default_configENS1_22reduce_config_selectorIN6thrust23THRUST_200600_302600_NS5tupleIblNS6_9null_typeES8_S8_S8_S8_S8_S8_S8_EEEEZNS1_11reduce_implILb1ES3_NS6_12zip_iteratorINS7_INS6_11hip_rocprim26transform_input_iterator_tIbNSD_35transform_pair_of_input_iterators_tIbNS6_6detail15normal_iteratorINS6_10device_ptrIKdEEEESL_NS6_8equal_toIdEEEENSG_9not_fun_tINSD_8identityEEEEENSD_19counting_iterator_tIlEES8_S8_S8_S8_S8_S8_S8_S8_EEEEPS9_S9_NSD_9__find_if7functorIS9_EEEE10hipError_tPvRmT1_T2_T3_mT4_P12ihipStream_tbEUlT_E1_NS1_11comp_targetILNS1_3genE8ELNS1_11target_archE1030ELNS1_3gpuE2ELNS1_3repE0EEENS1_30default_config_static_selectorELNS0_4arch9wavefront6targetE0EEEvS14_.kd
    .uniform_work_group_size: 1
    .uses_dynamic_stack: false
    .vgpr_count:     0
    .vgpr_spill_count: 0
    .wavefront_size: 32
    .workgroup_processor_mode: 1
  - .args:
      - .offset:         0
        .size:           16
        .value_kind:     by_value
      - .offset:         16
        .size:           8
        .value_kind:     by_value
      - .offset:         24
        .size:           8
        .value_kind:     by_value
    .group_segment_fixed_size: 0
    .kernarg_segment_align: 8
    .kernarg_segment_size: 32
    .language:       OpenCL C
    .language_version:
      - 2
      - 0
    .max_flat_workgroup_size: 256
    .name:           _ZN6thrust23THRUST_200600_302600_NS11hip_rocprim14__parallel_for6kernelILj256ENS1_10for_each_fINS0_7pointerINS0_5tupleIblNS0_9null_typeES7_S7_S7_S7_S7_S7_S7_EENS1_3tagENS0_11use_defaultESA_EENS0_6detail16wrapped_functionINSC_23allocator_traits_detail24construct1_via_allocatorINSC_18no_throw_allocatorINSC_19temporary_allocatorIS8_S9_EEEEEEvEEEEmLj1EEEvT0_T1_SO_
    .private_segment_fixed_size: 0
    .sgpr_count:     18
    .sgpr_spill_count: 0
    .symbol:         _ZN6thrust23THRUST_200600_302600_NS11hip_rocprim14__parallel_for6kernelILj256ENS1_10for_each_fINS0_7pointerINS0_5tupleIblNS0_9null_typeES7_S7_S7_S7_S7_S7_S7_EENS1_3tagENS0_11use_defaultESA_EENS0_6detail16wrapped_functionINSC_23allocator_traits_detail24construct1_via_allocatorINSC_18no_throw_allocatorINSC_19temporary_allocatorIS8_S9_EEEEEEvEEEEmLj1EEEvT0_T1_SO_.kd
    .uniform_work_group_size: 1
    .uses_dynamic_stack: false
    .vgpr_count:     5
    .vgpr_spill_count: 0
    .wavefront_size: 32
    .workgroup_processor_mode: 1
  - .args:
      - .offset:         0
        .size:           16
        .value_kind:     by_value
      - .offset:         16
        .size:           8
        .value_kind:     by_value
      - .offset:         24
        .size:           8
        .value_kind:     by_value
    .group_segment_fixed_size: 0
    .kernarg_segment_align: 8
    .kernarg_segment_size: 32
    .language:       OpenCL C
    .language_version:
      - 2
      - 0
    .max_flat_workgroup_size: 256
    .name:           _ZN6thrust23THRUST_200600_302600_NS11hip_rocprim14__parallel_for6kernelILj256ENS1_10for_each_fINS0_7pointerINS0_5tupleIblNS0_9null_typeES7_S7_S7_S7_S7_S7_S7_EENS1_3tagENS0_11use_defaultESA_EENS0_6detail16wrapped_functionINSC_23allocator_traits_detail5gozerEvEEEElLj1EEEvT0_T1_SJ_
    .private_segment_fixed_size: 0
    .sgpr_count:     0
    .sgpr_spill_count: 0
    .symbol:         _ZN6thrust23THRUST_200600_302600_NS11hip_rocprim14__parallel_for6kernelILj256ENS1_10for_each_fINS0_7pointerINS0_5tupleIblNS0_9null_typeES7_S7_S7_S7_S7_S7_S7_EENS1_3tagENS0_11use_defaultESA_EENS0_6detail16wrapped_functionINSC_23allocator_traits_detail5gozerEvEEEElLj1EEEvT0_T1_SJ_.kd
    .uniform_work_group_size: 1
    .uses_dynamic_stack: false
    .vgpr_count:     0
    .vgpr_spill_count: 0
    .wavefront_size: 32
    .workgroup_processor_mode: 1
  - .args:
      - .offset:         0
        .size:           16
        .value_kind:     by_value
      - .offset:         16
        .size:           8
        .value_kind:     by_value
      - .offset:         24
        .size:           8
        .value_kind:     by_value
    .group_segment_fixed_size: 0
    .kernarg_segment_align: 8
    .kernarg_segment_size: 32
    .language:       OpenCL C
    .language_version:
      - 2
      - 0
    .max_flat_workgroup_size: 256
    .name:           _ZN6thrust23THRUST_200600_302600_NS11hip_rocprim14__parallel_for6kernelILj256ENS1_20__uninitialized_copy7functorIPNS0_5tupleIblNS0_9null_typeES7_S7_S7_S7_S7_S7_S7_EENS0_7pointerIS8_NS1_3tagENS0_11use_defaultESC_EEEEmLj1EEEvT0_T1_SG_
    .private_segment_fixed_size: 0
    .sgpr_count:     18
    .sgpr_spill_count: 0
    .symbol:         _ZN6thrust23THRUST_200600_302600_NS11hip_rocprim14__parallel_for6kernelILj256ENS1_20__uninitialized_copy7functorIPNS0_5tupleIblNS0_9null_typeES7_S7_S7_S7_S7_S7_S7_EENS0_7pointerIS8_NS1_3tagENS0_11use_defaultESC_EEEEmLj1EEEvT0_T1_SG_.kd
    .uniform_work_group_size: 1
    .uses_dynamic_stack: false
    .vgpr_count:     7
    .vgpr_spill_count: 0
    .wavefront_size: 32
    .workgroup_processor_mode: 1
  - .args:
      - .offset:         0
        .size:           104
        .value_kind:     by_value
    .group_segment_fixed_size: 0
    .kernarg_segment_align: 8
    .kernarg_segment_size: 104
    .language:       OpenCL C
    .language_version:
      - 2
      - 0
    .max_flat_workgroup_size: 128
    .name:           _ZN7rocprim17ROCPRIM_400000_NS6detail17trampoline_kernelINS0_14default_configENS1_22reduce_config_selectorIN6thrust23THRUST_200600_302600_NS5tupleIblNS6_9null_typeES8_S8_S8_S8_S8_S8_S8_EEEEZNS1_11reduce_implILb1ES3_NS6_12zip_iteratorINS7_INS6_11hip_rocprim26transform_input_iterator_tIbNSD_35transform_pair_of_input_iterators_tIbNS6_6detail15normal_iteratorINS6_10device_ptrIKfEEEESL_NS6_8equal_toIfEEEENSG_9not_fun_tINSD_8identityEEEEENSD_19counting_iterator_tIlEES8_S8_S8_S8_S8_S8_S8_S8_EEEEPS9_S9_NSD_9__find_if7functorIS9_EEEE10hipError_tPvRmT1_T2_T3_mT4_P12ihipStream_tbEUlT_E0_NS1_11comp_targetILNS1_3genE0ELNS1_11target_archE4294967295ELNS1_3gpuE0ELNS1_3repE0EEENS1_30default_config_static_selectorELNS0_4arch9wavefront6targetE0EEEvS14_
    .private_segment_fixed_size: 0
    .sgpr_count:     0
    .sgpr_spill_count: 0
    .symbol:         _ZN7rocprim17ROCPRIM_400000_NS6detail17trampoline_kernelINS0_14default_configENS1_22reduce_config_selectorIN6thrust23THRUST_200600_302600_NS5tupleIblNS6_9null_typeES8_S8_S8_S8_S8_S8_S8_EEEEZNS1_11reduce_implILb1ES3_NS6_12zip_iteratorINS7_INS6_11hip_rocprim26transform_input_iterator_tIbNSD_35transform_pair_of_input_iterators_tIbNS6_6detail15normal_iteratorINS6_10device_ptrIKfEEEESL_NS6_8equal_toIfEEEENSG_9not_fun_tINSD_8identityEEEEENSD_19counting_iterator_tIlEES8_S8_S8_S8_S8_S8_S8_S8_EEEEPS9_S9_NSD_9__find_if7functorIS9_EEEE10hipError_tPvRmT1_T2_T3_mT4_P12ihipStream_tbEUlT_E0_NS1_11comp_targetILNS1_3genE0ELNS1_11target_archE4294967295ELNS1_3gpuE0ELNS1_3repE0EEENS1_30default_config_static_selectorELNS0_4arch9wavefront6targetE0EEEvS14_.kd
    .uniform_work_group_size: 1
    .uses_dynamic_stack: false
    .vgpr_count:     0
    .vgpr_spill_count: 0
    .wavefront_size: 32
    .workgroup_processor_mode: 1
  - .args:
      - .offset:         0
        .size:           104
        .value_kind:     by_value
    .group_segment_fixed_size: 0
    .kernarg_segment_align: 8
    .kernarg_segment_size: 104
    .language:       OpenCL C
    .language_version:
      - 2
      - 0
    .max_flat_workgroup_size: 256
    .name:           _ZN7rocprim17ROCPRIM_400000_NS6detail17trampoline_kernelINS0_14default_configENS1_22reduce_config_selectorIN6thrust23THRUST_200600_302600_NS5tupleIblNS6_9null_typeES8_S8_S8_S8_S8_S8_S8_EEEEZNS1_11reduce_implILb1ES3_NS6_12zip_iteratorINS7_INS6_11hip_rocprim26transform_input_iterator_tIbNSD_35transform_pair_of_input_iterators_tIbNS6_6detail15normal_iteratorINS6_10device_ptrIKfEEEESL_NS6_8equal_toIfEEEENSG_9not_fun_tINSD_8identityEEEEENSD_19counting_iterator_tIlEES8_S8_S8_S8_S8_S8_S8_S8_EEEEPS9_S9_NSD_9__find_if7functorIS9_EEEE10hipError_tPvRmT1_T2_T3_mT4_P12ihipStream_tbEUlT_E0_NS1_11comp_targetILNS1_3genE5ELNS1_11target_archE942ELNS1_3gpuE9ELNS1_3repE0EEENS1_30default_config_static_selectorELNS0_4arch9wavefront6targetE0EEEvS14_
    .private_segment_fixed_size: 0
    .sgpr_count:     0
    .sgpr_spill_count: 0
    .symbol:         _ZN7rocprim17ROCPRIM_400000_NS6detail17trampoline_kernelINS0_14default_configENS1_22reduce_config_selectorIN6thrust23THRUST_200600_302600_NS5tupleIblNS6_9null_typeES8_S8_S8_S8_S8_S8_S8_EEEEZNS1_11reduce_implILb1ES3_NS6_12zip_iteratorINS7_INS6_11hip_rocprim26transform_input_iterator_tIbNSD_35transform_pair_of_input_iterators_tIbNS6_6detail15normal_iteratorINS6_10device_ptrIKfEEEESL_NS6_8equal_toIfEEEENSG_9not_fun_tINSD_8identityEEEEENSD_19counting_iterator_tIlEES8_S8_S8_S8_S8_S8_S8_S8_EEEEPS9_S9_NSD_9__find_if7functorIS9_EEEE10hipError_tPvRmT1_T2_T3_mT4_P12ihipStream_tbEUlT_E0_NS1_11comp_targetILNS1_3genE5ELNS1_11target_archE942ELNS1_3gpuE9ELNS1_3repE0EEENS1_30default_config_static_selectorELNS0_4arch9wavefront6targetE0EEEvS14_.kd
    .uniform_work_group_size: 1
    .uses_dynamic_stack: false
    .vgpr_count:     0
    .vgpr_spill_count: 0
    .wavefront_size: 32
    .workgroup_processor_mode: 1
  - .args:
      - .offset:         0
        .size:           104
        .value_kind:     by_value
    .group_segment_fixed_size: 0
    .kernarg_segment_align: 8
    .kernarg_segment_size: 104
    .language:       OpenCL C
    .language_version:
      - 2
      - 0
    .max_flat_workgroup_size: 256
    .name:           _ZN7rocprim17ROCPRIM_400000_NS6detail17trampoline_kernelINS0_14default_configENS1_22reduce_config_selectorIN6thrust23THRUST_200600_302600_NS5tupleIblNS6_9null_typeES8_S8_S8_S8_S8_S8_S8_EEEEZNS1_11reduce_implILb1ES3_NS6_12zip_iteratorINS7_INS6_11hip_rocprim26transform_input_iterator_tIbNSD_35transform_pair_of_input_iterators_tIbNS6_6detail15normal_iteratorINS6_10device_ptrIKfEEEESL_NS6_8equal_toIfEEEENSG_9not_fun_tINSD_8identityEEEEENSD_19counting_iterator_tIlEES8_S8_S8_S8_S8_S8_S8_S8_EEEEPS9_S9_NSD_9__find_if7functorIS9_EEEE10hipError_tPvRmT1_T2_T3_mT4_P12ihipStream_tbEUlT_E0_NS1_11comp_targetILNS1_3genE4ELNS1_11target_archE910ELNS1_3gpuE8ELNS1_3repE0EEENS1_30default_config_static_selectorELNS0_4arch9wavefront6targetE0EEEvS14_
    .private_segment_fixed_size: 0
    .sgpr_count:     0
    .sgpr_spill_count: 0
    .symbol:         _ZN7rocprim17ROCPRIM_400000_NS6detail17trampoline_kernelINS0_14default_configENS1_22reduce_config_selectorIN6thrust23THRUST_200600_302600_NS5tupleIblNS6_9null_typeES8_S8_S8_S8_S8_S8_S8_EEEEZNS1_11reduce_implILb1ES3_NS6_12zip_iteratorINS7_INS6_11hip_rocprim26transform_input_iterator_tIbNSD_35transform_pair_of_input_iterators_tIbNS6_6detail15normal_iteratorINS6_10device_ptrIKfEEEESL_NS6_8equal_toIfEEEENSG_9not_fun_tINSD_8identityEEEEENSD_19counting_iterator_tIlEES8_S8_S8_S8_S8_S8_S8_S8_EEEEPS9_S9_NSD_9__find_if7functorIS9_EEEE10hipError_tPvRmT1_T2_T3_mT4_P12ihipStream_tbEUlT_E0_NS1_11comp_targetILNS1_3genE4ELNS1_11target_archE910ELNS1_3gpuE8ELNS1_3repE0EEENS1_30default_config_static_selectorELNS0_4arch9wavefront6targetE0EEEvS14_.kd
    .uniform_work_group_size: 1
    .uses_dynamic_stack: false
    .vgpr_count:     0
    .vgpr_spill_count: 0
    .wavefront_size: 32
    .workgroup_processor_mode: 1
  - .args:
      - .offset:         0
        .size:           104
        .value_kind:     by_value
    .group_segment_fixed_size: 0
    .kernarg_segment_align: 8
    .kernarg_segment_size: 104
    .language:       OpenCL C
    .language_version:
      - 2
      - 0
    .max_flat_workgroup_size: 128
    .name:           _ZN7rocprim17ROCPRIM_400000_NS6detail17trampoline_kernelINS0_14default_configENS1_22reduce_config_selectorIN6thrust23THRUST_200600_302600_NS5tupleIblNS6_9null_typeES8_S8_S8_S8_S8_S8_S8_EEEEZNS1_11reduce_implILb1ES3_NS6_12zip_iteratorINS7_INS6_11hip_rocprim26transform_input_iterator_tIbNSD_35transform_pair_of_input_iterators_tIbNS6_6detail15normal_iteratorINS6_10device_ptrIKfEEEESL_NS6_8equal_toIfEEEENSG_9not_fun_tINSD_8identityEEEEENSD_19counting_iterator_tIlEES8_S8_S8_S8_S8_S8_S8_S8_EEEEPS9_S9_NSD_9__find_if7functorIS9_EEEE10hipError_tPvRmT1_T2_T3_mT4_P12ihipStream_tbEUlT_E0_NS1_11comp_targetILNS1_3genE3ELNS1_11target_archE908ELNS1_3gpuE7ELNS1_3repE0EEENS1_30default_config_static_selectorELNS0_4arch9wavefront6targetE0EEEvS14_
    .private_segment_fixed_size: 0
    .sgpr_count:     0
    .sgpr_spill_count: 0
    .symbol:         _ZN7rocprim17ROCPRIM_400000_NS6detail17trampoline_kernelINS0_14default_configENS1_22reduce_config_selectorIN6thrust23THRUST_200600_302600_NS5tupleIblNS6_9null_typeES8_S8_S8_S8_S8_S8_S8_EEEEZNS1_11reduce_implILb1ES3_NS6_12zip_iteratorINS7_INS6_11hip_rocprim26transform_input_iterator_tIbNSD_35transform_pair_of_input_iterators_tIbNS6_6detail15normal_iteratorINS6_10device_ptrIKfEEEESL_NS6_8equal_toIfEEEENSG_9not_fun_tINSD_8identityEEEEENSD_19counting_iterator_tIlEES8_S8_S8_S8_S8_S8_S8_S8_EEEEPS9_S9_NSD_9__find_if7functorIS9_EEEE10hipError_tPvRmT1_T2_T3_mT4_P12ihipStream_tbEUlT_E0_NS1_11comp_targetILNS1_3genE3ELNS1_11target_archE908ELNS1_3gpuE7ELNS1_3repE0EEENS1_30default_config_static_selectorELNS0_4arch9wavefront6targetE0EEEvS14_.kd
    .uniform_work_group_size: 1
    .uses_dynamic_stack: false
    .vgpr_count:     0
    .vgpr_spill_count: 0
    .wavefront_size: 32
    .workgroup_processor_mode: 1
  - .args:
      - .offset:         0
        .size:           104
        .value_kind:     by_value
    .group_segment_fixed_size: 0
    .kernarg_segment_align: 8
    .kernarg_segment_size: 104
    .language:       OpenCL C
    .language_version:
      - 2
      - 0
    .max_flat_workgroup_size: 128
    .name:           _ZN7rocprim17ROCPRIM_400000_NS6detail17trampoline_kernelINS0_14default_configENS1_22reduce_config_selectorIN6thrust23THRUST_200600_302600_NS5tupleIblNS6_9null_typeES8_S8_S8_S8_S8_S8_S8_EEEEZNS1_11reduce_implILb1ES3_NS6_12zip_iteratorINS7_INS6_11hip_rocprim26transform_input_iterator_tIbNSD_35transform_pair_of_input_iterators_tIbNS6_6detail15normal_iteratorINS6_10device_ptrIKfEEEESL_NS6_8equal_toIfEEEENSG_9not_fun_tINSD_8identityEEEEENSD_19counting_iterator_tIlEES8_S8_S8_S8_S8_S8_S8_S8_EEEEPS9_S9_NSD_9__find_if7functorIS9_EEEE10hipError_tPvRmT1_T2_T3_mT4_P12ihipStream_tbEUlT_E0_NS1_11comp_targetILNS1_3genE2ELNS1_11target_archE906ELNS1_3gpuE6ELNS1_3repE0EEENS1_30default_config_static_selectorELNS0_4arch9wavefront6targetE0EEEvS14_
    .private_segment_fixed_size: 0
    .sgpr_count:     0
    .sgpr_spill_count: 0
    .symbol:         _ZN7rocprim17ROCPRIM_400000_NS6detail17trampoline_kernelINS0_14default_configENS1_22reduce_config_selectorIN6thrust23THRUST_200600_302600_NS5tupleIblNS6_9null_typeES8_S8_S8_S8_S8_S8_S8_EEEEZNS1_11reduce_implILb1ES3_NS6_12zip_iteratorINS7_INS6_11hip_rocprim26transform_input_iterator_tIbNSD_35transform_pair_of_input_iterators_tIbNS6_6detail15normal_iteratorINS6_10device_ptrIKfEEEESL_NS6_8equal_toIfEEEENSG_9not_fun_tINSD_8identityEEEEENSD_19counting_iterator_tIlEES8_S8_S8_S8_S8_S8_S8_S8_EEEEPS9_S9_NSD_9__find_if7functorIS9_EEEE10hipError_tPvRmT1_T2_T3_mT4_P12ihipStream_tbEUlT_E0_NS1_11comp_targetILNS1_3genE2ELNS1_11target_archE906ELNS1_3gpuE6ELNS1_3repE0EEENS1_30default_config_static_selectorELNS0_4arch9wavefront6targetE0EEEvS14_.kd
    .uniform_work_group_size: 1
    .uses_dynamic_stack: false
    .vgpr_count:     0
    .vgpr_spill_count: 0
    .wavefront_size: 32
    .workgroup_processor_mode: 1
  - .args:
      - .offset:         0
        .size:           104
        .value_kind:     by_value
    .group_segment_fixed_size: 0
    .kernarg_segment_align: 8
    .kernarg_segment_size: 104
    .language:       OpenCL C
    .language_version:
      - 2
      - 0
    .max_flat_workgroup_size: 256
    .name:           _ZN7rocprim17ROCPRIM_400000_NS6detail17trampoline_kernelINS0_14default_configENS1_22reduce_config_selectorIN6thrust23THRUST_200600_302600_NS5tupleIblNS6_9null_typeES8_S8_S8_S8_S8_S8_S8_EEEEZNS1_11reduce_implILb1ES3_NS6_12zip_iteratorINS7_INS6_11hip_rocprim26transform_input_iterator_tIbNSD_35transform_pair_of_input_iterators_tIbNS6_6detail15normal_iteratorINS6_10device_ptrIKfEEEESL_NS6_8equal_toIfEEEENSG_9not_fun_tINSD_8identityEEEEENSD_19counting_iterator_tIlEES8_S8_S8_S8_S8_S8_S8_S8_EEEEPS9_S9_NSD_9__find_if7functorIS9_EEEE10hipError_tPvRmT1_T2_T3_mT4_P12ihipStream_tbEUlT_E0_NS1_11comp_targetILNS1_3genE10ELNS1_11target_archE1201ELNS1_3gpuE5ELNS1_3repE0EEENS1_30default_config_static_selectorELNS0_4arch9wavefront6targetE0EEEvS14_
    .private_segment_fixed_size: 0
    .sgpr_count:     0
    .sgpr_spill_count: 0
    .symbol:         _ZN7rocprim17ROCPRIM_400000_NS6detail17trampoline_kernelINS0_14default_configENS1_22reduce_config_selectorIN6thrust23THRUST_200600_302600_NS5tupleIblNS6_9null_typeES8_S8_S8_S8_S8_S8_S8_EEEEZNS1_11reduce_implILb1ES3_NS6_12zip_iteratorINS7_INS6_11hip_rocprim26transform_input_iterator_tIbNSD_35transform_pair_of_input_iterators_tIbNS6_6detail15normal_iteratorINS6_10device_ptrIKfEEEESL_NS6_8equal_toIfEEEENSG_9not_fun_tINSD_8identityEEEEENSD_19counting_iterator_tIlEES8_S8_S8_S8_S8_S8_S8_S8_EEEEPS9_S9_NSD_9__find_if7functorIS9_EEEE10hipError_tPvRmT1_T2_T3_mT4_P12ihipStream_tbEUlT_E0_NS1_11comp_targetILNS1_3genE10ELNS1_11target_archE1201ELNS1_3gpuE5ELNS1_3repE0EEENS1_30default_config_static_selectorELNS0_4arch9wavefront6targetE0EEEvS14_.kd
    .uniform_work_group_size: 1
    .uses_dynamic_stack: false
    .vgpr_count:     0
    .vgpr_spill_count: 0
    .wavefront_size: 32
    .workgroup_processor_mode: 1
  - .args:
      - .offset:         0
        .size:           104
        .value_kind:     by_value
    .group_segment_fixed_size: 0
    .kernarg_segment_align: 8
    .kernarg_segment_size: 104
    .language:       OpenCL C
    .language_version:
      - 2
      - 0
    .max_flat_workgroup_size: 256
    .name:           _ZN7rocprim17ROCPRIM_400000_NS6detail17trampoline_kernelINS0_14default_configENS1_22reduce_config_selectorIN6thrust23THRUST_200600_302600_NS5tupleIblNS6_9null_typeES8_S8_S8_S8_S8_S8_S8_EEEEZNS1_11reduce_implILb1ES3_NS6_12zip_iteratorINS7_INS6_11hip_rocprim26transform_input_iterator_tIbNSD_35transform_pair_of_input_iterators_tIbNS6_6detail15normal_iteratorINS6_10device_ptrIKfEEEESL_NS6_8equal_toIfEEEENSG_9not_fun_tINSD_8identityEEEEENSD_19counting_iterator_tIlEES8_S8_S8_S8_S8_S8_S8_S8_EEEEPS9_S9_NSD_9__find_if7functorIS9_EEEE10hipError_tPvRmT1_T2_T3_mT4_P12ihipStream_tbEUlT_E0_NS1_11comp_targetILNS1_3genE10ELNS1_11target_archE1200ELNS1_3gpuE4ELNS1_3repE0EEENS1_30default_config_static_selectorELNS0_4arch9wavefront6targetE0EEEvS14_
    .private_segment_fixed_size: 0
    .sgpr_count:     0
    .sgpr_spill_count: 0
    .symbol:         _ZN7rocprim17ROCPRIM_400000_NS6detail17trampoline_kernelINS0_14default_configENS1_22reduce_config_selectorIN6thrust23THRUST_200600_302600_NS5tupleIblNS6_9null_typeES8_S8_S8_S8_S8_S8_S8_EEEEZNS1_11reduce_implILb1ES3_NS6_12zip_iteratorINS7_INS6_11hip_rocprim26transform_input_iterator_tIbNSD_35transform_pair_of_input_iterators_tIbNS6_6detail15normal_iteratorINS6_10device_ptrIKfEEEESL_NS6_8equal_toIfEEEENSG_9not_fun_tINSD_8identityEEEEENSD_19counting_iterator_tIlEES8_S8_S8_S8_S8_S8_S8_S8_EEEEPS9_S9_NSD_9__find_if7functorIS9_EEEE10hipError_tPvRmT1_T2_T3_mT4_P12ihipStream_tbEUlT_E0_NS1_11comp_targetILNS1_3genE10ELNS1_11target_archE1200ELNS1_3gpuE4ELNS1_3repE0EEENS1_30default_config_static_selectorELNS0_4arch9wavefront6targetE0EEEvS14_.kd
    .uniform_work_group_size: 1
    .uses_dynamic_stack: false
    .vgpr_count:     0
    .vgpr_spill_count: 0
    .wavefront_size: 32
    .workgroup_processor_mode: 1
  - .args:
      - .offset:         0
        .size:           104
        .value_kind:     by_value
    .group_segment_fixed_size: 256
    .kernarg_segment_align: 8
    .kernarg_segment_size: 104
    .language:       OpenCL C
    .language_version:
      - 2
      - 0
    .max_flat_workgroup_size: 256
    .name:           _ZN7rocprim17ROCPRIM_400000_NS6detail17trampoline_kernelINS0_14default_configENS1_22reduce_config_selectorIN6thrust23THRUST_200600_302600_NS5tupleIblNS6_9null_typeES8_S8_S8_S8_S8_S8_S8_EEEEZNS1_11reduce_implILb1ES3_NS6_12zip_iteratorINS7_INS6_11hip_rocprim26transform_input_iterator_tIbNSD_35transform_pair_of_input_iterators_tIbNS6_6detail15normal_iteratorINS6_10device_ptrIKfEEEESL_NS6_8equal_toIfEEEENSG_9not_fun_tINSD_8identityEEEEENSD_19counting_iterator_tIlEES8_S8_S8_S8_S8_S8_S8_S8_EEEEPS9_S9_NSD_9__find_if7functorIS9_EEEE10hipError_tPvRmT1_T2_T3_mT4_P12ihipStream_tbEUlT_E0_NS1_11comp_targetILNS1_3genE9ELNS1_11target_archE1100ELNS1_3gpuE3ELNS1_3repE0EEENS1_30default_config_static_selectorELNS0_4arch9wavefront6targetE0EEEvS14_
    .private_segment_fixed_size: 0
    .sgpr_count:     30
    .sgpr_spill_count: 0
    .symbol:         _ZN7rocprim17ROCPRIM_400000_NS6detail17trampoline_kernelINS0_14default_configENS1_22reduce_config_selectorIN6thrust23THRUST_200600_302600_NS5tupleIblNS6_9null_typeES8_S8_S8_S8_S8_S8_S8_EEEEZNS1_11reduce_implILb1ES3_NS6_12zip_iteratorINS7_INS6_11hip_rocprim26transform_input_iterator_tIbNSD_35transform_pair_of_input_iterators_tIbNS6_6detail15normal_iteratorINS6_10device_ptrIKfEEEESL_NS6_8equal_toIfEEEENSG_9not_fun_tINSD_8identityEEEEENSD_19counting_iterator_tIlEES8_S8_S8_S8_S8_S8_S8_S8_EEEEPS9_S9_NSD_9__find_if7functorIS9_EEEE10hipError_tPvRmT1_T2_T3_mT4_P12ihipStream_tbEUlT_E0_NS1_11comp_targetILNS1_3genE9ELNS1_11target_archE1100ELNS1_3gpuE3ELNS1_3repE0EEENS1_30default_config_static_selectorELNS0_4arch9wavefront6targetE0EEEvS14_.kd
    .uniform_work_group_size: 1
    .uses_dynamic_stack: false
    .vgpr_count:     16
    .vgpr_spill_count: 0
    .wavefront_size: 32
    .workgroup_processor_mode: 1
  - .args:
      - .offset:         0
        .size:           104
        .value_kind:     by_value
    .group_segment_fixed_size: 0
    .kernarg_segment_align: 8
    .kernarg_segment_size: 104
    .language:       OpenCL C
    .language_version:
      - 2
      - 0
    .max_flat_workgroup_size: 256
    .name:           _ZN7rocprim17ROCPRIM_400000_NS6detail17trampoline_kernelINS0_14default_configENS1_22reduce_config_selectorIN6thrust23THRUST_200600_302600_NS5tupleIblNS6_9null_typeES8_S8_S8_S8_S8_S8_S8_EEEEZNS1_11reduce_implILb1ES3_NS6_12zip_iteratorINS7_INS6_11hip_rocprim26transform_input_iterator_tIbNSD_35transform_pair_of_input_iterators_tIbNS6_6detail15normal_iteratorINS6_10device_ptrIKfEEEESL_NS6_8equal_toIfEEEENSG_9not_fun_tINSD_8identityEEEEENSD_19counting_iterator_tIlEES8_S8_S8_S8_S8_S8_S8_S8_EEEEPS9_S9_NSD_9__find_if7functorIS9_EEEE10hipError_tPvRmT1_T2_T3_mT4_P12ihipStream_tbEUlT_E0_NS1_11comp_targetILNS1_3genE8ELNS1_11target_archE1030ELNS1_3gpuE2ELNS1_3repE0EEENS1_30default_config_static_selectorELNS0_4arch9wavefront6targetE0EEEvS14_
    .private_segment_fixed_size: 0
    .sgpr_count:     0
    .sgpr_spill_count: 0
    .symbol:         _ZN7rocprim17ROCPRIM_400000_NS6detail17trampoline_kernelINS0_14default_configENS1_22reduce_config_selectorIN6thrust23THRUST_200600_302600_NS5tupleIblNS6_9null_typeES8_S8_S8_S8_S8_S8_S8_EEEEZNS1_11reduce_implILb1ES3_NS6_12zip_iteratorINS7_INS6_11hip_rocprim26transform_input_iterator_tIbNSD_35transform_pair_of_input_iterators_tIbNS6_6detail15normal_iteratorINS6_10device_ptrIKfEEEESL_NS6_8equal_toIfEEEENSG_9not_fun_tINSD_8identityEEEEENSD_19counting_iterator_tIlEES8_S8_S8_S8_S8_S8_S8_S8_EEEEPS9_S9_NSD_9__find_if7functorIS9_EEEE10hipError_tPvRmT1_T2_T3_mT4_P12ihipStream_tbEUlT_E0_NS1_11comp_targetILNS1_3genE8ELNS1_11target_archE1030ELNS1_3gpuE2ELNS1_3repE0EEENS1_30default_config_static_selectorELNS0_4arch9wavefront6targetE0EEEvS14_.kd
    .uniform_work_group_size: 1
    .uses_dynamic_stack: false
    .vgpr_count:     0
    .vgpr_spill_count: 0
    .wavefront_size: 32
    .workgroup_processor_mode: 1
  - .args:
      - .offset:         0
        .size:           88
        .value_kind:     by_value
    .group_segment_fixed_size: 0
    .kernarg_segment_align: 8
    .kernarg_segment_size: 88
    .language:       OpenCL C
    .language_version:
      - 2
      - 0
    .max_flat_workgroup_size: 128
    .name:           _ZN7rocprim17ROCPRIM_400000_NS6detail17trampoline_kernelINS0_14default_configENS1_22reduce_config_selectorIN6thrust23THRUST_200600_302600_NS5tupleIblNS6_9null_typeES8_S8_S8_S8_S8_S8_S8_EEEEZNS1_11reduce_implILb1ES3_NS6_12zip_iteratorINS7_INS6_11hip_rocprim26transform_input_iterator_tIbNSD_35transform_pair_of_input_iterators_tIbNS6_6detail15normal_iteratorINS6_10device_ptrIKfEEEESL_NS6_8equal_toIfEEEENSG_9not_fun_tINSD_8identityEEEEENSD_19counting_iterator_tIlEES8_S8_S8_S8_S8_S8_S8_S8_EEEEPS9_S9_NSD_9__find_if7functorIS9_EEEE10hipError_tPvRmT1_T2_T3_mT4_P12ihipStream_tbEUlT_E1_NS1_11comp_targetILNS1_3genE0ELNS1_11target_archE4294967295ELNS1_3gpuE0ELNS1_3repE0EEENS1_30default_config_static_selectorELNS0_4arch9wavefront6targetE0EEEvS14_
    .private_segment_fixed_size: 0
    .sgpr_count:     0
    .sgpr_spill_count: 0
    .symbol:         _ZN7rocprim17ROCPRIM_400000_NS6detail17trampoline_kernelINS0_14default_configENS1_22reduce_config_selectorIN6thrust23THRUST_200600_302600_NS5tupleIblNS6_9null_typeES8_S8_S8_S8_S8_S8_S8_EEEEZNS1_11reduce_implILb1ES3_NS6_12zip_iteratorINS7_INS6_11hip_rocprim26transform_input_iterator_tIbNSD_35transform_pair_of_input_iterators_tIbNS6_6detail15normal_iteratorINS6_10device_ptrIKfEEEESL_NS6_8equal_toIfEEEENSG_9not_fun_tINSD_8identityEEEEENSD_19counting_iterator_tIlEES8_S8_S8_S8_S8_S8_S8_S8_EEEEPS9_S9_NSD_9__find_if7functorIS9_EEEE10hipError_tPvRmT1_T2_T3_mT4_P12ihipStream_tbEUlT_E1_NS1_11comp_targetILNS1_3genE0ELNS1_11target_archE4294967295ELNS1_3gpuE0ELNS1_3repE0EEENS1_30default_config_static_selectorELNS0_4arch9wavefront6targetE0EEEvS14_.kd
    .uniform_work_group_size: 1
    .uses_dynamic_stack: false
    .vgpr_count:     0
    .vgpr_spill_count: 0
    .wavefront_size: 32
    .workgroup_processor_mode: 1
  - .args:
      - .offset:         0
        .size:           88
        .value_kind:     by_value
    .group_segment_fixed_size: 0
    .kernarg_segment_align: 8
    .kernarg_segment_size: 88
    .language:       OpenCL C
    .language_version:
      - 2
      - 0
    .max_flat_workgroup_size: 256
    .name:           _ZN7rocprim17ROCPRIM_400000_NS6detail17trampoline_kernelINS0_14default_configENS1_22reduce_config_selectorIN6thrust23THRUST_200600_302600_NS5tupleIblNS6_9null_typeES8_S8_S8_S8_S8_S8_S8_EEEEZNS1_11reduce_implILb1ES3_NS6_12zip_iteratorINS7_INS6_11hip_rocprim26transform_input_iterator_tIbNSD_35transform_pair_of_input_iterators_tIbNS6_6detail15normal_iteratorINS6_10device_ptrIKfEEEESL_NS6_8equal_toIfEEEENSG_9not_fun_tINSD_8identityEEEEENSD_19counting_iterator_tIlEES8_S8_S8_S8_S8_S8_S8_S8_EEEEPS9_S9_NSD_9__find_if7functorIS9_EEEE10hipError_tPvRmT1_T2_T3_mT4_P12ihipStream_tbEUlT_E1_NS1_11comp_targetILNS1_3genE5ELNS1_11target_archE942ELNS1_3gpuE9ELNS1_3repE0EEENS1_30default_config_static_selectorELNS0_4arch9wavefront6targetE0EEEvS14_
    .private_segment_fixed_size: 0
    .sgpr_count:     0
    .sgpr_spill_count: 0
    .symbol:         _ZN7rocprim17ROCPRIM_400000_NS6detail17trampoline_kernelINS0_14default_configENS1_22reduce_config_selectorIN6thrust23THRUST_200600_302600_NS5tupleIblNS6_9null_typeES8_S8_S8_S8_S8_S8_S8_EEEEZNS1_11reduce_implILb1ES3_NS6_12zip_iteratorINS7_INS6_11hip_rocprim26transform_input_iterator_tIbNSD_35transform_pair_of_input_iterators_tIbNS6_6detail15normal_iteratorINS6_10device_ptrIKfEEEESL_NS6_8equal_toIfEEEENSG_9not_fun_tINSD_8identityEEEEENSD_19counting_iterator_tIlEES8_S8_S8_S8_S8_S8_S8_S8_EEEEPS9_S9_NSD_9__find_if7functorIS9_EEEE10hipError_tPvRmT1_T2_T3_mT4_P12ihipStream_tbEUlT_E1_NS1_11comp_targetILNS1_3genE5ELNS1_11target_archE942ELNS1_3gpuE9ELNS1_3repE0EEENS1_30default_config_static_selectorELNS0_4arch9wavefront6targetE0EEEvS14_.kd
    .uniform_work_group_size: 1
    .uses_dynamic_stack: false
    .vgpr_count:     0
    .vgpr_spill_count: 0
    .wavefront_size: 32
    .workgroup_processor_mode: 1
  - .args:
      - .offset:         0
        .size:           88
        .value_kind:     by_value
    .group_segment_fixed_size: 0
    .kernarg_segment_align: 8
    .kernarg_segment_size: 88
    .language:       OpenCL C
    .language_version:
      - 2
      - 0
    .max_flat_workgroup_size: 256
    .name:           _ZN7rocprim17ROCPRIM_400000_NS6detail17trampoline_kernelINS0_14default_configENS1_22reduce_config_selectorIN6thrust23THRUST_200600_302600_NS5tupleIblNS6_9null_typeES8_S8_S8_S8_S8_S8_S8_EEEEZNS1_11reduce_implILb1ES3_NS6_12zip_iteratorINS7_INS6_11hip_rocprim26transform_input_iterator_tIbNSD_35transform_pair_of_input_iterators_tIbNS6_6detail15normal_iteratorINS6_10device_ptrIKfEEEESL_NS6_8equal_toIfEEEENSG_9not_fun_tINSD_8identityEEEEENSD_19counting_iterator_tIlEES8_S8_S8_S8_S8_S8_S8_S8_EEEEPS9_S9_NSD_9__find_if7functorIS9_EEEE10hipError_tPvRmT1_T2_T3_mT4_P12ihipStream_tbEUlT_E1_NS1_11comp_targetILNS1_3genE4ELNS1_11target_archE910ELNS1_3gpuE8ELNS1_3repE0EEENS1_30default_config_static_selectorELNS0_4arch9wavefront6targetE0EEEvS14_
    .private_segment_fixed_size: 0
    .sgpr_count:     0
    .sgpr_spill_count: 0
    .symbol:         _ZN7rocprim17ROCPRIM_400000_NS6detail17trampoline_kernelINS0_14default_configENS1_22reduce_config_selectorIN6thrust23THRUST_200600_302600_NS5tupleIblNS6_9null_typeES8_S8_S8_S8_S8_S8_S8_EEEEZNS1_11reduce_implILb1ES3_NS6_12zip_iteratorINS7_INS6_11hip_rocprim26transform_input_iterator_tIbNSD_35transform_pair_of_input_iterators_tIbNS6_6detail15normal_iteratorINS6_10device_ptrIKfEEEESL_NS6_8equal_toIfEEEENSG_9not_fun_tINSD_8identityEEEEENSD_19counting_iterator_tIlEES8_S8_S8_S8_S8_S8_S8_S8_EEEEPS9_S9_NSD_9__find_if7functorIS9_EEEE10hipError_tPvRmT1_T2_T3_mT4_P12ihipStream_tbEUlT_E1_NS1_11comp_targetILNS1_3genE4ELNS1_11target_archE910ELNS1_3gpuE8ELNS1_3repE0EEENS1_30default_config_static_selectorELNS0_4arch9wavefront6targetE0EEEvS14_.kd
    .uniform_work_group_size: 1
    .uses_dynamic_stack: false
    .vgpr_count:     0
    .vgpr_spill_count: 0
    .wavefront_size: 32
    .workgroup_processor_mode: 1
  - .args:
      - .offset:         0
        .size:           88
        .value_kind:     by_value
    .group_segment_fixed_size: 0
    .kernarg_segment_align: 8
    .kernarg_segment_size: 88
    .language:       OpenCL C
    .language_version:
      - 2
      - 0
    .max_flat_workgroup_size: 128
    .name:           _ZN7rocprim17ROCPRIM_400000_NS6detail17trampoline_kernelINS0_14default_configENS1_22reduce_config_selectorIN6thrust23THRUST_200600_302600_NS5tupleIblNS6_9null_typeES8_S8_S8_S8_S8_S8_S8_EEEEZNS1_11reduce_implILb1ES3_NS6_12zip_iteratorINS7_INS6_11hip_rocprim26transform_input_iterator_tIbNSD_35transform_pair_of_input_iterators_tIbNS6_6detail15normal_iteratorINS6_10device_ptrIKfEEEESL_NS6_8equal_toIfEEEENSG_9not_fun_tINSD_8identityEEEEENSD_19counting_iterator_tIlEES8_S8_S8_S8_S8_S8_S8_S8_EEEEPS9_S9_NSD_9__find_if7functorIS9_EEEE10hipError_tPvRmT1_T2_T3_mT4_P12ihipStream_tbEUlT_E1_NS1_11comp_targetILNS1_3genE3ELNS1_11target_archE908ELNS1_3gpuE7ELNS1_3repE0EEENS1_30default_config_static_selectorELNS0_4arch9wavefront6targetE0EEEvS14_
    .private_segment_fixed_size: 0
    .sgpr_count:     0
    .sgpr_spill_count: 0
    .symbol:         _ZN7rocprim17ROCPRIM_400000_NS6detail17trampoline_kernelINS0_14default_configENS1_22reduce_config_selectorIN6thrust23THRUST_200600_302600_NS5tupleIblNS6_9null_typeES8_S8_S8_S8_S8_S8_S8_EEEEZNS1_11reduce_implILb1ES3_NS6_12zip_iteratorINS7_INS6_11hip_rocprim26transform_input_iterator_tIbNSD_35transform_pair_of_input_iterators_tIbNS6_6detail15normal_iteratorINS6_10device_ptrIKfEEEESL_NS6_8equal_toIfEEEENSG_9not_fun_tINSD_8identityEEEEENSD_19counting_iterator_tIlEES8_S8_S8_S8_S8_S8_S8_S8_EEEEPS9_S9_NSD_9__find_if7functorIS9_EEEE10hipError_tPvRmT1_T2_T3_mT4_P12ihipStream_tbEUlT_E1_NS1_11comp_targetILNS1_3genE3ELNS1_11target_archE908ELNS1_3gpuE7ELNS1_3repE0EEENS1_30default_config_static_selectorELNS0_4arch9wavefront6targetE0EEEvS14_.kd
    .uniform_work_group_size: 1
    .uses_dynamic_stack: false
    .vgpr_count:     0
    .vgpr_spill_count: 0
    .wavefront_size: 32
    .workgroup_processor_mode: 1
  - .args:
      - .offset:         0
        .size:           88
        .value_kind:     by_value
    .group_segment_fixed_size: 0
    .kernarg_segment_align: 8
    .kernarg_segment_size: 88
    .language:       OpenCL C
    .language_version:
      - 2
      - 0
    .max_flat_workgroup_size: 128
    .name:           _ZN7rocprim17ROCPRIM_400000_NS6detail17trampoline_kernelINS0_14default_configENS1_22reduce_config_selectorIN6thrust23THRUST_200600_302600_NS5tupleIblNS6_9null_typeES8_S8_S8_S8_S8_S8_S8_EEEEZNS1_11reduce_implILb1ES3_NS6_12zip_iteratorINS7_INS6_11hip_rocprim26transform_input_iterator_tIbNSD_35transform_pair_of_input_iterators_tIbNS6_6detail15normal_iteratorINS6_10device_ptrIKfEEEESL_NS6_8equal_toIfEEEENSG_9not_fun_tINSD_8identityEEEEENSD_19counting_iterator_tIlEES8_S8_S8_S8_S8_S8_S8_S8_EEEEPS9_S9_NSD_9__find_if7functorIS9_EEEE10hipError_tPvRmT1_T2_T3_mT4_P12ihipStream_tbEUlT_E1_NS1_11comp_targetILNS1_3genE2ELNS1_11target_archE906ELNS1_3gpuE6ELNS1_3repE0EEENS1_30default_config_static_selectorELNS0_4arch9wavefront6targetE0EEEvS14_
    .private_segment_fixed_size: 0
    .sgpr_count:     0
    .sgpr_spill_count: 0
    .symbol:         _ZN7rocprim17ROCPRIM_400000_NS6detail17trampoline_kernelINS0_14default_configENS1_22reduce_config_selectorIN6thrust23THRUST_200600_302600_NS5tupleIblNS6_9null_typeES8_S8_S8_S8_S8_S8_S8_EEEEZNS1_11reduce_implILb1ES3_NS6_12zip_iteratorINS7_INS6_11hip_rocprim26transform_input_iterator_tIbNSD_35transform_pair_of_input_iterators_tIbNS6_6detail15normal_iteratorINS6_10device_ptrIKfEEEESL_NS6_8equal_toIfEEEENSG_9not_fun_tINSD_8identityEEEEENSD_19counting_iterator_tIlEES8_S8_S8_S8_S8_S8_S8_S8_EEEEPS9_S9_NSD_9__find_if7functorIS9_EEEE10hipError_tPvRmT1_T2_T3_mT4_P12ihipStream_tbEUlT_E1_NS1_11comp_targetILNS1_3genE2ELNS1_11target_archE906ELNS1_3gpuE6ELNS1_3repE0EEENS1_30default_config_static_selectorELNS0_4arch9wavefront6targetE0EEEvS14_.kd
    .uniform_work_group_size: 1
    .uses_dynamic_stack: false
    .vgpr_count:     0
    .vgpr_spill_count: 0
    .wavefront_size: 32
    .workgroup_processor_mode: 1
  - .args:
      - .offset:         0
        .size:           88
        .value_kind:     by_value
    .group_segment_fixed_size: 0
    .kernarg_segment_align: 8
    .kernarg_segment_size: 88
    .language:       OpenCL C
    .language_version:
      - 2
      - 0
    .max_flat_workgroup_size: 256
    .name:           _ZN7rocprim17ROCPRIM_400000_NS6detail17trampoline_kernelINS0_14default_configENS1_22reduce_config_selectorIN6thrust23THRUST_200600_302600_NS5tupleIblNS6_9null_typeES8_S8_S8_S8_S8_S8_S8_EEEEZNS1_11reduce_implILb1ES3_NS6_12zip_iteratorINS7_INS6_11hip_rocprim26transform_input_iterator_tIbNSD_35transform_pair_of_input_iterators_tIbNS6_6detail15normal_iteratorINS6_10device_ptrIKfEEEESL_NS6_8equal_toIfEEEENSG_9not_fun_tINSD_8identityEEEEENSD_19counting_iterator_tIlEES8_S8_S8_S8_S8_S8_S8_S8_EEEEPS9_S9_NSD_9__find_if7functorIS9_EEEE10hipError_tPvRmT1_T2_T3_mT4_P12ihipStream_tbEUlT_E1_NS1_11comp_targetILNS1_3genE10ELNS1_11target_archE1201ELNS1_3gpuE5ELNS1_3repE0EEENS1_30default_config_static_selectorELNS0_4arch9wavefront6targetE0EEEvS14_
    .private_segment_fixed_size: 0
    .sgpr_count:     0
    .sgpr_spill_count: 0
    .symbol:         _ZN7rocprim17ROCPRIM_400000_NS6detail17trampoline_kernelINS0_14default_configENS1_22reduce_config_selectorIN6thrust23THRUST_200600_302600_NS5tupleIblNS6_9null_typeES8_S8_S8_S8_S8_S8_S8_EEEEZNS1_11reduce_implILb1ES3_NS6_12zip_iteratorINS7_INS6_11hip_rocprim26transform_input_iterator_tIbNSD_35transform_pair_of_input_iterators_tIbNS6_6detail15normal_iteratorINS6_10device_ptrIKfEEEESL_NS6_8equal_toIfEEEENSG_9not_fun_tINSD_8identityEEEEENSD_19counting_iterator_tIlEES8_S8_S8_S8_S8_S8_S8_S8_EEEEPS9_S9_NSD_9__find_if7functorIS9_EEEE10hipError_tPvRmT1_T2_T3_mT4_P12ihipStream_tbEUlT_E1_NS1_11comp_targetILNS1_3genE10ELNS1_11target_archE1201ELNS1_3gpuE5ELNS1_3repE0EEENS1_30default_config_static_selectorELNS0_4arch9wavefront6targetE0EEEvS14_.kd
    .uniform_work_group_size: 1
    .uses_dynamic_stack: false
    .vgpr_count:     0
    .vgpr_spill_count: 0
    .wavefront_size: 32
    .workgroup_processor_mode: 1
  - .args:
      - .offset:         0
        .size:           88
        .value_kind:     by_value
    .group_segment_fixed_size: 0
    .kernarg_segment_align: 8
    .kernarg_segment_size: 88
    .language:       OpenCL C
    .language_version:
      - 2
      - 0
    .max_flat_workgroup_size: 256
    .name:           _ZN7rocprim17ROCPRIM_400000_NS6detail17trampoline_kernelINS0_14default_configENS1_22reduce_config_selectorIN6thrust23THRUST_200600_302600_NS5tupleIblNS6_9null_typeES8_S8_S8_S8_S8_S8_S8_EEEEZNS1_11reduce_implILb1ES3_NS6_12zip_iteratorINS7_INS6_11hip_rocprim26transform_input_iterator_tIbNSD_35transform_pair_of_input_iterators_tIbNS6_6detail15normal_iteratorINS6_10device_ptrIKfEEEESL_NS6_8equal_toIfEEEENSG_9not_fun_tINSD_8identityEEEEENSD_19counting_iterator_tIlEES8_S8_S8_S8_S8_S8_S8_S8_EEEEPS9_S9_NSD_9__find_if7functorIS9_EEEE10hipError_tPvRmT1_T2_T3_mT4_P12ihipStream_tbEUlT_E1_NS1_11comp_targetILNS1_3genE10ELNS1_11target_archE1200ELNS1_3gpuE4ELNS1_3repE0EEENS1_30default_config_static_selectorELNS0_4arch9wavefront6targetE0EEEvS14_
    .private_segment_fixed_size: 0
    .sgpr_count:     0
    .sgpr_spill_count: 0
    .symbol:         _ZN7rocprim17ROCPRIM_400000_NS6detail17trampoline_kernelINS0_14default_configENS1_22reduce_config_selectorIN6thrust23THRUST_200600_302600_NS5tupleIblNS6_9null_typeES8_S8_S8_S8_S8_S8_S8_EEEEZNS1_11reduce_implILb1ES3_NS6_12zip_iteratorINS7_INS6_11hip_rocprim26transform_input_iterator_tIbNSD_35transform_pair_of_input_iterators_tIbNS6_6detail15normal_iteratorINS6_10device_ptrIKfEEEESL_NS6_8equal_toIfEEEENSG_9not_fun_tINSD_8identityEEEEENSD_19counting_iterator_tIlEES8_S8_S8_S8_S8_S8_S8_S8_EEEEPS9_S9_NSD_9__find_if7functorIS9_EEEE10hipError_tPvRmT1_T2_T3_mT4_P12ihipStream_tbEUlT_E1_NS1_11comp_targetILNS1_3genE10ELNS1_11target_archE1200ELNS1_3gpuE4ELNS1_3repE0EEENS1_30default_config_static_selectorELNS0_4arch9wavefront6targetE0EEEvS14_.kd
    .uniform_work_group_size: 1
    .uses_dynamic_stack: false
    .vgpr_count:     0
    .vgpr_spill_count: 0
    .wavefront_size: 32
    .workgroup_processor_mode: 1
  - .args:
      - .offset:         0
        .size:           88
        .value_kind:     by_value
    .group_segment_fixed_size: 640
    .kernarg_segment_align: 8
    .kernarg_segment_size: 88
    .language:       OpenCL C
    .language_version:
      - 2
      - 0
    .max_flat_workgroup_size: 256
    .name:           _ZN7rocprim17ROCPRIM_400000_NS6detail17trampoline_kernelINS0_14default_configENS1_22reduce_config_selectorIN6thrust23THRUST_200600_302600_NS5tupleIblNS6_9null_typeES8_S8_S8_S8_S8_S8_S8_EEEEZNS1_11reduce_implILb1ES3_NS6_12zip_iteratorINS7_INS6_11hip_rocprim26transform_input_iterator_tIbNSD_35transform_pair_of_input_iterators_tIbNS6_6detail15normal_iteratorINS6_10device_ptrIKfEEEESL_NS6_8equal_toIfEEEENSG_9not_fun_tINSD_8identityEEEEENSD_19counting_iterator_tIlEES8_S8_S8_S8_S8_S8_S8_S8_EEEEPS9_S9_NSD_9__find_if7functorIS9_EEEE10hipError_tPvRmT1_T2_T3_mT4_P12ihipStream_tbEUlT_E1_NS1_11comp_targetILNS1_3genE9ELNS1_11target_archE1100ELNS1_3gpuE3ELNS1_3repE0EEENS1_30default_config_static_selectorELNS0_4arch9wavefront6targetE0EEEvS14_
    .private_segment_fixed_size: 0
    .sgpr_count:     34
    .sgpr_spill_count: 0
    .symbol:         _ZN7rocprim17ROCPRIM_400000_NS6detail17trampoline_kernelINS0_14default_configENS1_22reduce_config_selectorIN6thrust23THRUST_200600_302600_NS5tupleIblNS6_9null_typeES8_S8_S8_S8_S8_S8_S8_EEEEZNS1_11reduce_implILb1ES3_NS6_12zip_iteratorINS7_INS6_11hip_rocprim26transform_input_iterator_tIbNSD_35transform_pair_of_input_iterators_tIbNS6_6detail15normal_iteratorINS6_10device_ptrIKfEEEESL_NS6_8equal_toIfEEEENSG_9not_fun_tINSD_8identityEEEEENSD_19counting_iterator_tIlEES8_S8_S8_S8_S8_S8_S8_S8_EEEEPS9_S9_NSD_9__find_if7functorIS9_EEEE10hipError_tPvRmT1_T2_T3_mT4_P12ihipStream_tbEUlT_E1_NS1_11comp_targetILNS1_3genE9ELNS1_11target_archE1100ELNS1_3gpuE3ELNS1_3repE0EEENS1_30default_config_static_selectorELNS0_4arch9wavefront6targetE0EEEvS14_.kd
    .uniform_work_group_size: 1
    .uses_dynamic_stack: false
    .vgpr_count:     27
    .vgpr_spill_count: 0
    .wavefront_size: 32
    .workgroup_processor_mode: 1
  - .args:
      - .offset:         0
        .size:           88
        .value_kind:     by_value
    .group_segment_fixed_size: 0
    .kernarg_segment_align: 8
    .kernarg_segment_size: 88
    .language:       OpenCL C
    .language_version:
      - 2
      - 0
    .max_flat_workgroup_size: 256
    .name:           _ZN7rocprim17ROCPRIM_400000_NS6detail17trampoline_kernelINS0_14default_configENS1_22reduce_config_selectorIN6thrust23THRUST_200600_302600_NS5tupleIblNS6_9null_typeES8_S8_S8_S8_S8_S8_S8_EEEEZNS1_11reduce_implILb1ES3_NS6_12zip_iteratorINS7_INS6_11hip_rocprim26transform_input_iterator_tIbNSD_35transform_pair_of_input_iterators_tIbNS6_6detail15normal_iteratorINS6_10device_ptrIKfEEEESL_NS6_8equal_toIfEEEENSG_9not_fun_tINSD_8identityEEEEENSD_19counting_iterator_tIlEES8_S8_S8_S8_S8_S8_S8_S8_EEEEPS9_S9_NSD_9__find_if7functorIS9_EEEE10hipError_tPvRmT1_T2_T3_mT4_P12ihipStream_tbEUlT_E1_NS1_11comp_targetILNS1_3genE8ELNS1_11target_archE1030ELNS1_3gpuE2ELNS1_3repE0EEENS1_30default_config_static_selectorELNS0_4arch9wavefront6targetE0EEEvS14_
    .private_segment_fixed_size: 0
    .sgpr_count:     0
    .sgpr_spill_count: 0
    .symbol:         _ZN7rocprim17ROCPRIM_400000_NS6detail17trampoline_kernelINS0_14default_configENS1_22reduce_config_selectorIN6thrust23THRUST_200600_302600_NS5tupleIblNS6_9null_typeES8_S8_S8_S8_S8_S8_S8_EEEEZNS1_11reduce_implILb1ES3_NS6_12zip_iteratorINS7_INS6_11hip_rocprim26transform_input_iterator_tIbNSD_35transform_pair_of_input_iterators_tIbNS6_6detail15normal_iteratorINS6_10device_ptrIKfEEEESL_NS6_8equal_toIfEEEENSG_9not_fun_tINSD_8identityEEEEENSD_19counting_iterator_tIlEES8_S8_S8_S8_S8_S8_S8_S8_EEEEPS9_S9_NSD_9__find_if7functorIS9_EEEE10hipError_tPvRmT1_T2_T3_mT4_P12ihipStream_tbEUlT_E1_NS1_11comp_targetILNS1_3genE8ELNS1_11target_archE1030ELNS1_3gpuE2ELNS1_3repE0EEENS1_30default_config_static_selectorELNS0_4arch9wavefront6targetE0EEEvS14_.kd
    .uniform_work_group_size: 1
    .uses_dynamic_stack: false
    .vgpr_count:     0
    .vgpr_spill_count: 0
    .wavefront_size: 32
    .workgroup_processor_mode: 1
  - .args:
      - .offset:         0
        .size:           104
        .value_kind:     by_value
    .group_segment_fixed_size: 0
    .kernarg_segment_align: 8
    .kernarg_segment_size: 104
    .language:       OpenCL C
    .language_version:
      - 2
      - 0
    .max_flat_workgroup_size: 128
    .name:           _ZN7rocprim17ROCPRIM_400000_NS6detail17trampoline_kernelINS0_14default_configENS1_22reduce_config_selectorIN6thrust23THRUST_200600_302600_NS5tupleIblNS6_9null_typeES8_S8_S8_S8_S8_S8_S8_EEEEZNS1_11reduce_implILb1ES3_NS6_12zip_iteratorINS7_INS6_11hip_rocprim26transform_input_iterator_tIbNSD_35transform_pair_of_input_iterators_tIbNS6_6detail15normal_iteratorINS6_10device_ptrIKyEEEESL_NS6_8equal_toIyEEEENSG_9not_fun_tINSD_8identityEEEEENSD_19counting_iterator_tIlEES8_S8_S8_S8_S8_S8_S8_S8_EEEEPS9_S9_NSD_9__find_if7functorIS9_EEEE10hipError_tPvRmT1_T2_T3_mT4_P12ihipStream_tbEUlT_E0_NS1_11comp_targetILNS1_3genE0ELNS1_11target_archE4294967295ELNS1_3gpuE0ELNS1_3repE0EEENS1_30default_config_static_selectorELNS0_4arch9wavefront6targetE0EEEvS14_
    .private_segment_fixed_size: 0
    .sgpr_count:     0
    .sgpr_spill_count: 0
    .symbol:         _ZN7rocprim17ROCPRIM_400000_NS6detail17trampoline_kernelINS0_14default_configENS1_22reduce_config_selectorIN6thrust23THRUST_200600_302600_NS5tupleIblNS6_9null_typeES8_S8_S8_S8_S8_S8_S8_EEEEZNS1_11reduce_implILb1ES3_NS6_12zip_iteratorINS7_INS6_11hip_rocprim26transform_input_iterator_tIbNSD_35transform_pair_of_input_iterators_tIbNS6_6detail15normal_iteratorINS6_10device_ptrIKyEEEESL_NS6_8equal_toIyEEEENSG_9not_fun_tINSD_8identityEEEEENSD_19counting_iterator_tIlEES8_S8_S8_S8_S8_S8_S8_S8_EEEEPS9_S9_NSD_9__find_if7functorIS9_EEEE10hipError_tPvRmT1_T2_T3_mT4_P12ihipStream_tbEUlT_E0_NS1_11comp_targetILNS1_3genE0ELNS1_11target_archE4294967295ELNS1_3gpuE0ELNS1_3repE0EEENS1_30default_config_static_selectorELNS0_4arch9wavefront6targetE0EEEvS14_.kd
    .uniform_work_group_size: 1
    .uses_dynamic_stack: false
    .vgpr_count:     0
    .vgpr_spill_count: 0
    .wavefront_size: 32
    .workgroup_processor_mode: 1
  - .args:
      - .offset:         0
        .size:           104
        .value_kind:     by_value
    .group_segment_fixed_size: 0
    .kernarg_segment_align: 8
    .kernarg_segment_size: 104
    .language:       OpenCL C
    .language_version:
      - 2
      - 0
    .max_flat_workgroup_size: 256
    .name:           _ZN7rocprim17ROCPRIM_400000_NS6detail17trampoline_kernelINS0_14default_configENS1_22reduce_config_selectorIN6thrust23THRUST_200600_302600_NS5tupleIblNS6_9null_typeES8_S8_S8_S8_S8_S8_S8_EEEEZNS1_11reduce_implILb1ES3_NS6_12zip_iteratorINS7_INS6_11hip_rocprim26transform_input_iterator_tIbNSD_35transform_pair_of_input_iterators_tIbNS6_6detail15normal_iteratorINS6_10device_ptrIKyEEEESL_NS6_8equal_toIyEEEENSG_9not_fun_tINSD_8identityEEEEENSD_19counting_iterator_tIlEES8_S8_S8_S8_S8_S8_S8_S8_EEEEPS9_S9_NSD_9__find_if7functorIS9_EEEE10hipError_tPvRmT1_T2_T3_mT4_P12ihipStream_tbEUlT_E0_NS1_11comp_targetILNS1_3genE5ELNS1_11target_archE942ELNS1_3gpuE9ELNS1_3repE0EEENS1_30default_config_static_selectorELNS0_4arch9wavefront6targetE0EEEvS14_
    .private_segment_fixed_size: 0
    .sgpr_count:     0
    .sgpr_spill_count: 0
    .symbol:         _ZN7rocprim17ROCPRIM_400000_NS6detail17trampoline_kernelINS0_14default_configENS1_22reduce_config_selectorIN6thrust23THRUST_200600_302600_NS5tupleIblNS6_9null_typeES8_S8_S8_S8_S8_S8_S8_EEEEZNS1_11reduce_implILb1ES3_NS6_12zip_iteratorINS7_INS6_11hip_rocprim26transform_input_iterator_tIbNSD_35transform_pair_of_input_iterators_tIbNS6_6detail15normal_iteratorINS6_10device_ptrIKyEEEESL_NS6_8equal_toIyEEEENSG_9not_fun_tINSD_8identityEEEEENSD_19counting_iterator_tIlEES8_S8_S8_S8_S8_S8_S8_S8_EEEEPS9_S9_NSD_9__find_if7functorIS9_EEEE10hipError_tPvRmT1_T2_T3_mT4_P12ihipStream_tbEUlT_E0_NS1_11comp_targetILNS1_3genE5ELNS1_11target_archE942ELNS1_3gpuE9ELNS1_3repE0EEENS1_30default_config_static_selectorELNS0_4arch9wavefront6targetE0EEEvS14_.kd
    .uniform_work_group_size: 1
    .uses_dynamic_stack: false
    .vgpr_count:     0
    .vgpr_spill_count: 0
    .wavefront_size: 32
    .workgroup_processor_mode: 1
  - .args:
      - .offset:         0
        .size:           104
        .value_kind:     by_value
    .group_segment_fixed_size: 0
    .kernarg_segment_align: 8
    .kernarg_segment_size: 104
    .language:       OpenCL C
    .language_version:
      - 2
      - 0
    .max_flat_workgroup_size: 256
    .name:           _ZN7rocprim17ROCPRIM_400000_NS6detail17trampoline_kernelINS0_14default_configENS1_22reduce_config_selectorIN6thrust23THRUST_200600_302600_NS5tupleIblNS6_9null_typeES8_S8_S8_S8_S8_S8_S8_EEEEZNS1_11reduce_implILb1ES3_NS6_12zip_iteratorINS7_INS6_11hip_rocprim26transform_input_iterator_tIbNSD_35transform_pair_of_input_iterators_tIbNS6_6detail15normal_iteratorINS6_10device_ptrIKyEEEESL_NS6_8equal_toIyEEEENSG_9not_fun_tINSD_8identityEEEEENSD_19counting_iterator_tIlEES8_S8_S8_S8_S8_S8_S8_S8_EEEEPS9_S9_NSD_9__find_if7functorIS9_EEEE10hipError_tPvRmT1_T2_T3_mT4_P12ihipStream_tbEUlT_E0_NS1_11comp_targetILNS1_3genE4ELNS1_11target_archE910ELNS1_3gpuE8ELNS1_3repE0EEENS1_30default_config_static_selectorELNS0_4arch9wavefront6targetE0EEEvS14_
    .private_segment_fixed_size: 0
    .sgpr_count:     0
    .sgpr_spill_count: 0
    .symbol:         _ZN7rocprim17ROCPRIM_400000_NS6detail17trampoline_kernelINS0_14default_configENS1_22reduce_config_selectorIN6thrust23THRUST_200600_302600_NS5tupleIblNS6_9null_typeES8_S8_S8_S8_S8_S8_S8_EEEEZNS1_11reduce_implILb1ES3_NS6_12zip_iteratorINS7_INS6_11hip_rocprim26transform_input_iterator_tIbNSD_35transform_pair_of_input_iterators_tIbNS6_6detail15normal_iteratorINS6_10device_ptrIKyEEEESL_NS6_8equal_toIyEEEENSG_9not_fun_tINSD_8identityEEEEENSD_19counting_iterator_tIlEES8_S8_S8_S8_S8_S8_S8_S8_EEEEPS9_S9_NSD_9__find_if7functorIS9_EEEE10hipError_tPvRmT1_T2_T3_mT4_P12ihipStream_tbEUlT_E0_NS1_11comp_targetILNS1_3genE4ELNS1_11target_archE910ELNS1_3gpuE8ELNS1_3repE0EEENS1_30default_config_static_selectorELNS0_4arch9wavefront6targetE0EEEvS14_.kd
    .uniform_work_group_size: 1
    .uses_dynamic_stack: false
    .vgpr_count:     0
    .vgpr_spill_count: 0
    .wavefront_size: 32
    .workgroup_processor_mode: 1
  - .args:
      - .offset:         0
        .size:           104
        .value_kind:     by_value
    .group_segment_fixed_size: 0
    .kernarg_segment_align: 8
    .kernarg_segment_size: 104
    .language:       OpenCL C
    .language_version:
      - 2
      - 0
    .max_flat_workgroup_size: 128
    .name:           _ZN7rocprim17ROCPRIM_400000_NS6detail17trampoline_kernelINS0_14default_configENS1_22reduce_config_selectorIN6thrust23THRUST_200600_302600_NS5tupleIblNS6_9null_typeES8_S8_S8_S8_S8_S8_S8_EEEEZNS1_11reduce_implILb1ES3_NS6_12zip_iteratorINS7_INS6_11hip_rocprim26transform_input_iterator_tIbNSD_35transform_pair_of_input_iterators_tIbNS6_6detail15normal_iteratorINS6_10device_ptrIKyEEEESL_NS6_8equal_toIyEEEENSG_9not_fun_tINSD_8identityEEEEENSD_19counting_iterator_tIlEES8_S8_S8_S8_S8_S8_S8_S8_EEEEPS9_S9_NSD_9__find_if7functorIS9_EEEE10hipError_tPvRmT1_T2_T3_mT4_P12ihipStream_tbEUlT_E0_NS1_11comp_targetILNS1_3genE3ELNS1_11target_archE908ELNS1_3gpuE7ELNS1_3repE0EEENS1_30default_config_static_selectorELNS0_4arch9wavefront6targetE0EEEvS14_
    .private_segment_fixed_size: 0
    .sgpr_count:     0
    .sgpr_spill_count: 0
    .symbol:         _ZN7rocprim17ROCPRIM_400000_NS6detail17trampoline_kernelINS0_14default_configENS1_22reduce_config_selectorIN6thrust23THRUST_200600_302600_NS5tupleIblNS6_9null_typeES8_S8_S8_S8_S8_S8_S8_EEEEZNS1_11reduce_implILb1ES3_NS6_12zip_iteratorINS7_INS6_11hip_rocprim26transform_input_iterator_tIbNSD_35transform_pair_of_input_iterators_tIbNS6_6detail15normal_iteratorINS6_10device_ptrIKyEEEESL_NS6_8equal_toIyEEEENSG_9not_fun_tINSD_8identityEEEEENSD_19counting_iterator_tIlEES8_S8_S8_S8_S8_S8_S8_S8_EEEEPS9_S9_NSD_9__find_if7functorIS9_EEEE10hipError_tPvRmT1_T2_T3_mT4_P12ihipStream_tbEUlT_E0_NS1_11comp_targetILNS1_3genE3ELNS1_11target_archE908ELNS1_3gpuE7ELNS1_3repE0EEENS1_30default_config_static_selectorELNS0_4arch9wavefront6targetE0EEEvS14_.kd
    .uniform_work_group_size: 1
    .uses_dynamic_stack: false
    .vgpr_count:     0
    .vgpr_spill_count: 0
    .wavefront_size: 32
    .workgroup_processor_mode: 1
  - .args:
      - .offset:         0
        .size:           104
        .value_kind:     by_value
    .group_segment_fixed_size: 0
    .kernarg_segment_align: 8
    .kernarg_segment_size: 104
    .language:       OpenCL C
    .language_version:
      - 2
      - 0
    .max_flat_workgroup_size: 128
    .name:           _ZN7rocprim17ROCPRIM_400000_NS6detail17trampoline_kernelINS0_14default_configENS1_22reduce_config_selectorIN6thrust23THRUST_200600_302600_NS5tupleIblNS6_9null_typeES8_S8_S8_S8_S8_S8_S8_EEEEZNS1_11reduce_implILb1ES3_NS6_12zip_iteratorINS7_INS6_11hip_rocprim26transform_input_iterator_tIbNSD_35transform_pair_of_input_iterators_tIbNS6_6detail15normal_iteratorINS6_10device_ptrIKyEEEESL_NS6_8equal_toIyEEEENSG_9not_fun_tINSD_8identityEEEEENSD_19counting_iterator_tIlEES8_S8_S8_S8_S8_S8_S8_S8_EEEEPS9_S9_NSD_9__find_if7functorIS9_EEEE10hipError_tPvRmT1_T2_T3_mT4_P12ihipStream_tbEUlT_E0_NS1_11comp_targetILNS1_3genE2ELNS1_11target_archE906ELNS1_3gpuE6ELNS1_3repE0EEENS1_30default_config_static_selectorELNS0_4arch9wavefront6targetE0EEEvS14_
    .private_segment_fixed_size: 0
    .sgpr_count:     0
    .sgpr_spill_count: 0
    .symbol:         _ZN7rocprim17ROCPRIM_400000_NS6detail17trampoline_kernelINS0_14default_configENS1_22reduce_config_selectorIN6thrust23THRUST_200600_302600_NS5tupleIblNS6_9null_typeES8_S8_S8_S8_S8_S8_S8_EEEEZNS1_11reduce_implILb1ES3_NS6_12zip_iteratorINS7_INS6_11hip_rocprim26transform_input_iterator_tIbNSD_35transform_pair_of_input_iterators_tIbNS6_6detail15normal_iteratorINS6_10device_ptrIKyEEEESL_NS6_8equal_toIyEEEENSG_9not_fun_tINSD_8identityEEEEENSD_19counting_iterator_tIlEES8_S8_S8_S8_S8_S8_S8_S8_EEEEPS9_S9_NSD_9__find_if7functorIS9_EEEE10hipError_tPvRmT1_T2_T3_mT4_P12ihipStream_tbEUlT_E0_NS1_11comp_targetILNS1_3genE2ELNS1_11target_archE906ELNS1_3gpuE6ELNS1_3repE0EEENS1_30default_config_static_selectorELNS0_4arch9wavefront6targetE0EEEvS14_.kd
    .uniform_work_group_size: 1
    .uses_dynamic_stack: false
    .vgpr_count:     0
    .vgpr_spill_count: 0
    .wavefront_size: 32
    .workgroup_processor_mode: 1
  - .args:
      - .offset:         0
        .size:           104
        .value_kind:     by_value
    .group_segment_fixed_size: 0
    .kernarg_segment_align: 8
    .kernarg_segment_size: 104
    .language:       OpenCL C
    .language_version:
      - 2
      - 0
    .max_flat_workgroup_size: 256
    .name:           _ZN7rocprim17ROCPRIM_400000_NS6detail17trampoline_kernelINS0_14default_configENS1_22reduce_config_selectorIN6thrust23THRUST_200600_302600_NS5tupleIblNS6_9null_typeES8_S8_S8_S8_S8_S8_S8_EEEEZNS1_11reduce_implILb1ES3_NS6_12zip_iteratorINS7_INS6_11hip_rocprim26transform_input_iterator_tIbNSD_35transform_pair_of_input_iterators_tIbNS6_6detail15normal_iteratorINS6_10device_ptrIKyEEEESL_NS6_8equal_toIyEEEENSG_9not_fun_tINSD_8identityEEEEENSD_19counting_iterator_tIlEES8_S8_S8_S8_S8_S8_S8_S8_EEEEPS9_S9_NSD_9__find_if7functorIS9_EEEE10hipError_tPvRmT1_T2_T3_mT4_P12ihipStream_tbEUlT_E0_NS1_11comp_targetILNS1_3genE10ELNS1_11target_archE1201ELNS1_3gpuE5ELNS1_3repE0EEENS1_30default_config_static_selectorELNS0_4arch9wavefront6targetE0EEEvS14_
    .private_segment_fixed_size: 0
    .sgpr_count:     0
    .sgpr_spill_count: 0
    .symbol:         _ZN7rocprim17ROCPRIM_400000_NS6detail17trampoline_kernelINS0_14default_configENS1_22reduce_config_selectorIN6thrust23THRUST_200600_302600_NS5tupleIblNS6_9null_typeES8_S8_S8_S8_S8_S8_S8_EEEEZNS1_11reduce_implILb1ES3_NS6_12zip_iteratorINS7_INS6_11hip_rocprim26transform_input_iterator_tIbNSD_35transform_pair_of_input_iterators_tIbNS6_6detail15normal_iteratorINS6_10device_ptrIKyEEEESL_NS6_8equal_toIyEEEENSG_9not_fun_tINSD_8identityEEEEENSD_19counting_iterator_tIlEES8_S8_S8_S8_S8_S8_S8_S8_EEEEPS9_S9_NSD_9__find_if7functorIS9_EEEE10hipError_tPvRmT1_T2_T3_mT4_P12ihipStream_tbEUlT_E0_NS1_11comp_targetILNS1_3genE10ELNS1_11target_archE1201ELNS1_3gpuE5ELNS1_3repE0EEENS1_30default_config_static_selectorELNS0_4arch9wavefront6targetE0EEEvS14_.kd
    .uniform_work_group_size: 1
    .uses_dynamic_stack: false
    .vgpr_count:     0
    .vgpr_spill_count: 0
    .wavefront_size: 32
    .workgroup_processor_mode: 1
  - .args:
      - .offset:         0
        .size:           104
        .value_kind:     by_value
    .group_segment_fixed_size: 0
    .kernarg_segment_align: 8
    .kernarg_segment_size: 104
    .language:       OpenCL C
    .language_version:
      - 2
      - 0
    .max_flat_workgroup_size: 256
    .name:           _ZN7rocprim17ROCPRIM_400000_NS6detail17trampoline_kernelINS0_14default_configENS1_22reduce_config_selectorIN6thrust23THRUST_200600_302600_NS5tupleIblNS6_9null_typeES8_S8_S8_S8_S8_S8_S8_EEEEZNS1_11reduce_implILb1ES3_NS6_12zip_iteratorINS7_INS6_11hip_rocprim26transform_input_iterator_tIbNSD_35transform_pair_of_input_iterators_tIbNS6_6detail15normal_iteratorINS6_10device_ptrIKyEEEESL_NS6_8equal_toIyEEEENSG_9not_fun_tINSD_8identityEEEEENSD_19counting_iterator_tIlEES8_S8_S8_S8_S8_S8_S8_S8_EEEEPS9_S9_NSD_9__find_if7functorIS9_EEEE10hipError_tPvRmT1_T2_T3_mT4_P12ihipStream_tbEUlT_E0_NS1_11comp_targetILNS1_3genE10ELNS1_11target_archE1200ELNS1_3gpuE4ELNS1_3repE0EEENS1_30default_config_static_selectorELNS0_4arch9wavefront6targetE0EEEvS14_
    .private_segment_fixed_size: 0
    .sgpr_count:     0
    .sgpr_spill_count: 0
    .symbol:         _ZN7rocprim17ROCPRIM_400000_NS6detail17trampoline_kernelINS0_14default_configENS1_22reduce_config_selectorIN6thrust23THRUST_200600_302600_NS5tupleIblNS6_9null_typeES8_S8_S8_S8_S8_S8_S8_EEEEZNS1_11reduce_implILb1ES3_NS6_12zip_iteratorINS7_INS6_11hip_rocprim26transform_input_iterator_tIbNSD_35transform_pair_of_input_iterators_tIbNS6_6detail15normal_iteratorINS6_10device_ptrIKyEEEESL_NS6_8equal_toIyEEEENSG_9not_fun_tINSD_8identityEEEEENSD_19counting_iterator_tIlEES8_S8_S8_S8_S8_S8_S8_S8_EEEEPS9_S9_NSD_9__find_if7functorIS9_EEEE10hipError_tPvRmT1_T2_T3_mT4_P12ihipStream_tbEUlT_E0_NS1_11comp_targetILNS1_3genE10ELNS1_11target_archE1200ELNS1_3gpuE4ELNS1_3repE0EEENS1_30default_config_static_selectorELNS0_4arch9wavefront6targetE0EEEvS14_.kd
    .uniform_work_group_size: 1
    .uses_dynamic_stack: false
    .vgpr_count:     0
    .vgpr_spill_count: 0
    .wavefront_size: 32
    .workgroup_processor_mode: 1
  - .args:
      - .offset:         0
        .size:           104
        .value_kind:     by_value
    .group_segment_fixed_size: 256
    .kernarg_segment_align: 8
    .kernarg_segment_size: 104
    .language:       OpenCL C
    .language_version:
      - 2
      - 0
    .max_flat_workgroup_size: 256
    .name:           _ZN7rocprim17ROCPRIM_400000_NS6detail17trampoline_kernelINS0_14default_configENS1_22reduce_config_selectorIN6thrust23THRUST_200600_302600_NS5tupleIblNS6_9null_typeES8_S8_S8_S8_S8_S8_S8_EEEEZNS1_11reduce_implILb1ES3_NS6_12zip_iteratorINS7_INS6_11hip_rocprim26transform_input_iterator_tIbNSD_35transform_pair_of_input_iterators_tIbNS6_6detail15normal_iteratorINS6_10device_ptrIKyEEEESL_NS6_8equal_toIyEEEENSG_9not_fun_tINSD_8identityEEEEENSD_19counting_iterator_tIlEES8_S8_S8_S8_S8_S8_S8_S8_EEEEPS9_S9_NSD_9__find_if7functorIS9_EEEE10hipError_tPvRmT1_T2_T3_mT4_P12ihipStream_tbEUlT_E0_NS1_11comp_targetILNS1_3genE9ELNS1_11target_archE1100ELNS1_3gpuE3ELNS1_3repE0EEENS1_30default_config_static_selectorELNS0_4arch9wavefront6targetE0EEEvS14_
    .private_segment_fixed_size: 0
    .sgpr_count:     30
    .sgpr_spill_count: 0
    .symbol:         _ZN7rocprim17ROCPRIM_400000_NS6detail17trampoline_kernelINS0_14default_configENS1_22reduce_config_selectorIN6thrust23THRUST_200600_302600_NS5tupleIblNS6_9null_typeES8_S8_S8_S8_S8_S8_S8_EEEEZNS1_11reduce_implILb1ES3_NS6_12zip_iteratorINS7_INS6_11hip_rocprim26transform_input_iterator_tIbNSD_35transform_pair_of_input_iterators_tIbNS6_6detail15normal_iteratorINS6_10device_ptrIKyEEEESL_NS6_8equal_toIyEEEENSG_9not_fun_tINSD_8identityEEEEENSD_19counting_iterator_tIlEES8_S8_S8_S8_S8_S8_S8_S8_EEEEPS9_S9_NSD_9__find_if7functorIS9_EEEE10hipError_tPvRmT1_T2_T3_mT4_P12ihipStream_tbEUlT_E0_NS1_11comp_targetILNS1_3genE9ELNS1_11target_archE1100ELNS1_3gpuE3ELNS1_3repE0EEENS1_30default_config_static_selectorELNS0_4arch9wavefront6targetE0EEEvS14_.kd
    .uniform_work_group_size: 1
    .uses_dynamic_stack: false
    .vgpr_count:     19
    .vgpr_spill_count: 0
    .wavefront_size: 32
    .workgroup_processor_mode: 1
  - .args:
      - .offset:         0
        .size:           104
        .value_kind:     by_value
    .group_segment_fixed_size: 0
    .kernarg_segment_align: 8
    .kernarg_segment_size: 104
    .language:       OpenCL C
    .language_version:
      - 2
      - 0
    .max_flat_workgroup_size: 256
    .name:           _ZN7rocprim17ROCPRIM_400000_NS6detail17trampoline_kernelINS0_14default_configENS1_22reduce_config_selectorIN6thrust23THRUST_200600_302600_NS5tupleIblNS6_9null_typeES8_S8_S8_S8_S8_S8_S8_EEEEZNS1_11reduce_implILb1ES3_NS6_12zip_iteratorINS7_INS6_11hip_rocprim26transform_input_iterator_tIbNSD_35transform_pair_of_input_iterators_tIbNS6_6detail15normal_iteratorINS6_10device_ptrIKyEEEESL_NS6_8equal_toIyEEEENSG_9not_fun_tINSD_8identityEEEEENSD_19counting_iterator_tIlEES8_S8_S8_S8_S8_S8_S8_S8_EEEEPS9_S9_NSD_9__find_if7functorIS9_EEEE10hipError_tPvRmT1_T2_T3_mT4_P12ihipStream_tbEUlT_E0_NS1_11comp_targetILNS1_3genE8ELNS1_11target_archE1030ELNS1_3gpuE2ELNS1_3repE0EEENS1_30default_config_static_selectorELNS0_4arch9wavefront6targetE0EEEvS14_
    .private_segment_fixed_size: 0
    .sgpr_count:     0
    .sgpr_spill_count: 0
    .symbol:         _ZN7rocprim17ROCPRIM_400000_NS6detail17trampoline_kernelINS0_14default_configENS1_22reduce_config_selectorIN6thrust23THRUST_200600_302600_NS5tupleIblNS6_9null_typeES8_S8_S8_S8_S8_S8_S8_EEEEZNS1_11reduce_implILb1ES3_NS6_12zip_iteratorINS7_INS6_11hip_rocprim26transform_input_iterator_tIbNSD_35transform_pair_of_input_iterators_tIbNS6_6detail15normal_iteratorINS6_10device_ptrIKyEEEESL_NS6_8equal_toIyEEEENSG_9not_fun_tINSD_8identityEEEEENSD_19counting_iterator_tIlEES8_S8_S8_S8_S8_S8_S8_S8_EEEEPS9_S9_NSD_9__find_if7functorIS9_EEEE10hipError_tPvRmT1_T2_T3_mT4_P12ihipStream_tbEUlT_E0_NS1_11comp_targetILNS1_3genE8ELNS1_11target_archE1030ELNS1_3gpuE2ELNS1_3repE0EEENS1_30default_config_static_selectorELNS0_4arch9wavefront6targetE0EEEvS14_.kd
    .uniform_work_group_size: 1
    .uses_dynamic_stack: false
    .vgpr_count:     0
    .vgpr_spill_count: 0
    .wavefront_size: 32
    .workgroup_processor_mode: 1
  - .args:
      - .offset:         0
        .size:           88
        .value_kind:     by_value
    .group_segment_fixed_size: 0
    .kernarg_segment_align: 8
    .kernarg_segment_size: 88
    .language:       OpenCL C
    .language_version:
      - 2
      - 0
    .max_flat_workgroup_size: 128
    .name:           _ZN7rocprim17ROCPRIM_400000_NS6detail17trampoline_kernelINS0_14default_configENS1_22reduce_config_selectorIN6thrust23THRUST_200600_302600_NS5tupleIblNS6_9null_typeES8_S8_S8_S8_S8_S8_S8_EEEEZNS1_11reduce_implILb1ES3_NS6_12zip_iteratorINS7_INS6_11hip_rocprim26transform_input_iterator_tIbNSD_35transform_pair_of_input_iterators_tIbNS6_6detail15normal_iteratorINS6_10device_ptrIKyEEEESL_NS6_8equal_toIyEEEENSG_9not_fun_tINSD_8identityEEEEENSD_19counting_iterator_tIlEES8_S8_S8_S8_S8_S8_S8_S8_EEEEPS9_S9_NSD_9__find_if7functorIS9_EEEE10hipError_tPvRmT1_T2_T3_mT4_P12ihipStream_tbEUlT_E1_NS1_11comp_targetILNS1_3genE0ELNS1_11target_archE4294967295ELNS1_3gpuE0ELNS1_3repE0EEENS1_30default_config_static_selectorELNS0_4arch9wavefront6targetE0EEEvS14_
    .private_segment_fixed_size: 0
    .sgpr_count:     0
    .sgpr_spill_count: 0
    .symbol:         _ZN7rocprim17ROCPRIM_400000_NS6detail17trampoline_kernelINS0_14default_configENS1_22reduce_config_selectorIN6thrust23THRUST_200600_302600_NS5tupleIblNS6_9null_typeES8_S8_S8_S8_S8_S8_S8_EEEEZNS1_11reduce_implILb1ES3_NS6_12zip_iteratorINS7_INS6_11hip_rocprim26transform_input_iterator_tIbNSD_35transform_pair_of_input_iterators_tIbNS6_6detail15normal_iteratorINS6_10device_ptrIKyEEEESL_NS6_8equal_toIyEEEENSG_9not_fun_tINSD_8identityEEEEENSD_19counting_iterator_tIlEES8_S8_S8_S8_S8_S8_S8_S8_EEEEPS9_S9_NSD_9__find_if7functorIS9_EEEE10hipError_tPvRmT1_T2_T3_mT4_P12ihipStream_tbEUlT_E1_NS1_11comp_targetILNS1_3genE0ELNS1_11target_archE4294967295ELNS1_3gpuE0ELNS1_3repE0EEENS1_30default_config_static_selectorELNS0_4arch9wavefront6targetE0EEEvS14_.kd
    .uniform_work_group_size: 1
    .uses_dynamic_stack: false
    .vgpr_count:     0
    .vgpr_spill_count: 0
    .wavefront_size: 32
    .workgroup_processor_mode: 1
  - .args:
      - .offset:         0
        .size:           88
        .value_kind:     by_value
    .group_segment_fixed_size: 0
    .kernarg_segment_align: 8
    .kernarg_segment_size: 88
    .language:       OpenCL C
    .language_version:
      - 2
      - 0
    .max_flat_workgroup_size: 256
    .name:           _ZN7rocprim17ROCPRIM_400000_NS6detail17trampoline_kernelINS0_14default_configENS1_22reduce_config_selectorIN6thrust23THRUST_200600_302600_NS5tupleIblNS6_9null_typeES8_S8_S8_S8_S8_S8_S8_EEEEZNS1_11reduce_implILb1ES3_NS6_12zip_iteratorINS7_INS6_11hip_rocprim26transform_input_iterator_tIbNSD_35transform_pair_of_input_iterators_tIbNS6_6detail15normal_iteratorINS6_10device_ptrIKyEEEESL_NS6_8equal_toIyEEEENSG_9not_fun_tINSD_8identityEEEEENSD_19counting_iterator_tIlEES8_S8_S8_S8_S8_S8_S8_S8_EEEEPS9_S9_NSD_9__find_if7functorIS9_EEEE10hipError_tPvRmT1_T2_T3_mT4_P12ihipStream_tbEUlT_E1_NS1_11comp_targetILNS1_3genE5ELNS1_11target_archE942ELNS1_3gpuE9ELNS1_3repE0EEENS1_30default_config_static_selectorELNS0_4arch9wavefront6targetE0EEEvS14_
    .private_segment_fixed_size: 0
    .sgpr_count:     0
    .sgpr_spill_count: 0
    .symbol:         _ZN7rocprim17ROCPRIM_400000_NS6detail17trampoline_kernelINS0_14default_configENS1_22reduce_config_selectorIN6thrust23THRUST_200600_302600_NS5tupleIblNS6_9null_typeES8_S8_S8_S8_S8_S8_S8_EEEEZNS1_11reduce_implILb1ES3_NS6_12zip_iteratorINS7_INS6_11hip_rocprim26transform_input_iterator_tIbNSD_35transform_pair_of_input_iterators_tIbNS6_6detail15normal_iteratorINS6_10device_ptrIKyEEEESL_NS6_8equal_toIyEEEENSG_9not_fun_tINSD_8identityEEEEENSD_19counting_iterator_tIlEES8_S8_S8_S8_S8_S8_S8_S8_EEEEPS9_S9_NSD_9__find_if7functorIS9_EEEE10hipError_tPvRmT1_T2_T3_mT4_P12ihipStream_tbEUlT_E1_NS1_11comp_targetILNS1_3genE5ELNS1_11target_archE942ELNS1_3gpuE9ELNS1_3repE0EEENS1_30default_config_static_selectorELNS0_4arch9wavefront6targetE0EEEvS14_.kd
    .uniform_work_group_size: 1
    .uses_dynamic_stack: false
    .vgpr_count:     0
    .vgpr_spill_count: 0
    .wavefront_size: 32
    .workgroup_processor_mode: 1
  - .args:
      - .offset:         0
        .size:           88
        .value_kind:     by_value
    .group_segment_fixed_size: 0
    .kernarg_segment_align: 8
    .kernarg_segment_size: 88
    .language:       OpenCL C
    .language_version:
      - 2
      - 0
    .max_flat_workgroup_size: 256
    .name:           _ZN7rocprim17ROCPRIM_400000_NS6detail17trampoline_kernelINS0_14default_configENS1_22reduce_config_selectorIN6thrust23THRUST_200600_302600_NS5tupleIblNS6_9null_typeES8_S8_S8_S8_S8_S8_S8_EEEEZNS1_11reduce_implILb1ES3_NS6_12zip_iteratorINS7_INS6_11hip_rocprim26transform_input_iterator_tIbNSD_35transform_pair_of_input_iterators_tIbNS6_6detail15normal_iteratorINS6_10device_ptrIKyEEEESL_NS6_8equal_toIyEEEENSG_9not_fun_tINSD_8identityEEEEENSD_19counting_iterator_tIlEES8_S8_S8_S8_S8_S8_S8_S8_EEEEPS9_S9_NSD_9__find_if7functorIS9_EEEE10hipError_tPvRmT1_T2_T3_mT4_P12ihipStream_tbEUlT_E1_NS1_11comp_targetILNS1_3genE4ELNS1_11target_archE910ELNS1_3gpuE8ELNS1_3repE0EEENS1_30default_config_static_selectorELNS0_4arch9wavefront6targetE0EEEvS14_
    .private_segment_fixed_size: 0
    .sgpr_count:     0
    .sgpr_spill_count: 0
    .symbol:         _ZN7rocprim17ROCPRIM_400000_NS6detail17trampoline_kernelINS0_14default_configENS1_22reduce_config_selectorIN6thrust23THRUST_200600_302600_NS5tupleIblNS6_9null_typeES8_S8_S8_S8_S8_S8_S8_EEEEZNS1_11reduce_implILb1ES3_NS6_12zip_iteratorINS7_INS6_11hip_rocprim26transform_input_iterator_tIbNSD_35transform_pair_of_input_iterators_tIbNS6_6detail15normal_iteratorINS6_10device_ptrIKyEEEESL_NS6_8equal_toIyEEEENSG_9not_fun_tINSD_8identityEEEEENSD_19counting_iterator_tIlEES8_S8_S8_S8_S8_S8_S8_S8_EEEEPS9_S9_NSD_9__find_if7functorIS9_EEEE10hipError_tPvRmT1_T2_T3_mT4_P12ihipStream_tbEUlT_E1_NS1_11comp_targetILNS1_3genE4ELNS1_11target_archE910ELNS1_3gpuE8ELNS1_3repE0EEENS1_30default_config_static_selectorELNS0_4arch9wavefront6targetE0EEEvS14_.kd
    .uniform_work_group_size: 1
    .uses_dynamic_stack: false
    .vgpr_count:     0
    .vgpr_spill_count: 0
    .wavefront_size: 32
    .workgroup_processor_mode: 1
  - .args:
      - .offset:         0
        .size:           88
        .value_kind:     by_value
    .group_segment_fixed_size: 0
    .kernarg_segment_align: 8
    .kernarg_segment_size: 88
    .language:       OpenCL C
    .language_version:
      - 2
      - 0
    .max_flat_workgroup_size: 128
    .name:           _ZN7rocprim17ROCPRIM_400000_NS6detail17trampoline_kernelINS0_14default_configENS1_22reduce_config_selectorIN6thrust23THRUST_200600_302600_NS5tupleIblNS6_9null_typeES8_S8_S8_S8_S8_S8_S8_EEEEZNS1_11reduce_implILb1ES3_NS6_12zip_iteratorINS7_INS6_11hip_rocprim26transform_input_iterator_tIbNSD_35transform_pair_of_input_iterators_tIbNS6_6detail15normal_iteratorINS6_10device_ptrIKyEEEESL_NS6_8equal_toIyEEEENSG_9not_fun_tINSD_8identityEEEEENSD_19counting_iterator_tIlEES8_S8_S8_S8_S8_S8_S8_S8_EEEEPS9_S9_NSD_9__find_if7functorIS9_EEEE10hipError_tPvRmT1_T2_T3_mT4_P12ihipStream_tbEUlT_E1_NS1_11comp_targetILNS1_3genE3ELNS1_11target_archE908ELNS1_3gpuE7ELNS1_3repE0EEENS1_30default_config_static_selectorELNS0_4arch9wavefront6targetE0EEEvS14_
    .private_segment_fixed_size: 0
    .sgpr_count:     0
    .sgpr_spill_count: 0
    .symbol:         _ZN7rocprim17ROCPRIM_400000_NS6detail17trampoline_kernelINS0_14default_configENS1_22reduce_config_selectorIN6thrust23THRUST_200600_302600_NS5tupleIblNS6_9null_typeES8_S8_S8_S8_S8_S8_S8_EEEEZNS1_11reduce_implILb1ES3_NS6_12zip_iteratorINS7_INS6_11hip_rocprim26transform_input_iterator_tIbNSD_35transform_pair_of_input_iterators_tIbNS6_6detail15normal_iteratorINS6_10device_ptrIKyEEEESL_NS6_8equal_toIyEEEENSG_9not_fun_tINSD_8identityEEEEENSD_19counting_iterator_tIlEES8_S8_S8_S8_S8_S8_S8_S8_EEEEPS9_S9_NSD_9__find_if7functorIS9_EEEE10hipError_tPvRmT1_T2_T3_mT4_P12ihipStream_tbEUlT_E1_NS1_11comp_targetILNS1_3genE3ELNS1_11target_archE908ELNS1_3gpuE7ELNS1_3repE0EEENS1_30default_config_static_selectorELNS0_4arch9wavefront6targetE0EEEvS14_.kd
    .uniform_work_group_size: 1
    .uses_dynamic_stack: false
    .vgpr_count:     0
    .vgpr_spill_count: 0
    .wavefront_size: 32
    .workgroup_processor_mode: 1
  - .args:
      - .offset:         0
        .size:           88
        .value_kind:     by_value
    .group_segment_fixed_size: 0
    .kernarg_segment_align: 8
    .kernarg_segment_size: 88
    .language:       OpenCL C
    .language_version:
      - 2
      - 0
    .max_flat_workgroup_size: 128
    .name:           _ZN7rocprim17ROCPRIM_400000_NS6detail17trampoline_kernelINS0_14default_configENS1_22reduce_config_selectorIN6thrust23THRUST_200600_302600_NS5tupleIblNS6_9null_typeES8_S8_S8_S8_S8_S8_S8_EEEEZNS1_11reduce_implILb1ES3_NS6_12zip_iteratorINS7_INS6_11hip_rocprim26transform_input_iterator_tIbNSD_35transform_pair_of_input_iterators_tIbNS6_6detail15normal_iteratorINS6_10device_ptrIKyEEEESL_NS6_8equal_toIyEEEENSG_9not_fun_tINSD_8identityEEEEENSD_19counting_iterator_tIlEES8_S8_S8_S8_S8_S8_S8_S8_EEEEPS9_S9_NSD_9__find_if7functorIS9_EEEE10hipError_tPvRmT1_T2_T3_mT4_P12ihipStream_tbEUlT_E1_NS1_11comp_targetILNS1_3genE2ELNS1_11target_archE906ELNS1_3gpuE6ELNS1_3repE0EEENS1_30default_config_static_selectorELNS0_4arch9wavefront6targetE0EEEvS14_
    .private_segment_fixed_size: 0
    .sgpr_count:     0
    .sgpr_spill_count: 0
    .symbol:         _ZN7rocprim17ROCPRIM_400000_NS6detail17trampoline_kernelINS0_14default_configENS1_22reduce_config_selectorIN6thrust23THRUST_200600_302600_NS5tupleIblNS6_9null_typeES8_S8_S8_S8_S8_S8_S8_EEEEZNS1_11reduce_implILb1ES3_NS6_12zip_iteratorINS7_INS6_11hip_rocprim26transform_input_iterator_tIbNSD_35transform_pair_of_input_iterators_tIbNS6_6detail15normal_iteratorINS6_10device_ptrIKyEEEESL_NS6_8equal_toIyEEEENSG_9not_fun_tINSD_8identityEEEEENSD_19counting_iterator_tIlEES8_S8_S8_S8_S8_S8_S8_S8_EEEEPS9_S9_NSD_9__find_if7functorIS9_EEEE10hipError_tPvRmT1_T2_T3_mT4_P12ihipStream_tbEUlT_E1_NS1_11comp_targetILNS1_3genE2ELNS1_11target_archE906ELNS1_3gpuE6ELNS1_3repE0EEENS1_30default_config_static_selectorELNS0_4arch9wavefront6targetE0EEEvS14_.kd
    .uniform_work_group_size: 1
    .uses_dynamic_stack: false
    .vgpr_count:     0
    .vgpr_spill_count: 0
    .wavefront_size: 32
    .workgroup_processor_mode: 1
  - .args:
      - .offset:         0
        .size:           88
        .value_kind:     by_value
    .group_segment_fixed_size: 0
    .kernarg_segment_align: 8
    .kernarg_segment_size: 88
    .language:       OpenCL C
    .language_version:
      - 2
      - 0
    .max_flat_workgroup_size: 256
    .name:           _ZN7rocprim17ROCPRIM_400000_NS6detail17trampoline_kernelINS0_14default_configENS1_22reduce_config_selectorIN6thrust23THRUST_200600_302600_NS5tupleIblNS6_9null_typeES8_S8_S8_S8_S8_S8_S8_EEEEZNS1_11reduce_implILb1ES3_NS6_12zip_iteratorINS7_INS6_11hip_rocprim26transform_input_iterator_tIbNSD_35transform_pair_of_input_iterators_tIbNS6_6detail15normal_iteratorINS6_10device_ptrIKyEEEESL_NS6_8equal_toIyEEEENSG_9not_fun_tINSD_8identityEEEEENSD_19counting_iterator_tIlEES8_S8_S8_S8_S8_S8_S8_S8_EEEEPS9_S9_NSD_9__find_if7functorIS9_EEEE10hipError_tPvRmT1_T2_T3_mT4_P12ihipStream_tbEUlT_E1_NS1_11comp_targetILNS1_3genE10ELNS1_11target_archE1201ELNS1_3gpuE5ELNS1_3repE0EEENS1_30default_config_static_selectorELNS0_4arch9wavefront6targetE0EEEvS14_
    .private_segment_fixed_size: 0
    .sgpr_count:     0
    .sgpr_spill_count: 0
    .symbol:         _ZN7rocprim17ROCPRIM_400000_NS6detail17trampoline_kernelINS0_14default_configENS1_22reduce_config_selectorIN6thrust23THRUST_200600_302600_NS5tupleIblNS6_9null_typeES8_S8_S8_S8_S8_S8_S8_EEEEZNS1_11reduce_implILb1ES3_NS6_12zip_iteratorINS7_INS6_11hip_rocprim26transform_input_iterator_tIbNSD_35transform_pair_of_input_iterators_tIbNS6_6detail15normal_iteratorINS6_10device_ptrIKyEEEESL_NS6_8equal_toIyEEEENSG_9not_fun_tINSD_8identityEEEEENSD_19counting_iterator_tIlEES8_S8_S8_S8_S8_S8_S8_S8_EEEEPS9_S9_NSD_9__find_if7functorIS9_EEEE10hipError_tPvRmT1_T2_T3_mT4_P12ihipStream_tbEUlT_E1_NS1_11comp_targetILNS1_3genE10ELNS1_11target_archE1201ELNS1_3gpuE5ELNS1_3repE0EEENS1_30default_config_static_selectorELNS0_4arch9wavefront6targetE0EEEvS14_.kd
    .uniform_work_group_size: 1
    .uses_dynamic_stack: false
    .vgpr_count:     0
    .vgpr_spill_count: 0
    .wavefront_size: 32
    .workgroup_processor_mode: 1
  - .args:
      - .offset:         0
        .size:           88
        .value_kind:     by_value
    .group_segment_fixed_size: 0
    .kernarg_segment_align: 8
    .kernarg_segment_size: 88
    .language:       OpenCL C
    .language_version:
      - 2
      - 0
    .max_flat_workgroup_size: 256
    .name:           _ZN7rocprim17ROCPRIM_400000_NS6detail17trampoline_kernelINS0_14default_configENS1_22reduce_config_selectorIN6thrust23THRUST_200600_302600_NS5tupleIblNS6_9null_typeES8_S8_S8_S8_S8_S8_S8_EEEEZNS1_11reduce_implILb1ES3_NS6_12zip_iteratorINS7_INS6_11hip_rocprim26transform_input_iterator_tIbNSD_35transform_pair_of_input_iterators_tIbNS6_6detail15normal_iteratorINS6_10device_ptrIKyEEEESL_NS6_8equal_toIyEEEENSG_9not_fun_tINSD_8identityEEEEENSD_19counting_iterator_tIlEES8_S8_S8_S8_S8_S8_S8_S8_EEEEPS9_S9_NSD_9__find_if7functorIS9_EEEE10hipError_tPvRmT1_T2_T3_mT4_P12ihipStream_tbEUlT_E1_NS1_11comp_targetILNS1_3genE10ELNS1_11target_archE1200ELNS1_3gpuE4ELNS1_3repE0EEENS1_30default_config_static_selectorELNS0_4arch9wavefront6targetE0EEEvS14_
    .private_segment_fixed_size: 0
    .sgpr_count:     0
    .sgpr_spill_count: 0
    .symbol:         _ZN7rocprim17ROCPRIM_400000_NS6detail17trampoline_kernelINS0_14default_configENS1_22reduce_config_selectorIN6thrust23THRUST_200600_302600_NS5tupleIblNS6_9null_typeES8_S8_S8_S8_S8_S8_S8_EEEEZNS1_11reduce_implILb1ES3_NS6_12zip_iteratorINS7_INS6_11hip_rocprim26transform_input_iterator_tIbNSD_35transform_pair_of_input_iterators_tIbNS6_6detail15normal_iteratorINS6_10device_ptrIKyEEEESL_NS6_8equal_toIyEEEENSG_9not_fun_tINSD_8identityEEEEENSD_19counting_iterator_tIlEES8_S8_S8_S8_S8_S8_S8_S8_EEEEPS9_S9_NSD_9__find_if7functorIS9_EEEE10hipError_tPvRmT1_T2_T3_mT4_P12ihipStream_tbEUlT_E1_NS1_11comp_targetILNS1_3genE10ELNS1_11target_archE1200ELNS1_3gpuE4ELNS1_3repE0EEENS1_30default_config_static_selectorELNS0_4arch9wavefront6targetE0EEEvS14_.kd
    .uniform_work_group_size: 1
    .uses_dynamic_stack: false
    .vgpr_count:     0
    .vgpr_spill_count: 0
    .wavefront_size: 32
    .workgroup_processor_mode: 1
  - .args:
      - .offset:         0
        .size:           88
        .value_kind:     by_value
    .group_segment_fixed_size: 640
    .kernarg_segment_align: 8
    .kernarg_segment_size: 88
    .language:       OpenCL C
    .language_version:
      - 2
      - 0
    .max_flat_workgroup_size: 256
    .name:           _ZN7rocprim17ROCPRIM_400000_NS6detail17trampoline_kernelINS0_14default_configENS1_22reduce_config_selectorIN6thrust23THRUST_200600_302600_NS5tupleIblNS6_9null_typeES8_S8_S8_S8_S8_S8_S8_EEEEZNS1_11reduce_implILb1ES3_NS6_12zip_iteratorINS7_INS6_11hip_rocprim26transform_input_iterator_tIbNSD_35transform_pair_of_input_iterators_tIbNS6_6detail15normal_iteratorINS6_10device_ptrIKyEEEESL_NS6_8equal_toIyEEEENSG_9not_fun_tINSD_8identityEEEEENSD_19counting_iterator_tIlEES8_S8_S8_S8_S8_S8_S8_S8_EEEEPS9_S9_NSD_9__find_if7functorIS9_EEEE10hipError_tPvRmT1_T2_T3_mT4_P12ihipStream_tbEUlT_E1_NS1_11comp_targetILNS1_3genE9ELNS1_11target_archE1100ELNS1_3gpuE3ELNS1_3repE0EEENS1_30default_config_static_selectorELNS0_4arch9wavefront6targetE0EEEvS14_
    .private_segment_fixed_size: 0
    .sgpr_count:     34
    .sgpr_spill_count: 0
    .symbol:         _ZN7rocprim17ROCPRIM_400000_NS6detail17trampoline_kernelINS0_14default_configENS1_22reduce_config_selectorIN6thrust23THRUST_200600_302600_NS5tupleIblNS6_9null_typeES8_S8_S8_S8_S8_S8_S8_EEEEZNS1_11reduce_implILb1ES3_NS6_12zip_iteratorINS7_INS6_11hip_rocprim26transform_input_iterator_tIbNSD_35transform_pair_of_input_iterators_tIbNS6_6detail15normal_iteratorINS6_10device_ptrIKyEEEESL_NS6_8equal_toIyEEEENSG_9not_fun_tINSD_8identityEEEEENSD_19counting_iterator_tIlEES8_S8_S8_S8_S8_S8_S8_S8_EEEEPS9_S9_NSD_9__find_if7functorIS9_EEEE10hipError_tPvRmT1_T2_T3_mT4_P12ihipStream_tbEUlT_E1_NS1_11comp_targetILNS1_3genE9ELNS1_11target_archE1100ELNS1_3gpuE3ELNS1_3repE0EEENS1_30default_config_static_selectorELNS0_4arch9wavefront6targetE0EEEvS14_.kd
    .uniform_work_group_size: 1
    .uses_dynamic_stack: false
    .vgpr_count:     34
    .vgpr_spill_count: 0
    .wavefront_size: 32
    .workgroup_processor_mode: 1
  - .args:
      - .offset:         0
        .size:           88
        .value_kind:     by_value
    .group_segment_fixed_size: 0
    .kernarg_segment_align: 8
    .kernarg_segment_size: 88
    .language:       OpenCL C
    .language_version:
      - 2
      - 0
    .max_flat_workgroup_size: 256
    .name:           _ZN7rocprim17ROCPRIM_400000_NS6detail17trampoline_kernelINS0_14default_configENS1_22reduce_config_selectorIN6thrust23THRUST_200600_302600_NS5tupleIblNS6_9null_typeES8_S8_S8_S8_S8_S8_S8_EEEEZNS1_11reduce_implILb1ES3_NS6_12zip_iteratorINS7_INS6_11hip_rocprim26transform_input_iterator_tIbNSD_35transform_pair_of_input_iterators_tIbNS6_6detail15normal_iteratorINS6_10device_ptrIKyEEEESL_NS6_8equal_toIyEEEENSG_9not_fun_tINSD_8identityEEEEENSD_19counting_iterator_tIlEES8_S8_S8_S8_S8_S8_S8_S8_EEEEPS9_S9_NSD_9__find_if7functorIS9_EEEE10hipError_tPvRmT1_T2_T3_mT4_P12ihipStream_tbEUlT_E1_NS1_11comp_targetILNS1_3genE8ELNS1_11target_archE1030ELNS1_3gpuE2ELNS1_3repE0EEENS1_30default_config_static_selectorELNS0_4arch9wavefront6targetE0EEEvS14_
    .private_segment_fixed_size: 0
    .sgpr_count:     0
    .sgpr_spill_count: 0
    .symbol:         _ZN7rocprim17ROCPRIM_400000_NS6detail17trampoline_kernelINS0_14default_configENS1_22reduce_config_selectorIN6thrust23THRUST_200600_302600_NS5tupleIblNS6_9null_typeES8_S8_S8_S8_S8_S8_S8_EEEEZNS1_11reduce_implILb1ES3_NS6_12zip_iteratorINS7_INS6_11hip_rocprim26transform_input_iterator_tIbNSD_35transform_pair_of_input_iterators_tIbNS6_6detail15normal_iteratorINS6_10device_ptrIKyEEEESL_NS6_8equal_toIyEEEENSG_9not_fun_tINSD_8identityEEEEENSD_19counting_iterator_tIlEES8_S8_S8_S8_S8_S8_S8_S8_EEEEPS9_S9_NSD_9__find_if7functorIS9_EEEE10hipError_tPvRmT1_T2_T3_mT4_P12ihipStream_tbEUlT_E1_NS1_11comp_targetILNS1_3genE8ELNS1_11target_archE1030ELNS1_3gpuE2ELNS1_3repE0EEENS1_30default_config_static_selectorELNS0_4arch9wavefront6targetE0EEEvS14_.kd
    .uniform_work_group_size: 1
    .uses_dynamic_stack: false
    .vgpr_count:     0
    .vgpr_spill_count: 0
    .wavefront_size: 32
    .workgroup_processor_mode: 1
  - .args:
      - .offset:         0
        .size:           104
        .value_kind:     by_value
    .group_segment_fixed_size: 0
    .kernarg_segment_align: 8
    .kernarg_segment_size: 104
    .language:       OpenCL C
    .language_version:
      - 2
      - 0
    .max_flat_workgroup_size: 128
    .name:           _ZN7rocprim17ROCPRIM_400000_NS6detail17trampoline_kernelINS0_14default_configENS1_22reduce_config_selectorIN6thrust23THRUST_200600_302600_NS5tupleIblNS6_9null_typeES8_S8_S8_S8_S8_S8_S8_EEEEZNS1_11reduce_implILb1ES3_NS6_12zip_iteratorINS7_INS6_11hip_rocprim26transform_input_iterator_tIbNSD_35transform_pair_of_input_iterators_tIbNS6_6detail15normal_iteratorINS6_10device_ptrIKjEEEESL_NS6_8equal_toIjEEEENSG_9not_fun_tINSD_8identityEEEEENSD_19counting_iterator_tIlEES8_S8_S8_S8_S8_S8_S8_S8_EEEEPS9_S9_NSD_9__find_if7functorIS9_EEEE10hipError_tPvRmT1_T2_T3_mT4_P12ihipStream_tbEUlT_E0_NS1_11comp_targetILNS1_3genE0ELNS1_11target_archE4294967295ELNS1_3gpuE0ELNS1_3repE0EEENS1_30default_config_static_selectorELNS0_4arch9wavefront6targetE0EEEvS14_
    .private_segment_fixed_size: 0
    .sgpr_count:     0
    .sgpr_spill_count: 0
    .symbol:         _ZN7rocprim17ROCPRIM_400000_NS6detail17trampoline_kernelINS0_14default_configENS1_22reduce_config_selectorIN6thrust23THRUST_200600_302600_NS5tupleIblNS6_9null_typeES8_S8_S8_S8_S8_S8_S8_EEEEZNS1_11reduce_implILb1ES3_NS6_12zip_iteratorINS7_INS6_11hip_rocprim26transform_input_iterator_tIbNSD_35transform_pair_of_input_iterators_tIbNS6_6detail15normal_iteratorINS6_10device_ptrIKjEEEESL_NS6_8equal_toIjEEEENSG_9not_fun_tINSD_8identityEEEEENSD_19counting_iterator_tIlEES8_S8_S8_S8_S8_S8_S8_S8_EEEEPS9_S9_NSD_9__find_if7functorIS9_EEEE10hipError_tPvRmT1_T2_T3_mT4_P12ihipStream_tbEUlT_E0_NS1_11comp_targetILNS1_3genE0ELNS1_11target_archE4294967295ELNS1_3gpuE0ELNS1_3repE0EEENS1_30default_config_static_selectorELNS0_4arch9wavefront6targetE0EEEvS14_.kd
    .uniform_work_group_size: 1
    .uses_dynamic_stack: false
    .vgpr_count:     0
    .vgpr_spill_count: 0
    .wavefront_size: 32
    .workgroup_processor_mode: 1
  - .args:
      - .offset:         0
        .size:           104
        .value_kind:     by_value
    .group_segment_fixed_size: 0
    .kernarg_segment_align: 8
    .kernarg_segment_size: 104
    .language:       OpenCL C
    .language_version:
      - 2
      - 0
    .max_flat_workgroup_size: 256
    .name:           _ZN7rocprim17ROCPRIM_400000_NS6detail17trampoline_kernelINS0_14default_configENS1_22reduce_config_selectorIN6thrust23THRUST_200600_302600_NS5tupleIblNS6_9null_typeES8_S8_S8_S8_S8_S8_S8_EEEEZNS1_11reduce_implILb1ES3_NS6_12zip_iteratorINS7_INS6_11hip_rocprim26transform_input_iterator_tIbNSD_35transform_pair_of_input_iterators_tIbNS6_6detail15normal_iteratorINS6_10device_ptrIKjEEEESL_NS6_8equal_toIjEEEENSG_9not_fun_tINSD_8identityEEEEENSD_19counting_iterator_tIlEES8_S8_S8_S8_S8_S8_S8_S8_EEEEPS9_S9_NSD_9__find_if7functorIS9_EEEE10hipError_tPvRmT1_T2_T3_mT4_P12ihipStream_tbEUlT_E0_NS1_11comp_targetILNS1_3genE5ELNS1_11target_archE942ELNS1_3gpuE9ELNS1_3repE0EEENS1_30default_config_static_selectorELNS0_4arch9wavefront6targetE0EEEvS14_
    .private_segment_fixed_size: 0
    .sgpr_count:     0
    .sgpr_spill_count: 0
    .symbol:         _ZN7rocprim17ROCPRIM_400000_NS6detail17trampoline_kernelINS0_14default_configENS1_22reduce_config_selectorIN6thrust23THRUST_200600_302600_NS5tupleIblNS6_9null_typeES8_S8_S8_S8_S8_S8_S8_EEEEZNS1_11reduce_implILb1ES3_NS6_12zip_iteratorINS7_INS6_11hip_rocprim26transform_input_iterator_tIbNSD_35transform_pair_of_input_iterators_tIbNS6_6detail15normal_iteratorINS6_10device_ptrIKjEEEESL_NS6_8equal_toIjEEEENSG_9not_fun_tINSD_8identityEEEEENSD_19counting_iterator_tIlEES8_S8_S8_S8_S8_S8_S8_S8_EEEEPS9_S9_NSD_9__find_if7functorIS9_EEEE10hipError_tPvRmT1_T2_T3_mT4_P12ihipStream_tbEUlT_E0_NS1_11comp_targetILNS1_3genE5ELNS1_11target_archE942ELNS1_3gpuE9ELNS1_3repE0EEENS1_30default_config_static_selectorELNS0_4arch9wavefront6targetE0EEEvS14_.kd
    .uniform_work_group_size: 1
    .uses_dynamic_stack: false
    .vgpr_count:     0
    .vgpr_spill_count: 0
    .wavefront_size: 32
    .workgroup_processor_mode: 1
  - .args:
      - .offset:         0
        .size:           104
        .value_kind:     by_value
    .group_segment_fixed_size: 0
    .kernarg_segment_align: 8
    .kernarg_segment_size: 104
    .language:       OpenCL C
    .language_version:
      - 2
      - 0
    .max_flat_workgroup_size: 256
    .name:           _ZN7rocprim17ROCPRIM_400000_NS6detail17trampoline_kernelINS0_14default_configENS1_22reduce_config_selectorIN6thrust23THRUST_200600_302600_NS5tupleIblNS6_9null_typeES8_S8_S8_S8_S8_S8_S8_EEEEZNS1_11reduce_implILb1ES3_NS6_12zip_iteratorINS7_INS6_11hip_rocprim26transform_input_iterator_tIbNSD_35transform_pair_of_input_iterators_tIbNS6_6detail15normal_iteratorINS6_10device_ptrIKjEEEESL_NS6_8equal_toIjEEEENSG_9not_fun_tINSD_8identityEEEEENSD_19counting_iterator_tIlEES8_S8_S8_S8_S8_S8_S8_S8_EEEEPS9_S9_NSD_9__find_if7functorIS9_EEEE10hipError_tPvRmT1_T2_T3_mT4_P12ihipStream_tbEUlT_E0_NS1_11comp_targetILNS1_3genE4ELNS1_11target_archE910ELNS1_3gpuE8ELNS1_3repE0EEENS1_30default_config_static_selectorELNS0_4arch9wavefront6targetE0EEEvS14_
    .private_segment_fixed_size: 0
    .sgpr_count:     0
    .sgpr_spill_count: 0
    .symbol:         _ZN7rocprim17ROCPRIM_400000_NS6detail17trampoline_kernelINS0_14default_configENS1_22reduce_config_selectorIN6thrust23THRUST_200600_302600_NS5tupleIblNS6_9null_typeES8_S8_S8_S8_S8_S8_S8_EEEEZNS1_11reduce_implILb1ES3_NS6_12zip_iteratorINS7_INS6_11hip_rocprim26transform_input_iterator_tIbNSD_35transform_pair_of_input_iterators_tIbNS6_6detail15normal_iteratorINS6_10device_ptrIKjEEEESL_NS6_8equal_toIjEEEENSG_9not_fun_tINSD_8identityEEEEENSD_19counting_iterator_tIlEES8_S8_S8_S8_S8_S8_S8_S8_EEEEPS9_S9_NSD_9__find_if7functorIS9_EEEE10hipError_tPvRmT1_T2_T3_mT4_P12ihipStream_tbEUlT_E0_NS1_11comp_targetILNS1_3genE4ELNS1_11target_archE910ELNS1_3gpuE8ELNS1_3repE0EEENS1_30default_config_static_selectorELNS0_4arch9wavefront6targetE0EEEvS14_.kd
    .uniform_work_group_size: 1
    .uses_dynamic_stack: false
    .vgpr_count:     0
    .vgpr_spill_count: 0
    .wavefront_size: 32
    .workgroup_processor_mode: 1
  - .args:
      - .offset:         0
        .size:           104
        .value_kind:     by_value
    .group_segment_fixed_size: 0
    .kernarg_segment_align: 8
    .kernarg_segment_size: 104
    .language:       OpenCL C
    .language_version:
      - 2
      - 0
    .max_flat_workgroup_size: 128
    .name:           _ZN7rocprim17ROCPRIM_400000_NS6detail17trampoline_kernelINS0_14default_configENS1_22reduce_config_selectorIN6thrust23THRUST_200600_302600_NS5tupleIblNS6_9null_typeES8_S8_S8_S8_S8_S8_S8_EEEEZNS1_11reduce_implILb1ES3_NS6_12zip_iteratorINS7_INS6_11hip_rocprim26transform_input_iterator_tIbNSD_35transform_pair_of_input_iterators_tIbNS6_6detail15normal_iteratorINS6_10device_ptrIKjEEEESL_NS6_8equal_toIjEEEENSG_9not_fun_tINSD_8identityEEEEENSD_19counting_iterator_tIlEES8_S8_S8_S8_S8_S8_S8_S8_EEEEPS9_S9_NSD_9__find_if7functorIS9_EEEE10hipError_tPvRmT1_T2_T3_mT4_P12ihipStream_tbEUlT_E0_NS1_11comp_targetILNS1_3genE3ELNS1_11target_archE908ELNS1_3gpuE7ELNS1_3repE0EEENS1_30default_config_static_selectorELNS0_4arch9wavefront6targetE0EEEvS14_
    .private_segment_fixed_size: 0
    .sgpr_count:     0
    .sgpr_spill_count: 0
    .symbol:         _ZN7rocprim17ROCPRIM_400000_NS6detail17trampoline_kernelINS0_14default_configENS1_22reduce_config_selectorIN6thrust23THRUST_200600_302600_NS5tupleIblNS6_9null_typeES8_S8_S8_S8_S8_S8_S8_EEEEZNS1_11reduce_implILb1ES3_NS6_12zip_iteratorINS7_INS6_11hip_rocprim26transform_input_iterator_tIbNSD_35transform_pair_of_input_iterators_tIbNS6_6detail15normal_iteratorINS6_10device_ptrIKjEEEESL_NS6_8equal_toIjEEEENSG_9not_fun_tINSD_8identityEEEEENSD_19counting_iterator_tIlEES8_S8_S8_S8_S8_S8_S8_S8_EEEEPS9_S9_NSD_9__find_if7functorIS9_EEEE10hipError_tPvRmT1_T2_T3_mT4_P12ihipStream_tbEUlT_E0_NS1_11comp_targetILNS1_3genE3ELNS1_11target_archE908ELNS1_3gpuE7ELNS1_3repE0EEENS1_30default_config_static_selectorELNS0_4arch9wavefront6targetE0EEEvS14_.kd
    .uniform_work_group_size: 1
    .uses_dynamic_stack: false
    .vgpr_count:     0
    .vgpr_spill_count: 0
    .wavefront_size: 32
    .workgroup_processor_mode: 1
  - .args:
      - .offset:         0
        .size:           104
        .value_kind:     by_value
    .group_segment_fixed_size: 0
    .kernarg_segment_align: 8
    .kernarg_segment_size: 104
    .language:       OpenCL C
    .language_version:
      - 2
      - 0
    .max_flat_workgroup_size: 128
    .name:           _ZN7rocprim17ROCPRIM_400000_NS6detail17trampoline_kernelINS0_14default_configENS1_22reduce_config_selectorIN6thrust23THRUST_200600_302600_NS5tupleIblNS6_9null_typeES8_S8_S8_S8_S8_S8_S8_EEEEZNS1_11reduce_implILb1ES3_NS6_12zip_iteratorINS7_INS6_11hip_rocprim26transform_input_iterator_tIbNSD_35transform_pair_of_input_iterators_tIbNS6_6detail15normal_iteratorINS6_10device_ptrIKjEEEESL_NS6_8equal_toIjEEEENSG_9not_fun_tINSD_8identityEEEEENSD_19counting_iterator_tIlEES8_S8_S8_S8_S8_S8_S8_S8_EEEEPS9_S9_NSD_9__find_if7functorIS9_EEEE10hipError_tPvRmT1_T2_T3_mT4_P12ihipStream_tbEUlT_E0_NS1_11comp_targetILNS1_3genE2ELNS1_11target_archE906ELNS1_3gpuE6ELNS1_3repE0EEENS1_30default_config_static_selectorELNS0_4arch9wavefront6targetE0EEEvS14_
    .private_segment_fixed_size: 0
    .sgpr_count:     0
    .sgpr_spill_count: 0
    .symbol:         _ZN7rocprim17ROCPRIM_400000_NS6detail17trampoline_kernelINS0_14default_configENS1_22reduce_config_selectorIN6thrust23THRUST_200600_302600_NS5tupleIblNS6_9null_typeES8_S8_S8_S8_S8_S8_S8_EEEEZNS1_11reduce_implILb1ES3_NS6_12zip_iteratorINS7_INS6_11hip_rocprim26transform_input_iterator_tIbNSD_35transform_pair_of_input_iterators_tIbNS6_6detail15normal_iteratorINS6_10device_ptrIKjEEEESL_NS6_8equal_toIjEEEENSG_9not_fun_tINSD_8identityEEEEENSD_19counting_iterator_tIlEES8_S8_S8_S8_S8_S8_S8_S8_EEEEPS9_S9_NSD_9__find_if7functorIS9_EEEE10hipError_tPvRmT1_T2_T3_mT4_P12ihipStream_tbEUlT_E0_NS1_11comp_targetILNS1_3genE2ELNS1_11target_archE906ELNS1_3gpuE6ELNS1_3repE0EEENS1_30default_config_static_selectorELNS0_4arch9wavefront6targetE0EEEvS14_.kd
    .uniform_work_group_size: 1
    .uses_dynamic_stack: false
    .vgpr_count:     0
    .vgpr_spill_count: 0
    .wavefront_size: 32
    .workgroup_processor_mode: 1
  - .args:
      - .offset:         0
        .size:           104
        .value_kind:     by_value
    .group_segment_fixed_size: 0
    .kernarg_segment_align: 8
    .kernarg_segment_size: 104
    .language:       OpenCL C
    .language_version:
      - 2
      - 0
    .max_flat_workgroup_size: 256
    .name:           _ZN7rocprim17ROCPRIM_400000_NS6detail17trampoline_kernelINS0_14default_configENS1_22reduce_config_selectorIN6thrust23THRUST_200600_302600_NS5tupleIblNS6_9null_typeES8_S8_S8_S8_S8_S8_S8_EEEEZNS1_11reduce_implILb1ES3_NS6_12zip_iteratorINS7_INS6_11hip_rocprim26transform_input_iterator_tIbNSD_35transform_pair_of_input_iterators_tIbNS6_6detail15normal_iteratorINS6_10device_ptrIKjEEEESL_NS6_8equal_toIjEEEENSG_9not_fun_tINSD_8identityEEEEENSD_19counting_iterator_tIlEES8_S8_S8_S8_S8_S8_S8_S8_EEEEPS9_S9_NSD_9__find_if7functorIS9_EEEE10hipError_tPvRmT1_T2_T3_mT4_P12ihipStream_tbEUlT_E0_NS1_11comp_targetILNS1_3genE10ELNS1_11target_archE1201ELNS1_3gpuE5ELNS1_3repE0EEENS1_30default_config_static_selectorELNS0_4arch9wavefront6targetE0EEEvS14_
    .private_segment_fixed_size: 0
    .sgpr_count:     0
    .sgpr_spill_count: 0
    .symbol:         _ZN7rocprim17ROCPRIM_400000_NS6detail17trampoline_kernelINS0_14default_configENS1_22reduce_config_selectorIN6thrust23THRUST_200600_302600_NS5tupleIblNS6_9null_typeES8_S8_S8_S8_S8_S8_S8_EEEEZNS1_11reduce_implILb1ES3_NS6_12zip_iteratorINS7_INS6_11hip_rocprim26transform_input_iterator_tIbNSD_35transform_pair_of_input_iterators_tIbNS6_6detail15normal_iteratorINS6_10device_ptrIKjEEEESL_NS6_8equal_toIjEEEENSG_9not_fun_tINSD_8identityEEEEENSD_19counting_iterator_tIlEES8_S8_S8_S8_S8_S8_S8_S8_EEEEPS9_S9_NSD_9__find_if7functorIS9_EEEE10hipError_tPvRmT1_T2_T3_mT4_P12ihipStream_tbEUlT_E0_NS1_11comp_targetILNS1_3genE10ELNS1_11target_archE1201ELNS1_3gpuE5ELNS1_3repE0EEENS1_30default_config_static_selectorELNS0_4arch9wavefront6targetE0EEEvS14_.kd
    .uniform_work_group_size: 1
    .uses_dynamic_stack: false
    .vgpr_count:     0
    .vgpr_spill_count: 0
    .wavefront_size: 32
    .workgroup_processor_mode: 1
  - .args:
      - .offset:         0
        .size:           104
        .value_kind:     by_value
    .group_segment_fixed_size: 0
    .kernarg_segment_align: 8
    .kernarg_segment_size: 104
    .language:       OpenCL C
    .language_version:
      - 2
      - 0
    .max_flat_workgroup_size: 256
    .name:           _ZN7rocprim17ROCPRIM_400000_NS6detail17trampoline_kernelINS0_14default_configENS1_22reduce_config_selectorIN6thrust23THRUST_200600_302600_NS5tupleIblNS6_9null_typeES8_S8_S8_S8_S8_S8_S8_EEEEZNS1_11reduce_implILb1ES3_NS6_12zip_iteratorINS7_INS6_11hip_rocprim26transform_input_iterator_tIbNSD_35transform_pair_of_input_iterators_tIbNS6_6detail15normal_iteratorINS6_10device_ptrIKjEEEESL_NS6_8equal_toIjEEEENSG_9not_fun_tINSD_8identityEEEEENSD_19counting_iterator_tIlEES8_S8_S8_S8_S8_S8_S8_S8_EEEEPS9_S9_NSD_9__find_if7functorIS9_EEEE10hipError_tPvRmT1_T2_T3_mT4_P12ihipStream_tbEUlT_E0_NS1_11comp_targetILNS1_3genE10ELNS1_11target_archE1200ELNS1_3gpuE4ELNS1_3repE0EEENS1_30default_config_static_selectorELNS0_4arch9wavefront6targetE0EEEvS14_
    .private_segment_fixed_size: 0
    .sgpr_count:     0
    .sgpr_spill_count: 0
    .symbol:         _ZN7rocprim17ROCPRIM_400000_NS6detail17trampoline_kernelINS0_14default_configENS1_22reduce_config_selectorIN6thrust23THRUST_200600_302600_NS5tupleIblNS6_9null_typeES8_S8_S8_S8_S8_S8_S8_EEEEZNS1_11reduce_implILb1ES3_NS6_12zip_iteratorINS7_INS6_11hip_rocprim26transform_input_iterator_tIbNSD_35transform_pair_of_input_iterators_tIbNS6_6detail15normal_iteratorINS6_10device_ptrIKjEEEESL_NS6_8equal_toIjEEEENSG_9not_fun_tINSD_8identityEEEEENSD_19counting_iterator_tIlEES8_S8_S8_S8_S8_S8_S8_S8_EEEEPS9_S9_NSD_9__find_if7functorIS9_EEEE10hipError_tPvRmT1_T2_T3_mT4_P12ihipStream_tbEUlT_E0_NS1_11comp_targetILNS1_3genE10ELNS1_11target_archE1200ELNS1_3gpuE4ELNS1_3repE0EEENS1_30default_config_static_selectorELNS0_4arch9wavefront6targetE0EEEvS14_.kd
    .uniform_work_group_size: 1
    .uses_dynamic_stack: false
    .vgpr_count:     0
    .vgpr_spill_count: 0
    .wavefront_size: 32
    .workgroup_processor_mode: 1
  - .args:
      - .offset:         0
        .size:           104
        .value_kind:     by_value
    .group_segment_fixed_size: 256
    .kernarg_segment_align: 8
    .kernarg_segment_size: 104
    .language:       OpenCL C
    .language_version:
      - 2
      - 0
    .max_flat_workgroup_size: 256
    .name:           _ZN7rocprim17ROCPRIM_400000_NS6detail17trampoline_kernelINS0_14default_configENS1_22reduce_config_selectorIN6thrust23THRUST_200600_302600_NS5tupleIblNS6_9null_typeES8_S8_S8_S8_S8_S8_S8_EEEEZNS1_11reduce_implILb1ES3_NS6_12zip_iteratorINS7_INS6_11hip_rocprim26transform_input_iterator_tIbNSD_35transform_pair_of_input_iterators_tIbNS6_6detail15normal_iteratorINS6_10device_ptrIKjEEEESL_NS6_8equal_toIjEEEENSG_9not_fun_tINSD_8identityEEEEENSD_19counting_iterator_tIlEES8_S8_S8_S8_S8_S8_S8_S8_EEEEPS9_S9_NSD_9__find_if7functorIS9_EEEE10hipError_tPvRmT1_T2_T3_mT4_P12ihipStream_tbEUlT_E0_NS1_11comp_targetILNS1_3genE9ELNS1_11target_archE1100ELNS1_3gpuE3ELNS1_3repE0EEENS1_30default_config_static_selectorELNS0_4arch9wavefront6targetE0EEEvS14_
    .private_segment_fixed_size: 0
    .sgpr_count:     30
    .sgpr_spill_count: 0
    .symbol:         _ZN7rocprim17ROCPRIM_400000_NS6detail17trampoline_kernelINS0_14default_configENS1_22reduce_config_selectorIN6thrust23THRUST_200600_302600_NS5tupleIblNS6_9null_typeES8_S8_S8_S8_S8_S8_S8_EEEEZNS1_11reduce_implILb1ES3_NS6_12zip_iteratorINS7_INS6_11hip_rocprim26transform_input_iterator_tIbNSD_35transform_pair_of_input_iterators_tIbNS6_6detail15normal_iteratorINS6_10device_ptrIKjEEEESL_NS6_8equal_toIjEEEENSG_9not_fun_tINSD_8identityEEEEENSD_19counting_iterator_tIlEES8_S8_S8_S8_S8_S8_S8_S8_EEEEPS9_S9_NSD_9__find_if7functorIS9_EEEE10hipError_tPvRmT1_T2_T3_mT4_P12ihipStream_tbEUlT_E0_NS1_11comp_targetILNS1_3genE9ELNS1_11target_archE1100ELNS1_3gpuE3ELNS1_3repE0EEENS1_30default_config_static_selectorELNS0_4arch9wavefront6targetE0EEEvS14_.kd
    .uniform_work_group_size: 1
    .uses_dynamic_stack: false
    .vgpr_count:     16
    .vgpr_spill_count: 0
    .wavefront_size: 32
    .workgroup_processor_mode: 1
  - .args:
      - .offset:         0
        .size:           104
        .value_kind:     by_value
    .group_segment_fixed_size: 0
    .kernarg_segment_align: 8
    .kernarg_segment_size: 104
    .language:       OpenCL C
    .language_version:
      - 2
      - 0
    .max_flat_workgroup_size: 256
    .name:           _ZN7rocprim17ROCPRIM_400000_NS6detail17trampoline_kernelINS0_14default_configENS1_22reduce_config_selectorIN6thrust23THRUST_200600_302600_NS5tupleIblNS6_9null_typeES8_S8_S8_S8_S8_S8_S8_EEEEZNS1_11reduce_implILb1ES3_NS6_12zip_iteratorINS7_INS6_11hip_rocprim26transform_input_iterator_tIbNSD_35transform_pair_of_input_iterators_tIbNS6_6detail15normal_iteratorINS6_10device_ptrIKjEEEESL_NS6_8equal_toIjEEEENSG_9not_fun_tINSD_8identityEEEEENSD_19counting_iterator_tIlEES8_S8_S8_S8_S8_S8_S8_S8_EEEEPS9_S9_NSD_9__find_if7functorIS9_EEEE10hipError_tPvRmT1_T2_T3_mT4_P12ihipStream_tbEUlT_E0_NS1_11comp_targetILNS1_3genE8ELNS1_11target_archE1030ELNS1_3gpuE2ELNS1_3repE0EEENS1_30default_config_static_selectorELNS0_4arch9wavefront6targetE0EEEvS14_
    .private_segment_fixed_size: 0
    .sgpr_count:     0
    .sgpr_spill_count: 0
    .symbol:         _ZN7rocprim17ROCPRIM_400000_NS6detail17trampoline_kernelINS0_14default_configENS1_22reduce_config_selectorIN6thrust23THRUST_200600_302600_NS5tupleIblNS6_9null_typeES8_S8_S8_S8_S8_S8_S8_EEEEZNS1_11reduce_implILb1ES3_NS6_12zip_iteratorINS7_INS6_11hip_rocprim26transform_input_iterator_tIbNSD_35transform_pair_of_input_iterators_tIbNS6_6detail15normal_iteratorINS6_10device_ptrIKjEEEESL_NS6_8equal_toIjEEEENSG_9not_fun_tINSD_8identityEEEEENSD_19counting_iterator_tIlEES8_S8_S8_S8_S8_S8_S8_S8_EEEEPS9_S9_NSD_9__find_if7functorIS9_EEEE10hipError_tPvRmT1_T2_T3_mT4_P12ihipStream_tbEUlT_E0_NS1_11comp_targetILNS1_3genE8ELNS1_11target_archE1030ELNS1_3gpuE2ELNS1_3repE0EEENS1_30default_config_static_selectorELNS0_4arch9wavefront6targetE0EEEvS14_.kd
    .uniform_work_group_size: 1
    .uses_dynamic_stack: false
    .vgpr_count:     0
    .vgpr_spill_count: 0
    .wavefront_size: 32
    .workgroup_processor_mode: 1
  - .args:
      - .offset:         0
        .size:           88
        .value_kind:     by_value
    .group_segment_fixed_size: 0
    .kernarg_segment_align: 8
    .kernarg_segment_size: 88
    .language:       OpenCL C
    .language_version:
      - 2
      - 0
    .max_flat_workgroup_size: 128
    .name:           _ZN7rocprim17ROCPRIM_400000_NS6detail17trampoline_kernelINS0_14default_configENS1_22reduce_config_selectorIN6thrust23THRUST_200600_302600_NS5tupleIblNS6_9null_typeES8_S8_S8_S8_S8_S8_S8_EEEEZNS1_11reduce_implILb1ES3_NS6_12zip_iteratorINS7_INS6_11hip_rocprim26transform_input_iterator_tIbNSD_35transform_pair_of_input_iterators_tIbNS6_6detail15normal_iteratorINS6_10device_ptrIKjEEEESL_NS6_8equal_toIjEEEENSG_9not_fun_tINSD_8identityEEEEENSD_19counting_iterator_tIlEES8_S8_S8_S8_S8_S8_S8_S8_EEEEPS9_S9_NSD_9__find_if7functorIS9_EEEE10hipError_tPvRmT1_T2_T3_mT4_P12ihipStream_tbEUlT_E1_NS1_11comp_targetILNS1_3genE0ELNS1_11target_archE4294967295ELNS1_3gpuE0ELNS1_3repE0EEENS1_30default_config_static_selectorELNS0_4arch9wavefront6targetE0EEEvS14_
    .private_segment_fixed_size: 0
    .sgpr_count:     0
    .sgpr_spill_count: 0
    .symbol:         _ZN7rocprim17ROCPRIM_400000_NS6detail17trampoline_kernelINS0_14default_configENS1_22reduce_config_selectorIN6thrust23THRUST_200600_302600_NS5tupleIblNS6_9null_typeES8_S8_S8_S8_S8_S8_S8_EEEEZNS1_11reduce_implILb1ES3_NS6_12zip_iteratorINS7_INS6_11hip_rocprim26transform_input_iterator_tIbNSD_35transform_pair_of_input_iterators_tIbNS6_6detail15normal_iteratorINS6_10device_ptrIKjEEEESL_NS6_8equal_toIjEEEENSG_9not_fun_tINSD_8identityEEEEENSD_19counting_iterator_tIlEES8_S8_S8_S8_S8_S8_S8_S8_EEEEPS9_S9_NSD_9__find_if7functorIS9_EEEE10hipError_tPvRmT1_T2_T3_mT4_P12ihipStream_tbEUlT_E1_NS1_11comp_targetILNS1_3genE0ELNS1_11target_archE4294967295ELNS1_3gpuE0ELNS1_3repE0EEENS1_30default_config_static_selectorELNS0_4arch9wavefront6targetE0EEEvS14_.kd
    .uniform_work_group_size: 1
    .uses_dynamic_stack: false
    .vgpr_count:     0
    .vgpr_spill_count: 0
    .wavefront_size: 32
    .workgroup_processor_mode: 1
  - .args:
      - .offset:         0
        .size:           88
        .value_kind:     by_value
    .group_segment_fixed_size: 0
    .kernarg_segment_align: 8
    .kernarg_segment_size: 88
    .language:       OpenCL C
    .language_version:
      - 2
      - 0
    .max_flat_workgroup_size: 256
    .name:           _ZN7rocprim17ROCPRIM_400000_NS6detail17trampoline_kernelINS0_14default_configENS1_22reduce_config_selectorIN6thrust23THRUST_200600_302600_NS5tupleIblNS6_9null_typeES8_S8_S8_S8_S8_S8_S8_EEEEZNS1_11reduce_implILb1ES3_NS6_12zip_iteratorINS7_INS6_11hip_rocprim26transform_input_iterator_tIbNSD_35transform_pair_of_input_iterators_tIbNS6_6detail15normal_iteratorINS6_10device_ptrIKjEEEESL_NS6_8equal_toIjEEEENSG_9not_fun_tINSD_8identityEEEEENSD_19counting_iterator_tIlEES8_S8_S8_S8_S8_S8_S8_S8_EEEEPS9_S9_NSD_9__find_if7functorIS9_EEEE10hipError_tPvRmT1_T2_T3_mT4_P12ihipStream_tbEUlT_E1_NS1_11comp_targetILNS1_3genE5ELNS1_11target_archE942ELNS1_3gpuE9ELNS1_3repE0EEENS1_30default_config_static_selectorELNS0_4arch9wavefront6targetE0EEEvS14_
    .private_segment_fixed_size: 0
    .sgpr_count:     0
    .sgpr_spill_count: 0
    .symbol:         _ZN7rocprim17ROCPRIM_400000_NS6detail17trampoline_kernelINS0_14default_configENS1_22reduce_config_selectorIN6thrust23THRUST_200600_302600_NS5tupleIblNS6_9null_typeES8_S8_S8_S8_S8_S8_S8_EEEEZNS1_11reduce_implILb1ES3_NS6_12zip_iteratorINS7_INS6_11hip_rocprim26transform_input_iterator_tIbNSD_35transform_pair_of_input_iterators_tIbNS6_6detail15normal_iteratorINS6_10device_ptrIKjEEEESL_NS6_8equal_toIjEEEENSG_9not_fun_tINSD_8identityEEEEENSD_19counting_iterator_tIlEES8_S8_S8_S8_S8_S8_S8_S8_EEEEPS9_S9_NSD_9__find_if7functorIS9_EEEE10hipError_tPvRmT1_T2_T3_mT4_P12ihipStream_tbEUlT_E1_NS1_11comp_targetILNS1_3genE5ELNS1_11target_archE942ELNS1_3gpuE9ELNS1_3repE0EEENS1_30default_config_static_selectorELNS0_4arch9wavefront6targetE0EEEvS14_.kd
    .uniform_work_group_size: 1
    .uses_dynamic_stack: false
    .vgpr_count:     0
    .vgpr_spill_count: 0
    .wavefront_size: 32
    .workgroup_processor_mode: 1
  - .args:
      - .offset:         0
        .size:           88
        .value_kind:     by_value
    .group_segment_fixed_size: 0
    .kernarg_segment_align: 8
    .kernarg_segment_size: 88
    .language:       OpenCL C
    .language_version:
      - 2
      - 0
    .max_flat_workgroup_size: 256
    .name:           _ZN7rocprim17ROCPRIM_400000_NS6detail17trampoline_kernelINS0_14default_configENS1_22reduce_config_selectorIN6thrust23THRUST_200600_302600_NS5tupleIblNS6_9null_typeES8_S8_S8_S8_S8_S8_S8_EEEEZNS1_11reduce_implILb1ES3_NS6_12zip_iteratorINS7_INS6_11hip_rocprim26transform_input_iterator_tIbNSD_35transform_pair_of_input_iterators_tIbNS6_6detail15normal_iteratorINS6_10device_ptrIKjEEEESL_NS6_8equal_toIjEEEENSG_9not_fun_tINSD_8identityEEEEENSD_19counting_iterator_tIlEES8_S8_S8_S8_S8_S8_S8_S8_EEEEPS9_S9_NSD_9__find_if7functorIS9_EEEE10hipError_tPvRmT1_T2_T3_mT4_P12ihipStream_tbEUlT_E1_NS1_11comp_targetILNS1_3genE4ELNS1_11target_archE910ELNS1_3gpuE8ELNS1_3repE0EEENS1_30default_config_static_selectorELNS0_4arch9wavefront6targetE0EEEvS14_
    .private_segment_fixed_size: 0
    .sgpr_count:     0
    .sgpr_spill_count: 0
    .symbol:         _ZN7rocprim17ROCPRIM_400000_NS6detail17trampoline_kernelINS0_14default_configENS1_22reduce_config_selectorIN6thrust23THRUST_200600_302600_NS5tupleIblNS6_9null_typeES8_S8_S8_S8_S8_S8_S8_EEEEZNS1_11reduce_implILb1ES3_NS6_12zip_iteratorINS7_INS6_11hip_rocprim26transform_input_iterator_tIbNSD_35transform_pair_of_input_iterators_tIbNS6_6detail15normal_iteratorINS6_10device_ptrIKjEEEESL_NS6_8equal_toIjEEEENSG_9not_fun_tINSD_8identityEEEEENSD_19counting_iterator_tIlEES8_S8_S8_S8_S8_S8_S8_S8_EEEEPS9_S9_NSD_9__find_if7functorIS9_EEEE10hipError_tPvRmT1_T2_T3_mT4_P12ihipStream_tbEUlT_E1_NS1_11comp_targetILNS1_3genE4ELNS1_11target_archE910ELNS1_3gpuE8ELNS1_3repE0EEENS1_30default_config_static_selectorELNS0_4arch9wavefront6targetE0EEEvS14_.kd
    .uniform_work_group_size: 1
    .uses_dynamic_stack: false
    .vgpr_count:     0
    .vgpr_spill_count: 0
    .wavefront_size: 32
    .workgroup_processor_mode: 1
  - .args:
      - .offset:         0
        .size:           88
        .value_kind:     by_value
    .group_segment_fixed_size: 0
    .kernarg_segment_align: 8
    .kernarg_segment_size: 88
    .language:       OpenCL C
    .language_version:
      - 2
      - 0
    .max_flat_workgroup_size: 128
    .name:           _ZN7rocprim17ROCPRIM_400000_NS6detail17trampoline_kernelINS0_14default_configENS1_22reduce_config_selectorIN6thrust23THRUST_200600_302600_NS5tupleIblNS6_9null_typeES8_S8_S8_S8_S8_S8_S8_EEEEZNS1_11reduce_implILb1ES3_NS6_12zip_iteratorINS7_INS6_11hip_rocprim26transform_input_iterator_tIbNSD_35transform_pair_of_input_iterators_tIbNS6_6detail15normal_iteratorINS6_10device_ptrIKjEEEESL_NS6_8equal_toIjEEEENSG_9not_fun_tINSD_8identityEEEEENSD_19counting_iterator_tIlEES8_S8_S8_S8_S8_S8_S8_S8_EEEEPS9_S9_NSD_9__find_if7functorIS9_EEEE10hipError_tPvRmT1_T2_T3_mT4_P12ihipStream_tbEUlT_E1_NS1_11comp_targetILNS1_3genE3ELNS1_11target_archE908ELNS1_3gpuE7ELNS1_3repE0EEENS1_30default_config_static_selectorELNS0_4arch9wavefront6targetE0EEEvS14_
    .private_segment_fixed_size: 0
    .sgpr_count:     0
    .sgpr_spill_count: 0
    .symbol:         _ZN7rocprim17ROCPRIM_400000_NS6detail17trampoline_kernelINS0_14default_configENS1_22reduce_config_selectorIN6thrust23THRUST_200600_302600_NS5tupleIblNS6_9null_typeES8_S8_S8_S8_S8_S8_S8_EEEEZNS1_11reduce_implILb1ES3_NS6_12zip_iteratorINS7_INS6_11hip_rocprim26transform_input_iterator_tIbNSD_35transform_pair_of_input_iterators_tIbNS6_6detail15normal_iteratorINS6_10device_ptrIKjEEEESL_NS6_8equal_toIjEEEENSG_9not_fun_tINSD_8identityEEEEENSD_19counting_iterator_tIlEES8_S8_S8_S8_S8_S8_S8_S8_EEEEPS9_S9_NSD_9__find_if7functorIS9_EEEE10hipError_tPvRmT1_T2_T3_mT4_P12ihipStream_tbEUlT_E1_NS1_11comp_targetILNS1_3genE3ELNS1_11target_archE908ELNS1_3gpuE7ELNS1_3repE0EEENS1_30default_config_static_selectorELNS0_4arch9wavefront6targetE0EEEvS14_.kd
    .uniform_work_group_size: 1
    .uses_dynamic_stack: false
    .vgpr_count:     0
    .vgpr_spill_count: 0
    .wavefront_size: 32
    .workgroup_processor_mode: 1
  - .args:
      - .offset:         0
        .size:           88
        .value_kind:     by_value
    .group_segment_fixed_size: 0
    .kernarg_segment_align: 8
    .kernarg_segment_size: 88
    .language:       OpenCL C
    .language_version:
      - 2
      - 0
    .max_flat_workgroup_size: 128
    .name:           _ZN7rocprim17ROCPRIM_400000_NS6detail17trampoline_kernelINS0_14default_configENS1_22reduce_config_selectorIN6thrust23THRUST_200600_302600_NS5tupleIblNS6_9null_typeES8_S8_S8_S8_S8_S8_S8_EEEEZNS1_11reduce_implILb1ES3_NS6_12zip_iteratorINS7_INS6_11hip_rocprim26transform_input_iterator_tIbNSD_35transform_pair_of_input_iterators_tIbNS6_6detail15normal_iteratorINS6_10device_ptrIKjEEEESL_NS6_8equal_toIjEEEENSG_9not_fun_tINSD_8identityEEEEENSD_19counting_iterator_tIlEES8_S8_S8_S8_S8_S8_S8_S8_EEEEPS9_S9_NSD_9__find_if7functorIS9_EEEE10hipError_tPvRmT1_T2_T3_mT4_P12ihipStream_tbEUlT_E1_NS1_11comp_targetILNS1_3genE2ELNS1_11target_archE906ELNS1_3gpuE6ELNS1_3repE0EEENS1_30default_config_static_selectorELNS0_4arch9wavefront6targetE0EEEvS14_
    .private_segment_fixed_size: 0
    .sgpr_count:     0
    .sgpr_spill_count: 0
    .symbol:         _ZN7rocprim17ROCPRIM_400000_NS6detail17trampoline_kernelINS0_14default_configENS1_22reduce_config_selectorIN6thrust23THRUST_200600_302600_NS5tupleIblNS6_9null_typeES8_S8_S8_S8_S8_S8_S8_EEEEZNS1_11reduce_implILb1ES3_NS6_12zip_iteratorINS7_INS6_11hip_rocprim26transform_input_iterator_tIbNSD_35transform_pair_of_input_iterators_tIbNS6_6detail15normal_iteratorINS6_10device_ptrIKjEEEESL_NS6_8equal_toIjEEEENSG_9not_fun_tINSD_8identityEEEEENSD_19counting_iterator_tIlEES8_S8_S8_S8_S8_S8_S8_S8_EEEEPS9_S9_NSD_9__find_if7functorIS9_EEEE10hipError_tPvRmT1_T2_T3_mT4_P12ihipStream_tbEUlT_E1_NS1_11comp_targetILNS1_3genE2ELNS1_11target_archE906ELNS1_3gpuE6ELNS1_3repE0EEENS1_30default_config_static_selectorELNS0_4arch9wavefront6targetE0EEEvS14_.kd
    .uniform_work_group_size: 1
    .uses_dynamic_stack: false
    .vgpr_count:     0
    .vgpr_spill_count: 0
    .wavefront_size: 32
    .workgroup_processor_mode: 1
  - .args:
      - .offset:         0
        .size:           88
        .value_kind:     by_value
    .group_segment_fixed_size: 0
    .kernarg_segment_align: 8
    .kernarg_segment_size: 88
    .language:       OpenCL C
    .language_version:
      - 2
      - 0
    .max_flat_workgroup_size: 256
    .name:           _ZN7rocprim17ROCPRIM_400000_NS6detail17trampoline_kernelINS0_14default_configENS1_22reduce_config_selectorIN6thrust23THRUST_200600_302600_NS5tupleIblNS6_9null_typeES8_S8_S8_S8_S8_S8_S8_EEEEZNS1_11reduce_implILb1ES3_NS6_12zip_iteratorINS7_INS6_11hip_rocprim26transform_input_iterator_tIbNSD_35transform_pair_of_input_iterators_tIbNS6_6detail15normal_iteratorINS6_10device_ptrIKjEEEESL_NS6_8equal_toIjEEEENSG_9not_fun_tINSD_8identityEEEEENSD_19counting_iterator_tIlEES8_S8_S8_S8_S8_S8_S8_S8_EEEEPS9_S9_NSD_9__find_if7functorIS9_EEEE10hipError_tPvRmT1_T2_T3_mT4_P12ihipStream_tbEUlT_E1_NS1_11comp_targetILNS1_3genE10ELNS1_11target_archE1201ELNS1_3gpuE5ELNS1_3repE0EEENS1_30default_config_static_selectorELNS0_4arch9wavefront6targetE0EEEvS14_
    .private_segment_fixed_size: 0
    .sgpr_count:     0
    .sgpr_spill_count: 0
    .symbol:         _ZN7rocprim17ROCPRIM_400000_NS6detail17trampoline_kernelINS0_14default_configENS1_22reduce_config_selectorIN6thrust23THRUST_200600_302600_NS5tupleIblNS6_9null_typeES8_S8_S8_S8_S8_S8_S8_EEEEZNS1_11reduce_implILb1ES3_NS6_12zip_iteratorINS7_INS6_11hip_rocprim26transform_input_iterator_tIbNSD_35transform_pair_of_input_iterators_tIbNS6_6detail15normal_iteratorINS6_10device_ptrIKjEEEESL_NS6_8equal_toIjEEEENSG_9not_fun_tINSD_8identityEEEEENSD_19counting_iterator_tIlEES8_S8_S8_S8_S8_S8_S8_S8_EEEEPS9_S9_NSD_9__find_if7functorIS9_EEEE10hipError_tPvRmT1_T2_T3_mT4_P12ihipStream_tbEUlT_E1_NS1_11comp_targetILNS1_3genE10ELNS1_11target_archE1201ELNS1_3gpuE5ELNS1_3repE0EEENS1_30default_config_static_selectorELNS0_4arch9wavefront6targetE0EEEvS14_.kd
    .uniform_work_group_size: 1
    .uses_dynamic_stack: false
    .vgpr_count:     0
    .vgpr_spill_count: 0
    .wavefront_size: 32
    .workgroup_processor_mode: 1
  - .args:
      - .offset:         0
        .size:           88
        .value_kind:     by_value
    .group_segment_fixed_size: 0
    .kernarg_segment_align: 8
    .kernarg_segment_size: 88
    .language:       OpenCL C
    .language_version:
      - 2
      - 0
    .max_flat_workgroup_size: 256
    .name:           _ZN7rocprim17ROCPRIM_400000_NS6detail17trampoline_kernelINS0_14default_configENS1_22reduce_config_selectorIN6thrust23THRUST_200600_302600_NS5tupleIblNS6_9null_typeES8_S8_S8_S8_S8_S8_S8_EEEEZNS1_11reduce_implILb1ES3_NS6_12zip_iteratorINS7_INS6_11hip_rocprim26transform_input_iterator_tIbNSD_35transform_pair_of_input_iterators_tIbNS6_6detail15normal_iteratorINS6_10device_ptrIKjEEEESL_NS6_8equal_toIjEEEENSG_9not_fun_tINSD_8identityEEEEENSD_19counting_iterator_tIlEES8_S8_S8_S8_S8_S8_S8_S8_EEEEPS9_S9_NSD_9__find_if7functorIS9_EEEE10hipError_tPvRmT1_T2_T3_mT4_P12ihipStream_tbEUlT_E1_NS1_11comp_targetILNS1_3genE10ELNS1_11target_archE1200ELNS1_3gpuE4ELNS1_3repE0EEENS1_30default_config_static_selectorELNS0_4arch9wavefront6targetE0EEEvS14_
    .private_segment_fixed_size: 0
    .sgpr_count:     0
    .sgpr_spill_count: 0
    .symbol:         _ZN7rocprim17ROCPRIM_400000_NS6detail17trampoline_kernelINS0_14default_configENS1_22reduce_config_selectorIN6thrust23THRUST_200600_302600_NS5tupleIblNS6_9null_typeES8_S8_S8_S8_S8_S8_S8_EEEEZNS1_11reduce_implILb1ES3_NS6_12zip_iteratorINS7_INS6_11hip_rocprim26transform_input_iterator_tIbNSD_35transform_pair_of_input_iterators_tIbNS6_6detail15normal_iteratorINS6_10device_ptrIKjEEEESL_NS6_8equal_toIjEEEENSG_9not_fun_tINSD_8identityEEEEENSD_19counting_iterator_tIlEES8_S8_S8_S8_S8_S8_S8_S8_EEEEPS9_S9_NSD_9__find_if7functorIS9_EEEE10hipError_tPvRmT1_T2_T3_mT4_P12ihipStream_tbEUlT_E1_NS1_11comp_targetILNS1_3genE10ELNS1_11target_archE1200ELNS1_3gpuE4ELNS1_3repE0EEENS1_30default_config_static_selectorELNS0_4arch9wavefront6targetE0EEEvS14_.kd
    .uniform_work_group_size: 1
    .uses_dynamic_stack: false
    .vgpr_count:     0
    .vgpr_spill_count: 0
    .wavefront_size: 32
    .workgroup_processor_mode: 1
  - .args:
      - .offset:         0
        .size:           88
        .value_kind:     by_value
    .group_segment_fixed_size: 640
    .kernarg_segment_align: 8
    .kernarg_segment_size: 88
    .language:       OpenCL C
    .language_version:
      - 2
      - 0
    .max_flat_workgroup_size: 256
    .name:           _ZN7rocprim17ROCPRIM_400000_NS6detail17trampoline_kernelINS0_14default_configENS1_22reduce_config_selectorIN6thrust23THRUST_200600_302600_NS5tupleIblNS6_9null_typeES8_S8_S8_S8_S8_S8_S8_EEEEZNS1_11reduce_implILb1ES3_NS6_12zip_iteratorINS7_INS6_11hip_rocprim26transform_input_iterator_tIbNSD_35transform_pair_of_input_iterators_tIbNS6_6detail15normal_iteratorINS6_10device_ptrIKjEEEESL_NS6_8equal_toIjEEEENSG_9not_fun_tINSD_8identityEEEEENSD_19counting_iterator_tIlEES8_S8_S8_S8_S8_S8_S8_S8_EEEEPS9_S9_NSD_9__find_if7functorIS9_EEEE10hipError_tPvRmT1_T2_T3_mT4_P12ihipStream_tbEUlT_E1_NS1_11comp_targetILNS1_3genE9ELNS1_11target_archE1100ELNS1_3gpuE3ELNS1_3repE0EEENS1_30default_config_static_selectorELNS0_4arch9wavefront6targetE0EEEvS14_
    .private_segment_fixed_size: 0
    .sgpr_count:     34
    .sgpr_spill_count: 0
    .symbol:         _ZN7rocprim17ROCPRIM_400000_NS6detail17trampoline_kernelINS0_14default_configENS1_22reduce_config_selectorIN6thrust23THRUST_200600_302600_NS5tupleIblNS6_9null_typeES8_S8_S8_S8_S8_S8_S8_EEEEZNS1_11reduce_implILb1ES3_NS6_12zip_iteratorINS7_INS6_11hip_rocprim26transform_input_iterator_tIbNSD_35transform_pair_of_input_iterators_tIbNS6_6detail15normal_iteratorINS6_10device_ptrIKjEEEESL_NS6_8equal_toIjEEEENSG_9not_fun_tINSD_8identityEEEEENSD_19counting_iterator_tIlEES8_S8_S8_S8_S8_S8_S8_S8_EEEEPS9_S9_NSD_9__find_if7functorIS9_EEEE10hipError_tPvRmT1_T2_T3_mT4_P12ihipStream_tbEUlT_E1_NS1_11comp_targetILNS1_3genE9ELNS1_11target_archE1100ELNS1_3gpuE3ELNS1_3repE0EEENS1_30default_config_static_selectorELNS0_4arch9wavefront6targetE0EEEvS14_.kd
    .uniform_work_group_size: 1
    .uses_dynamic_stack: false
    .vgpr_count:     27
    .vgpr_spill_count: 0
    .wavefront_size: 32
    .workgroup_processor_mode: 1
  - .args:
      - .offset:         0
        .size:           88
        .value_kind:     by_value
    .group_segment_fixed_size: 0
    .kernarg_segment_align: 8
    .kernarg_segment_size: 88
    .language:       OpenCL C
    .language_version:
      - 2
      - 0
    .max_flat_workgroup_size: 256
    .name:           _ZN7rocprim17ROCPRIM_400000_NS6detail17trampoline_kernelINS0_14default_configENS1_22reduce_config_selectorIN6thrust23THRUST_200600_302600_NS5tupleIblNS6_9null_typeES8_S8_S8_S8_S8_S8_S8_EEEEZNS1_11reduce_implILb1ES3_NS6_12zip_iteratorINS7_INS6_11hip_rocprim26transform_input_iterator_tIbNSD_35transform_pair_of_input_iterators_tIbNS6_6detail15normal_iteratorINS6_10device_ptrIKjEEEESL_NS6_8equal_toIjEEEENSG_9not_fun_tINSD_8identityEEEEENSD_19counting_iterator_tIlEES8_S8_S8_S8_S8_S8_S8_S8_EEEEPS9_S9_NSD_9__find_if7functorIS9_EEEE10hipError_tPvRmT1_T2_T3_mT4_P12ihipStream_tbEUlT_E1_NS1_11comp_targetILNS1_3genE8ELNS1_11target_archE1030ELNS1_3gpuE2ELNS1_3repE0EEENS1_30default_config_static_selectorELNS0_4arch9wavefront6targetE0EEEvS14_
    .private_segment_fixed_size: 0
    .sgpr_count:     0
    .sgpr_spill_count: 0
    .symbol:         _ZN7rocprim17ROCPRIM_400000_NS6detail17trampoline_kernelINS0_14default_configENS1_22reduce_config_selectorIN6thrust23THRUST_200600_302600_NS5tupleIblNS6_9null_typeES8_S8_S8_S8_S8_S8_S8_EEEEZNS1_11reduce_implILb1ES3_NS6_12zip_iteratorINS7_INS6_11hip_rocprim26transform_input_iterator_tIbNSD_35transform_pair_of_input_iterators_tIbNS6_6detail15normal_iteratorINS6_10device_ptrIKjEEEESL_NS6_8equal_toIjEEEENSG_9not_fun_tINSD_8identityEEEEENSD_19counting_iterator_tIlEES8_S8_S8_S8_S8_S8_S8_S8_EEEEPS9_S9_NSD_9__find_if7functorIS9_EEEE10hipError_tPvRmT1_T2_T3_mT4_P12ihipStream_tbEUlT_E1_NS1_11comp_targetILNS1_3genE8ELNS1_11target_archE1030ELNS1_3gpuE2ELNS1_3repE0EEENS1_30default_config_static_selectorELNS0_4arch9wavefront6targetE0EEEvS14_.kd
    .uniform_work_group_size: 1
    .uses_dynamic_stack: false
    .vgpr_count:     0
    .vgpr_spill_count: 0
    .wavefront_size: 32
    .workgroup_processor_mode: 1
  - .args:
      - .offset:         0
        .size:           104
        .value_kind:     by_value
    .group_segment_fixed_size: 0
    .kernarg_segment_align: 8
    .kernarg_segment_size: 104
    .language:       OpenCL C
    .language_version:
      - 2
      - 0
    .max_flat_workgroup_size: 128
    .name:           _ZN7rocprim17ROCPRIM_400000_NS6detail17trampoline_kernelINS0_14default_configENS1_22reduce_config_selectorIN6thrust23THRUST_200600_302600_NS5tupleIblNS6_9null_typeES8_S8_S8_S8_S8_S8_S8_EEEEZNS1_11reduce_implILb1ES3_NS6_12zip_iteratorINS7_INS6_11hip_rocprim26transform_input_iterator_tIbNSD_35transform_pair_of_input_iterators_tIbNS6_6detail15normal_iteratorINS6_10device_ptrIKtEEEESL_NS6_8equal_toItEEEENSG_9not_fun_tINSD_8identityEEEEENSD_19counting_iterator_tIlEES8_S8_S8_S8_S8_S8_S8_S8_EEEEPS9_S9_NSD_9__find_if7functorIS9_EEEE10hipError_tPvRmT1_T2_T3_mT4_P12ihipStream_tbEUlT_E0_NS1_11comp_targetILNS1_3genE0ELNS1_11target_archE4294967295ELNS1_3gpuE0ELNS1_3repE0EEENS1_30default_config_static_selectorELNS0_4arch9wavefront6targetE0EEEvS14_
    .private_segment_fixed_size: 0
    .sgpr_count:     0
    .sgpr_spill_count: 0
    .symbol:         _ZN7rocprim17ROCPRIM_400000_NS6detail17trampoline_kernelINS0_14default_configENS1_22reduce_config_selectorIN6thrust23THRUST_200600_302600_NS5tupleIblNS6_9null_typeES8_S8_S8_S8_S8_S8_S8_EEEEZNS1_11reduce_implILb1ES3_NS6_12zip_iteratorINS7_INS6_11hip_rocprim26transform_input_iterator_tIbNSD_35transform_pair_of_input_iterators_tIbNS6_6detail15normal_iteratorINS6_10device_ptrIKtEEEESL_NS6_8equal_toItEEEENSG_9not_fun_tINSD_8identityEEEEENSD_19counting_iterator_tIlEES8_S8_S8_S8_S8_S8_S8_S8_EEEEPS9_S9_NSD_9__find_if7functorIS9_EEEE10hipError_tPvRmT1_T2_T3_mT4_P12ihipStream_tbEUlT_E0_NS1_11comp_targetILNS1_3genE0ELNS1_11target_archE4294967295ELNS1_3gpuE0ELNS1_3repE0EEENS1_30default_config_static_selectorELNS0_4arch9wavefront6targetE0EEEvS14_.kd
    .uniform_work_group_size: 1
    .uses_dynamic_stack: false
    .vgpr_count:     0
    .vgpr_spill_count: 0
    .wavefront_size: 32
    .workgroup_processor_mode: 1
  - .args:
      - .offset:         0
        .size:           104
        .value_kind:     by_value
    .group_segment_fixed_size: 0
    .kernarg_segment_align: 8
    .kernarg_segment_size: 104
    .language:       OpenCL C
    .language_version:
      - 2
      - 0
    .max_flat_workgroup_size: 256
    .name:           _ZN7rocprim17ROCPRIM_400000_NS6detail17trampoline_kernelINS0_14default_configENS1_22reduce_config_selectorIN6thrust23THRUST_200600_302600_NS5tupleIblNS6_9null_typeES8_S8_S8_S8_S8_S8_S8_EEEEZNS1_11reduce_implILb1ES3_NS6_12zip_iteratorINS7_INS6_11hip_rocprim26transform_input_iterator_tIbNSD_35transform_pair_of_input_iterators_tIbNS6_6detail15normal_iteratorINS6_10device_ptrIKtEEEESL_NS6_8equal_toItEEEENSG_9not_fun_tINSD_8identityEEEEENSD_19counting_iterator_tIlEES8_S8_S8_S8_S8_S8_S8_S8_EEEEPS9_S9_NSD_9__find_if7functorIS9_EEEE10hipError_tPvRmT1_T2_T3_mT4_P12ihipStream_tbEUlT_E0_NS1_11comp_targetILNS1_3genE5ELNS1_11target_archE942ELNS1_3gpuE9ELNS1_3repE0EEENS1_30default_config_static_selectorELNS0_4arch9wavefront6targetE0EEEvS14_
    .private_segment_fixed_size: 0
    .sgpr_count:     0
    .sgpr_spill_count: 0
    .symbol:         _ZN7rocprim17ROCPRIM_400000_NS6detail17trampoline_kernelINS0_14default_configENS1_22reduce_config_selectorIN6thrust23THRUST_200600_302600_NS5tupleIblNS6_9null_typeES8_S8_S8_S8_S8_S8_S8_EEEEZNS1_11reduce_implILb1ES3_NS6_12zip_iteratorINS7_INS6_11hip_rocprim26transform_input_iterator_tIbNSD_35transform_pair_of_input_iterators_tIbNS6_6detail15normal_iteratorINS6_10device_ptrIKtEEEESL_NS6_8equal_toItEEEENSG_9not_fun_tINSD_8identityEEEEENSD_19counting_iterator_tIlEES8_S8_S8_S8_S8_S8_S8_S8_EEEEPS9_S9_NSD_9__find_if7functorIS9_EEEE10hipError_tPvRmT1_T2_T3_mT4_P12ihipStream_tbEUlT_E0_NS1_11comp_targetILNS1_3genE5ELNS1_11target_archE942ELNS1_3gpuE9ELNS1_3repE0EEENS1_30default_config_static_selectorELNS0_4arch9wavefront6targetE0EEEvS14_.kd
    .uniform_work_group_size: 1
    .uses_dynamic_stack: false
    .vgpr_count:     0
    .vgpr_spill_count: 0
    .wavefront_size: 32
    .workgroup_processor_mode: 1
  - .args:
      - .offset:         0
        .size:           104
        .value_kind:     by_value
    .group_segment_fixed_size: 0
    .kernarg_segment_align: 8
    .kernarg_segment_size: 104
    .language:       OpenCL C
    .language_version:
      - 2
      - 0
    .max_flat_workgroup_size: 256
    .name:           _ZN7rocprim17ROCPRIM_400000_NS6detail17trampoline_kernelINS0_14default_configENS1_22reduce_config_selectorIN6thrust23THRUST_200600_302600_NS5tupleIblNS6_9null_typeES8_S8_S8_S8_S8_S8_S8_EEEEZNS1_11reduce_implILb1ES3_NS6_12zip_iteratorINS7_INS6_11hip_rocprim26transform_input_iterator_tIbNSD_35transform_pair_of_input_iterators_tIbNS6_6detail15normal_iteratorINS6_10device_ptrIKtEEEESL_NS6_8equal_toItEEEENSG_9not_fun_tINSD_8identityEEEEENSD_19counting_iterator_tIlEES8_S8_S8_S8_S8_S8_S8_S8_EEEEPS9_S9_NSD_9__find_if7functorIS9_EEEE10hipError_tPvRmT1_T2_T3_mT4_P12ihipStream_tbEUlT_E0_NS1_11comp_targetILNS1_3genE4ELNS1_11target_archE910ELNS1_3gpuE8ELNS1_3repE0EEENS1_30default_config_static_selectorELNS0_4arch9wavefront6targetE0EEEvS14_
    .private_segment_fixed_size: 0
    .sgpr_count:     0
    .sgpr_spill_count: 0
    .symbol:         _ZN7rocprim17ROCPRIM_400000_NS6detail17trampoline_kernelINS0_14default_configENS1_22reduce_config_selectorIN6thrust23THRUST_200600_302600_NS5tupleIblNS6_9null_typeES8_S8_S8_S8_S8_S8_S8_EEEEZNS1_11reduce_implILb1ES3_NS6_12zip_iteratorINS7_INS6_11hip_rocprim26transform_input_iterator_tIbNSD_35transform_pair_of_input_iterators_tIbNS6_6detail15normal_iteratorINS6_10device_ptrIKtEEEESL_NS6_8equal_toItEEEENSG_9not_fun_tINSD_8identityEEEEENSD_19counting_iterator_tIlEES8_S8_S8_S8_S8_S8_S8_S8_EEEEPS9_S9_NSD_9__find_if7functorIS9_EEEE10hipError_tPvRmT1_T2_T3_mT4_P12ihipStream_tbEUlT_E0_NS1_11comp_targetILNS1_3genE4ELNS1_11target_archE910ELNS1_3gpuE8ELNS1_3repE0EEENS1_30default_config_static_selectorELNS0_4arch9wavefront6targetE0EEEvS14_.kd
    .uniform_work_group_size: 1
    .uses_dynamic_stack: false
    .vgpr_count:     0
    .vgpr_spill_count: 0
    .wavefront_size: 32
    .workgroup_processor_mode: 1
  - .args:
      - .offset:         0
        .size:           104
        .value_kind:     by_value
    .group_segment_fixed_size: 0
    .kernarg_segment_align: 8
    .kernarg_segment_size: 104
    .language:       OpenCL C
    .language_version:
      - 2
      - 0
    .max_flat_workgroup_size: 128
    .name:           _ZN7rocprim17ROCPRIM_400000_NS6detail17trampoline_kernelINS0_14default_configENS1_22reduce_config_selectorIN6thrust23THRUST_200600_302600_NS5tupleIblNS6_9null_typeES8_S8_S8_S8_S8_S8_S8_EEEEZNS1_11reduce_implILb1ES3_NS6_12zip_iteratorINS7_INS6_11hip_rocprim26transform_input_iterator_tIbNSD_35transform_pair_of_input_iterators_tIbNS6_6detail15normal_iteratorINS6_10device_ptrIKtEEEESL_NS6_8equal_toItEEEENSG_9not_fun_tINSD_8identityEEEEENSD_19counting_iterator_tIlEES8_S8_S8_S8_S8_S8_S8_S8_EEEEPS9_S9_NSD_9__find_if7functorIS9_EEEE10hipError_tPvRmT1_T2_T3_mT4_P12ihipStream_tbEUlT_E0_NS1_11comp_targetILNS1_3genE3ELNS1_11target_archE908ELNS1_3gpuE7ELNS1_3repE0EEENS1_30default_config_static_selectorELNS0_4arch9wavefront6targetE0EEEvS14_
    .private_segment_fixed_size: 0
    .sgpr_count:     0
    .sgpr_spill_count: 0
    .symbol:         _ZN7rocprim17ROCPRIM_400000_NS6detail17trampoline_kernelINS0_14default_configENS1_22reduce_config_selectorIN6thrust23THRUST_200600_302600_NS5tupleIblNS6_9null_typeES8_S8_S8_S8_S8_S8_S8_EEEEZNS1_11reduce_implILb1ES3_NS6_12zip_iteratorINS7_INS6_11hip_rocprim26transform_input_iterator_tIbNSD_35transform_pair_of_input_iterators_tIbNS6_6detail15normal_iteratorINS6_10device_ptrIKtEEEESL_NS6_8equal_toItEEEENSG_9not_fun_tINSD_8identityEEEEENSD_19counting_iterator_tIlEES8_S8_S8_S8_S8_S8_S8_S8_EEEEPS9_S9_NSD_9__find_if7functorIS9_EEEE10hipError_tPvRmT1_T2_T3_mT4_P12ihipStream_tbEUlT_E0_NS1_11comp_targetILNS1_3genE3ELNS1_11target_archE908ELNS1_3gpuE7ELNS1_3repE0EEENS1_30default_config_static_selectorELNS0_4arch9wavefront6targetE0EEEvS14_.kd
    .uniform_work_group_size: 1
    .uses_dynamic_stack: false
    .vgpr_count:     0
    .vgpr_spill_count: 0
    .wavefront_size: 32
    .workgroup_processor_mode: 1
  - .args:
      - .offset:         0
        .size:           104
        .value_kind:     by_value
    .group_segment_fixed_size: 0
    .kernarg_segment_align: 8
    .kernarg_segment_size: 104
    .language:       OpenCL C
    .language_version:
      - 2
      - 0
    .max_flat_workgroup_size: 128
    .name:           _ZN7rocprim17ROCPRIM_400000_NS6detail17trampoline_kernelINS0_14default_configENS1_22reduce_config_selectorIN6thrust23THRUST_200600_302600_NS5tupleIblNS6_9null_typeES8_S8_S8_S8_S8_S8_S8_EEEEZNS1_11reduce_implILb1ES3_NS6_12zip_iteratorINS7_INS6_11hip_rocprim26transform_input_iterator_tIbNSD_35transform_pair_of_input_iterators_tIbNS6_6detail15normal_iteratorINS6_10device_ptrIKtEEEESL_NS6_8equal_toItEEEENSG_9not_fun_tINSD_8identityEEEEENSD_19counting_iterator_tIlEES8_S8_S8_S8_S8_S8_S8_S8_EEEEPS9_S9_NSD_9__find_if7functorIS9_EEEE10hipError_tPvRmT1_T2_T3_mT4_P12ihipStream_tbEUlT_E0_NS1_11comp_targetILNS1_3genE2ELNS1_11target_archE906ELNS1_3gpuE6ELNS1_3repE0EEENS1_30default_config_static_selectorELNS0_4arch9wavefront6targetE0EEEvS14_
    .private_segment_fixed_size: 0
    .sgpr_count:     0
    .sgpr_spill_count: 0
    .symbol:         _ZN7rocprim17ROCPRIM_400000_NS6detail17trampoline_kernelINS0_14default_configENS1_22reduce_config_selectorIN6thrust23THRUST_200600_302600_NS5tupleIblNS6_9null_typeES8_S8_S8_S8_S8_S8_S8_EEEEZNS1_11reduce_implILb1ES3_NS6_12zip_iteratorINS7_INS6_11hip_rocprim26transform_input_iterator_tIbNSD_35transform_pair_of_input_iterators_tIbNS6_6detail15normal_iteratorINS6_10device_ptrIKtEEEESL_NS6_8equal_toItEEEENSG_9not_fun_tINSD_8identityEEEEENSD_19counting_iterator_tIlEES8_S8_S8_S8_S8_S8_S8_S8_EEEEPS9_S9_NSD_9__find_if7functorIS9_EEEE10hipError_tPvRmT1_T2_T3_mT4_P12ihipStream_tbEUlT_E0_NS1_11comp_targetILNS1_3genE2ELNS1_11target_archE906ELNS1_3gpuE6ELNS1_3repE0EEENS1_30default_config_static_selectorELNS0_4arch9wavefront6targetE0EEEvS14_.kd
    .uniform_work_group_size: 1
    .uses_dynamic_stack: false
    .vgpr_count:     0
    .vgpr_spill_count: 0
    .wavefront_size: 32
    .workgroup_processor_mode: 1
  - .args:
      - .offset:         0
        .size:           104
        .value_kind:     by_value
    .group_segment_fixed_size: 0
    .kernarg_segment_align: 8
    .kernarg_segment_size: 104
    .language:       OpenCL C
    .language_version:
      - 2
      - 0
    .max_flat_workgroup_size: 256
    .name:           _ZN7rocprim17ROCPRIM_400000_NS6detail17trampoline_kernelINS0_14default_configENS1_22reduce_config_selectorIN6thrust23THRUST_200600_302600_NS5tupleIblNS6_9null_typeES8_S8_S8_S8_S8_S8_S8_EEEEZNS1_11reduce_implILb1ES3_NS6_12zip_iteratorINS7_INS6_11hip_rocprim26transform_input_iterator_tIbNSD_35transform_pair_of_input_iterators_tIbNS6_6detail15normal_iteratorINS6_10device_ptrIKtEEEESL_NS6_8equal_toItEEEENSG_9not_fun_tINSD_8identityEEEEENSD_19counting_iterator_tIlEES8_S8_S8_S8_S8_S8_S8_S8_EEEEPS9_S9_NSD_9__find_if7functorIS9_EEEE10hipError_tPvRmT1_T2_T3_mT4_P12ihipStream_tbEUlT_E0_NS1_11comp_targetILNS1_3genE10ELNS1_11target_archE1201ELNS1_3gpuE5ELNS1_3repE0EEENS1_30default_config_static_selectorELNS0_4arch9wavefront6targetE0EEEvS14_
    .private_segment_fixed_size: 0
    .sgpr_count:     0
    .sgpr_spill_count: 0
    .symbol:         _ZN7rocprim17ROCPRIM_400000_NS6detail17trampoline_kernelINS0_14default_configENS1_22reduce_config_selectorIN6thrust23THRUST_200600_302600_NS5tupleIblNS6_9null_typeES8_S8_S8_S8_S8_S8_S8_EEEEZNS1_11reduce_implILb1ES3_NS6_12zip_iteratorINS7_INS6_11hip_rocprim26transform_input_iterator_tIbNSD_35transform_pair_of_input_iterators_tIbNS6_6detail15normal_iteratorINS6_10device_ptrIKtEEEESL_NS6_8equal_toItEEEENSG_9not_fun_tINSD_8identityEEEEENSD_19counting_iterator_tIlEES8_S8_S8_S8_S8_S8_S8_S8_EEEEPS9_S9_NSD_9__find_if7functorIS9_EEEE10hipError_tPvRmT1_T2_T3_mT4_P12ihipStream_tbEUlT_E0_NS1_11comp_targetILNS1_3genE10ELNS1_11target_archE1201ELNS1_3gpuE5ELNS1_3repE0EEENS1_30default_config_static_selectorELNS0_4arch9wavefront6targetE0EEEvS14_.kd
    .uniform_work_group_size: 1
    .uses_dynamic_stack: false
    .vgpr_count:     0
    .vgpr_spill_count: 0
    .wavefront_size: 32
    .workgroup_processor_mode: 1
  - .args:
      - .offset:         0
        .size:           104
        .value_kind:     by_value
    .group_segment_fixed_size: 0
    .kernarg_segment_align: 8
    .kernarg_segment_size: 104
    .language:       OpenCL C
    .language_version:
      - 2
      - 0
    .max_flat_workgroup_size: 256
    .name:           _ZN7rocprim17ROCPRIM_400000_NS6detail17trampoline_kernelINS0_14default_configENS1_22reduce_config_selectorIN6thrust23THRUST_200600_302600_NS5tupleIblNS6_9null_typeES8_S8_S8_S8_S8_S8_S8_EEEEZNS1_11reduce_implILb1ES3_NS6_12zip_iteratorINS7_INS6_11hip_rocprim26transform_input_iterator_tIbNSD_35transform_pair_of_input_iterators_tIbNS6_6detail15normal_iteratorINS6_10device_ptrIKtEEEESL_NS6_8equal_toItEEEENSG_9not_fun_tINSD_8identityEEEEENSD_19counting_iterator_tIlEES8_S8_S8_S8_S8_S8_S8_S8_EEEEPS9_S9_NSD_9__find_if7functorIS9_EEEE10hipError_tPvRmT1_T2_T3_mT4_P12ihipStream_tbEUlT_E0_NS1_11comp_targetILNS1_3genE10ELNS1_11target_archE1200ELNS1_3gpuE4ELNS1_3repE0EEENS1_30default_config_static_selectorELNS0_4arch9wavefront6targetE0EEEvS14_
    .private_segment_fixed_size: 0
    .sgpr_count:     0
    .sgpr_spill_count: 0
    .symbol:         _ZN7rocprim17ROCPRIM_400000_NS6detail17trampoline_kernelINS0_14default_configENS1_22reduce_config_selectorIN6thrust23THRUST_200600_302600_NS5tupleIblNS6_9null_typeES8_S8_S8_S8_S8_S8_S8_EEEEZNS1_11reduce_implILb1ES3_NS6_12zip_iteratorINS7_INS6_11hip_rocprim26transform_input_iterator_tIbNSD_35transform_pair_of_input_iterators_tIbNS6_6detail15normal_iteratorINS6_10device_ptrIKtEEEESL_NS6_8equal_toItEEEENSG_9not_fun_tINSD_8identityEEEEENSD_19counting_iterator_tIlEES8_S8_S8_S8_S8_S8_S8_S8_EEEEPS9_S9_NSD_9__find_if7functorIS9_EEEE10hipError_tPvRmT1_T2_T3_mT4_P12ihipStream_tbEUlT_E0_NS1_11comp_targetILNS1_3genE10ELNS1_11target_archE1200ELNS1_3gpuE4ELNS1_3repE0EEENS1_30default_config_static_selectorELNS0_4arch9wavefront6targetE0EEEvS14_.kd
    .uniform_work_group_size: 1
    .uses_dynamic_stack: false
    .vgpr_count:     0
    .vgpr_spill_count: 0
    .wavefront_size: 32
    .workgroup_processor_mode: 1
  - .args:
      - .offset:         0
        .size:           104
        .value_kind:     by_value
    .group_segment_fixed_size: 256
    .kernarg_segment_align: 8
    .kernarg_segment_size: 104
    .language:       OpenCL C
    .language_version:
      - 2
      - 0
    .max_flat_workgroup_size: 256
    .name:           _ZN7rocprim17ROCPRIM_400000_NS6detail17trampoline_kernelINS0_14default_configENS1_22reduce_config_selectorIN6thrust23THRUST_200600_302600_NS5tupleIblNS6_9null_typeES8_S8_S8_S8_S8_S8_S8_EEEEZNS1_11reduce_implILb1ES3_NS6_12zip_iteratorINS7_INS6_11hip_rocprim26transform_input_iterator_tIbNSD_35transform_pair_of_input_iterators_tIbNS6_6detail15normal_iteratorINS6_10device_ptrIKtEEEESL_NS6_8equal_toItEEEENSG_9not_fun_tINSD_8identityEEEEENSD_19counting_iterator_tIlEES8_S8_S8_S8_S8_S8_S8_S8_EEEEPS9_S9_NSD_9__find_if7functorIS9_EEEE10hipError_tPvRmT1_T2_T3_mT4_P12ihipStream_tbEUlT_E0_NS1_11comp_targetILNS1_3genE9ELNS1_11target_archE1100ELNS1_3gpuE3ELNS1_3repE0EEENS1_30default_config_static_selectorELNS0_4arch9wavefront6targetE0EEEvS14_
    .private_segment_fixed_size: 0
    .sgpr_count:     30
    .sgpr_spill_count: 0
    .symbol:         _ZN7rocprim17ROCPRIM_400000_NS6detail17trampoline_kernelINS0_14default_configENS1_22reduce_config_selectorIN6thrust23THRUST_200600_302600_NS5tupleIblNS6_9null_typeES8_S8_S8_S8_S8_S8_S8_EEEEZNS1_11reduce_implILb1ES3_NS6_12zip_iteratorINS7_INS6_11hip_rocprim26transform_input_iterator_tIbNSD_35transform_pair_of_input_iterators_tIbNS6_6detail15normal_iteratorINS6_10device_ptrIKtEEEESL_NS6_8equal_toItEEEENSG_9not_fun_tINSD_8identityEEEEENSD_19counting_iterator_tIlEES8_S8_S8_S8_S8_S8_S8_S8_EEEEPS9_S9_NSD_9__find_if7functorIS9_EEEE10hipError_tPvRmT1_T2_T3_mT4_P12ihipStream_tbEUlT_E0_NS1_11comp_targetILNS1_3genE9ELNS1_11target_archE1100ELNS1_3gpuE3ELNS1_3repE0EEENS1_30default_config_static_selectorELNS0_4arch9wavefront6targetE0EEEvS14_.kd
    .uniform_work_group_size: 1
    .uses_dynamic_stack: false
    .vgpr_count:     16
    .vgpr_spill_count: 0
    .wavefront_size: 32
    .workgroup_processor_mode: 1
  - .args:
      - .offset:         0
        .size:           104
        .value_kind:     by_value
    .group_segment_fixed_size: 0
    .kernarg_segment_align: 8
    .kernarg_segment_size: 104
    .language:       OpenCL C
    .language_version:
      - 2
      - 0
    .max_flat_workgroup_size: 256
    .name:           _ZN7rocprim17ROCPRIM_400000_NS6detail17trampoline_kernelINS0_14default_configENS1_22reduce_config_selectorIN6thrust23THRUST_200600_302600_NS5tupleIblNS6_9null_typeES8_S8_S8_S8_S8_S8_S8_EEEEZNS1_11reduce_implILb1ES3_NS6_12zip_iteratorINS7_INS6_11hip_rocprim26transform_input_iterator_tIbNSD_35transform_pair_of_input_iterators_tIbNS6_6detail15normal_iteratorINS6_10device_ptrIKtEEEESL_NS6_8equal_toItEEEENSG_9not_fun_tINSD_8identityEEEEENSD_19counting_iterator_tIlEES8_S8_S8_S8_S8_S8_S8_S8_EEEEPS9_S9_NSD_9__find_if7functorIS9_EEEE10hipError_tPvRmT1_T2_T3_mT4_P12ihipStream_tbEUlT_E0_NS1_11comp_targetILNS1_3genE8ELNS1_11target_archE1030ELNS1_3gpuE2ELNS1_3repE0EEENS1_30default_config_static_selectorELNS0_4arch9wavefront6targetE0EEEvS14_
    .private_segment_fixed_size: 0
    .sgpr_count:     0
    .sgpr_spill_count: 0
    .symbol:         _ZN7rocprim17ROCPRIM_400000_NS6detail17trampoline_kernelINS0_14default_configENS1_22reduce_config_selectorIN6thrust23THRUST_200600_302600_NS5tupleIblNS6_9null_typeES8_S8_S8_S8_S8_S8_S8_EEEEZNS1_11reduce_implILb1ES3_NS6_12zip_iteratorINS7_INS6_11hip_rocprim26transform_input_iterator_tIbNSD_35transform_pair_of_input_iterators_tIbNS6_6detail15normal_iteratorINS6_10device_ptrIKtEEEESL_NS6_8equal_toItEEEENSG_9not_fun_tINSD_8identityEEEEENSD_19counting_iterator_tIlEES8_S8_S8_S8_S8_S8_S8_S8_EEEEPS9_S9_NSD_9__find_if7functorIS9_EEEE10hipError_tPvRmT1_T2_T3_mT4_P12ihipStream_tbEUlT_E0_NS1_11comp_targetILNS1_3genE8ELNS1_11target_archE1030ELNS1_3gpuE2ELNS1_3repE0EEENS1_30default_config_static_selectorELNS0_4arch9wavefront6targetE0EEEvS14_.kd
    .uniform_work_group_size: 1
    .uses_dynamic_stack: false
    .vgpr_count:     0
    .vgpr_spill_count: 0
    .wavefront_size: 32
    .workgroup_processor_mode: 1
  - .args:
      - .offset:         0
        .size:           88
        .value_kind:     by_value
    .group_segment_fixed_size: 0
    .kernarg_segment_align: 8
    .kernarg_segment_size: 88
    .language:       OpenCL C
    .language_version:
      - 2
      - 0
    .max_flat_workgroup_size: 128
    .name:           _ZN7rocprim17ROCPRIM_400000_NS6detail17trampoline_kernelINS0_14default_configENS1_22reduce_config_selectorIN6thrust23THRUST_200600_302600_NS5tupleIblNS6_9null_typeES8_S8_S8_S8_S8_S8_S8_EEEEZNS1_11reduce_implILb1ES3_NS6_12zip_iteratorINS7_INS6_11hip_rocprim26transform_input_iterator_tIbNSD_35transform_pair_of_input_iterators_tIbNS6_6detail15normal_iteratorINS6_10device_ptrIKtEEEESL_NS6_8equal_toItEEEENSG_9not_fun_tINSD_8identityEEEEENSD_19counting_iterator_tIlEES8_S8_S8_S8_S8_S8_S8_S8_EEEEPS9_S9_NSD_9__find_if7functorIS9_EEEE10hipError_tPvRmT1_T2_T3_mT4_P12ihipStream_tbEUlT_E1_NS1_11comp_targetILNS1_3genE0ELNS1_11target_archE4294967295ELNS1_3gpuE0ELNS1_3repE0EEENS1_30default_config_static_selectorELNS0_4arch9wavefront6targetE0EEEvS14_
    .private_segment_fixed_size: 0
    .sgpr_count:     0
    .sgpr_spill_count: 0
    .symbol:         _ZN7rocprim17ROCPRIM_400000_NS6detail17trampoline_kernelINS0_14default_configENS1_22reduce_config_selectorIN6thrust23THRUST_200600_302600_NS5tupleIblNS6_9null_typeES8_S8_S8_S8_S8_S8_S8_EEEEZNS1_11reduce_implILb1ES3_NS6_12zip_iteratorINS7_INS6_11hip_rocprim26transform_input_iterator_tIbNSD_35transform_pair_of_input_iterators_tIbNS6_6detail15normal_iteratorINS6_10device_ptrIKtEEEESL_NS6_8equal_toItEEEENSG_9not_fun_tINSD_8identityEEEEENSD_19counting_iterator_tIlEES8_S8_S8_S8_S8_S8_S8_S8_EEEEPS9_S9_NSD_9__find_if7functorIS9_EEEE10hipError_tPvRmT1_T2_T3_mT4_P12ihipStream_tbEUlT_E1_NS1_11comp_targetILNS1_3genE0ELNS1_11target_archE4294967295ELNS1_3gpuE0ELNS1_3repE0EEENS1_30default_config_static_selectorELNS0_4arch9wavefront6targetE0EEEvS14_.kd
    .uniform_work_group_size: 1
    .uses_dynamic_stack: false
    .vgpr_count:     0
    .vgpr_spill_count: 0
    .wavefront_size: 32
    .workgroup_processor_mode: 1
  - .args:
      - .offset:         0
        .size:           88
        .value_kind:     by_value
    .group_segment_fixed_size: 0
    .kernarg_segment_align: 8
    .kernarg_segment_size: 88
    .language:       OpenCL C
    .language_version:
      - 2
      - 0
    .max_flat_workgroup_size: 256
    .name:           _ZN7rocprim17ROCPRIM_400000_NS6detail17trampoline_kernelINS0_14default_configENS1_22reduce_config_selectorIN6thrust23THRUST_200600_302600_NS5tupleIblNS6_9null_typeES8_S8_S8_S8_S8_S8_S8_EEEEZNS1_11reduce_implILb1ES3_NS6_12zip_iteratorINS7_INS6_11hip_rocprim26transform_input_iterator_tIbNSD_35transform_pair_of_input_iterators_tIbNS6_6detail15normal_iteratorINS6_10device_ptrIKtEEEESL_NS6_8equal_toItEEEENSG_9not_fun_tINSD_8identityEEEEENSD_19counting_iterator_tIlEES8_S8_S8_S8_S8_S8_S8_S8_EEEEPS9_S9_NSD_9__find_if7functorIS9_EEEE10hipError_tPvRmT1_T2_T3_mT4_P12ihipStream_tbEUlT_E1_NS1_11comp_targetILNS1_3genE5ELNS1_11target_archE942ELNS1_3gpuE9ELNS1_3repE0EEENS1_30default_config_static_selectorELNS0_4arch9wavefront6targetE0EEEvS14_
    .private_segment_fixed_size: 0
    .sgpr_count:     0
    .sgpr_spill_count: 0
    .symbol:         _ZN7rocprim17ROCPRIM_400000_NS6detail17trampoline_kernelINS0_14default_configENS1_22reduce_config_selectorIN6thrust23THRUST_200600_302600_NS5tupleIblNS6_9null_typeES8_S8_S8_S8_S8_S8_S8_EEEEZNS1_11reduce_implILb1ES3_NS6_12zip_iteratorINS7_INS6_11hip_rocprim26transform_input_iterator_tIbNSD_35transform_pair_of_input_iterators_tIbNS6_6detail15normal_iteratorINS6_10device_ptrIKtEEEESL_NS6_8equal_toItEEEENSG_9not_fun_tINSD_8identityEEEEENSD_19counting_iterator_tIlEES8_S8_S8_S8_S8_S8_S8_S8_EEEEPS9_S9_NSD_9__find_if7functorIS9_EEEE10hipError_tPvRmT1_T2_T3_mT4_P12ihipStream_tbEUlT_E1_NS1_11comp_targetILNS1_3genE5ELNS1_11target_archE942ELNS1_3gpuE9ELNS1_3repE0EEENS1_30default_config_static_selectorELNS0_4arch9wavefront6targetE0EEEvS14_.kd
    .uniform_work_group_size: 1
    .uses_dynamic_stack: false
    .vgpr_count:     0
    .vgpr_spill_count: 0
    .wavefront_size: 32
    .workgroup_processor_mode: 1
  - .args:
      - .offset:         0
        .size:           88
        .value_kind:     by_value
    .group_segment_fixed_size: 0
    .kernarg_segment_align: 8
    .kernarg_segment_size: 88
    .language:       OpenCL C
    .language_version:
      - 2
      - 0
    .max_flat_workgroup_size: 256
    .name:           _ZN7rocprim17ROCPRIM_400000_NS6detail17trampoline_kernelINS0_14default_configENS1_22reduce_config_selectorIN6thrust23THRUST_200600_302600_NS5tupleIblNS6_9null_typeES8_S8_S8_S8_S8_S8_S8_EEEEZNS1_11reduce_implILb1ES3_NS6_12zip_iteratorINS7_INS6_11hip_rocprim26transform_input_iterator_tIbNSD_35transform_pair_of_input_iterators_tIbNS6_6detail15normal_iteratorINS6_10device_ptrIKtEEEESL_NS6_8equal_toItEEEENSG_9not_fun_tINSD_8identityEEEEENSD_19counting_iterator_tIlEES8_S8_S8_S8_S8_S8_S8_S8_EEEEPS9_S9_NSD_9__find_if7functorIS9_EEEE10hipError_tPvRmT1_T2_T3_mT4_P12ihipStream_tbEUlT_E1_NS1_11comp_targetILNS1_3genE4ELNS1_11target_archE910ELNS1_3gpuE8ELNS1_3repE0EEENS1_30default_config_static_selectorELNS0_4arch9wavefront6targetE0EEEvS14_
    .private_segment_fixed_size: 0
    .sgpr_count:     0
    .sgpr_spill_count: 0
    .symbol:         _ZN7rocprim17ROCPRIM_400000_NS6detail17trampoline_kernelINS0_14default_configENS1_22reduce_config_selectorIN6thrust23THRUST_200600_302600_NS5tupleIblNS6_9null_typeES8_S8_S8_S8_S8_S8_S8_EEEEZNS1_11reduce_implILb1ES3_NS6_12zip_iteratorINS7_INS6_11hip_rocprim26transform_input_iterator_tIbNSD_35transform_pair_of_input_iterators_tIbNS6_6detail15normal_iteratorINS6_10device_ptrIKtEEEESL_NS6_8equal_toItEEEENSG_9not_fun_tINSD_8identityEEEEENSD_19counting_iterator_tIlEES8_S8_S8_S8_S8_S8_S8_S8_EEEEPS9_S9_NSD_9__find_if7functorIS9_EEEE10hipError_tPvRmT1_T2_T3_mT4_P12ihipStream_tbEUlT_E1_NS1_11comp_targetILNS1_3genE4ELNS1_11target_archE910ELNS1_3gpuE8ELNS1_3repE0EEENS1_30default_config_static_selectorELNS0_4arch9wavefront6targetE0EEEvS14_.kd
    .uniform_work_group_size: 1
    .uses_dynamic_stack: false
    .vgpr_count:     0
    .vgpr_spill_count: 0
    .wavefront_size: 32
    .workgroup_processor_mode: 1
  - .args:
      - .offset:         0
        .size:           88
        .value_kind:     by_value
    .group_segment_fixed_size: 0
    .kernarg_segment_align: 8
    .kernarg_segment_size: 88
    .language:       OpenCL C
    .language_version:
      - 2
      - 0
    .max_flat_workgroup_size: 128
    .name:           _ZN7rocprim17ROCPRIM_400000_NS6detail17trampoline_kernelINS0_14default_configENS1_22reduce_config_selectorIN6thrust23THRUST_200600_302600_NS5tupleIblNS6_9null_typeES8_S8_S8_S8_S8_S8_S8_EEEEZNS1_11reduce_implILb1ES3_NS6_12zip_iteratorINS7_INS6_11hip_rocprim26transform_input_iterator_tIbNSD_35transform_pair_of_input_iterators_tIbNS6_6detail15normal_iteratorINS6_10device_ptrIKtEEEESL_NS6_8equal_toItEEEENSG_9not_fun_tINSD_8identityEEEEENSD_19counting_iterator_tIlEES8_S8_S8_S8_S8_S8_S8_S8_EEEEPS9_S9_NSD_9__find_if7functorIS9_EEEE10hipError_tPvRmT1_T2_T3_mT4_P12ihipStream_tbEUlT_E1_NS1_11comp_targetILNS1_3genE3ELNS1_11target_archE908ELNS1_3gpuE7ELNS1_3repE0EEENS1_30default_config_static_selectorELNS0_4arch9wavefront6targetE0EEEvS14_
    .private_segment_fixed_size: 0
    .sgpr_count:     0
    .sgpr_spill_count: 0
    .symbol:         _ZN7rocprim17ROCPRIM_400000_NS6detail17trampoline_kernelINS0_14default_configENS1_22reduce_config_selectorIN6thrust23THRUST_200600_302600_NS5tupleIblNS6_9null_typeES8_S8_S8_S8_S8_S8_S8_EEEEZNS1_11reduce_implILb1ES3_NS6_12zip_iteratorINS7_INS6_11hip_rocprim26transform_input_iterator_tIbNSD_35transform_pair_of_input_iterators_tIbNS6_6detail15normal_iteratorINS6_10device_ptrIKtEEEESL_NS6_8equal_toItEEEENSG_9not_fun_tINSD_8identityEEEEENSD_19counting_iterator_tIlEES8_S8_S8_S8_S8_S8_S8_S8_EEEEPS9_S9_NSD_9__find_if7functorIS9_EEEE10hipError_tPvRmT1_T2_T3_mT4_P12ihipStream_tbEUlT_E1_NS1_11comp_targetILNS1_3genE3ELNS1_11target_archE908ELNS1_3gpuE7ELNS1_3repE0EEENS1_30default_config_static_selectorELNS0_4arch9wavefront6targetE0EEEvS14_.kd
    .uniform_work_group_size: 1
    .uses_dynamic_stack: false
    .vgpr_count:     0
    .vgpr_spill_count: 0
    .wavefront_size: 32
    .workgroup_processor_mode: 1
  - .args:
      - .offset:         0
        .size:           88
        .value_kind:     by_value
    .group_segment_fixed_size: 0
    .kernarg_segment_align: 8
    .kernarg_segment_size: 88
    .language:       OpenCL C
    .language_version:
      - 2
      - 0
    .max_flat_workgroup_size: 128
    .name:           _ZN7rocprim17ROCPRIM_400000_NS6detail17trampoline_kernelINS0_14default_configENS1_22reduce_config_selectorIN6thrust23THRUST_200600_302600_NS5tupleIblNS6_9null_typeES8_S8_S8_S8_S8_S8_S8_EEEEZNS1_11reduce_implILb1ES3_NS6_12zip_iteratorINS7_INS6_11hip_rocprim26transform_input_iterator_tIbNSD_35transform_pair_of_input_iterators_tIbNS6_6detail15normal_iteratorINS6_10device_ptrIKtEEEESL_NS6_8equal_toItEEEENSG_9not_fun_tINSD_8identityEEEEENSD_19counting_iterator_tIlEES8_S8_S8_S8_S8_S8_S8_S8_EEEEPS9_S9_NSD_9__find_if7functorIS9_EEEE10hipError_tPvRmT1_T2_T3_mT4_P12ihipStream_tbEUlT_E1_NS1_11comp_targetILNS1_3genE2ELNS1_11target_archE906ELNS1_3gpuE6ELNS1_3repE0EEENS1_30default_config_static_selectorELNS0_4arch9wavefront6targetE0EEEvS14_
    .private_segment_fixed_size: 0
    .sgpr_count:     0
    .sgpr_spill_count: 0
    .symbol:         _ZN7rocprim17ROCPRIM_400000_NS6detail17trampoline_kernelINS0_14default_configENS1_22reduce_config_selectorIN6thrust23THRUST_200600_302600_NS5tupleIblNS6_9null_typeES8_S8_S8_S8_S8_S8_S8_EEEEZNS1_11reduce_implILb1ES3_NS6_12zip_iteratorINS7_INS6_11hip_rocprim26transform_input_iterator_tIbNSD_35transform_pair_of_input_iterators_tIbNS6_6detail15normal_iteratorINS6_10device_ptrIKtEEEESL_NS6_8equal_toItEEEENSG_9not_fun_tINSD_8identityEEEEENSD_19counting_iterator_tIlEES8_S8_S8_S8_S8_S8_S8_S8_EEEEPS9_S9_NSD_9__find_if7functorIS9_EEEE10hipError_tPvRmT1_T2_T3_mT4_P12ihipStream_tbEUlT_E1_NS1_11comp_targetILNS1_3genE2ELNS1_11target_archE906ELNS1_3gpuE6ELNS1_3repE0EEENS1_30default_config_static_selectorELNS0_4arch9wavefront6targetE0EEEvS14_.kd
    .uniform_work_group_size: 1
    .uses_dynamic_stack: false
    .vgpr_count:     0
    .vgpr_spill_count: 0
    .wavefront_size: 32
    .workgroup_processor_mode: 1
  - .args:
      - .offset:         0
        .size:           88
        .value_kind:     by_value
    .group_segment_fixed_size: 0
    .kernarg_segment_align: 8
    .kernarg_segment_size: 88
    .language:       OpenCL C
    .language_version:
      - 2
      - 0
    .max_flat_workgroup_size: 256
    .name:           _ZN7rocprim17ROCPRIM_400000_NS6detail17trampoline_kernelINS0_14default_configENS1_22reduce_config_selectorIN6thrust23THRUST_200600_302600_NS5tupleIblNS6_9null_typeES8_S8_S8_S8_S8_S8_S8_EEEEZNS1_11reduce_implILb1ES3_NS6_12zip_iteratorINS7_INS6_11hip_rocprim26transform_input_iterator_tIbNSD_35transform_pair_of_input_iterators_tIbNS6_6detail15normal_iteratorINS6_10device_ptrIKtEEEESL_NS6_8equal_toItEEEENSG_9not_fun_tINSD_8identityEEEEENSD_19counting_iterator_tIlEES8_S8_S8_S8_S8_S8_S8_S8_EEEEPS9_S9_NSD_9__find_if7functorIS9_EEEE10hipError_tPvRmT1_T2_T3_mT4_P12ihipStream_tbEUlT_E1_NS1_11comp_targetILNS1_3genE10ELNS1_11target_archE1201ELNS1_3gpuE5ELNS1_3repE0EEENS1_30default_config_static_selectorELNS0_4arch9wavefront6targetE0EEEvS14_
    .private_segment_fixed_size: 0
    .sgpr_count:     0
    .sgpr_spill_count: 0
    .symbol:         _ZN7rocprim17ROCPRIM_400000_NS6detail17trampoline_kernelINS0_14default_configENS1_22reduce_config_selectorIN6thrust23THRUST_200600_302600_NS5tupleIblNS6_9null_typeES8_S8_S8_S8_S8_S8_S8_EEEEZNS1_11reduce_implILb1ES3_NS6_12zip_iteratorINS7_INS6_11hip_rocprim26transform_input_iterator_tIbNSD_35transform_pair_of_input_iterators_tIbNS6_6detail15normal_iteratorINS6_10device_ptrIKtEEEESL_NS6_8equal_toItEEEENSG_9not_fun_tINSD_8identityEEEEENSD_19counting_iterator_tIlEES8_S8_S8_S8_S8_S8_S8_S8_EEEEPS9_S9_NSD_9__find_if7functorIS9_EEEE10hipError_tPvRmT1_T2_T3_mT4_P12ihipStream_tbEUlT_E1_NS1_11comp_targetILNS1_3genE10ELNS1_11target_archE1201ELNS1_3gpuE5ELNS1_3repE0EEENS1_30default_config_static_selectorELNS0_4arch9wavefront6targetE0EEEvS14_.kd
    .uniform_work_group_size: 1
    .uses_dynamic_stack: false
    .vgpr_count:     0
    .vgpr_spill_count: 0
    .wavefront_size: 32
    .workgroup_processor_mode: 1
  - .args:
      - .offset:         0
        .size:           88
        .value_kind:     by_value
    .group_segment_fixed_size: 0
    .kernarg_segment_align: 8
    .kernarg_segment_size: 88
    .language:       OpenCL C
    .language_version:
      - 2
      - 0
    .max_flat_workgroup_size: 256
    .name:           _ZN7rocprim17ROCPRIM_400000_NS6detail17trampoline_kernelINS0_14default_configENS1_22reduce_config_selectorIN6thrust23THRUST_200600_302600_NS5tupleIblNS6_9null_typeES8_S8_S8_S8_S8_S8_S8_EEEEZNS1_11reduce_implILb1ES3_NS6_12zip_iteratorINS7_INS6_11hip_rocprim26transform_input_iterator_tIbNSD_35transform_pair_of_input_iterators_tIbNS6_6detail15normal_iteratorINS6_10device_ptrIKtEEEESL_NS6_8equal_toItEEEENSG_9not_fun_tINSD_8identityEEEEENSD_19counting_iterator_tIlEES8_S8_S8_S8_S8_S8_S8_S8_EEEEPS9_S9_NSD_9__find_if7functorIS9_EEEE10hipError_tPvRmT1_T2_T3_mT4_P12ihipStream_tbEUlT_E1_NS1_11comp_targetILNS1_3genE10ELNS1_11target_archE1200ELNS1_3gpuE4ELNS1_3repE0EEENS1_30default_config_static_selectorELNS0_4arch9wavefront6targetE0EEEvS14_
    .private_segment_fixed_size: 0
    .sgpr_count:     0
    .sgpr_spill_count: 0
    .symbol:         _ZN7rocprim17ROCPRIM_400000_NS6detail17trampoline_kernelINS0_14default_configENS1_22reduce_config_selectorIN6thrust23THRUST_200600_302600_NS5tupleIblNS6_9null_typeES8_S8_S8_S8_S8_S8_S8_EEEEZNS1_11reduce_implILb1ES3_NS6_12zip_iteratorINS7_INS6_11hip_rocprim26transform_input_iterator_tIbNSD_35transform_pair_of_input_iterators_tIbNS6_6detail15normal_iteratorINS6_10device_ptrIKtEEEESL_NS6_8equal_toItEEEENSG_9not_fun_tINSD_8identityEEEEENSD_19counting_iterator_tIlEES8_S8_S8_S8_S8_S8_S8_S8_EEEEPS9_S9_NSD_9__find_if7functorIS9_EEEE10hipError_tPvRmT1_T2_T3_mT4_P12ihipStream_tbEUlT_E1_NS1_11comp_targetILNS1_3genE10ELNS1_11target_archE1200ELNS1_3gpuE4ELNS1_3repE0EEENS1_30default_config_static_selectorELNS0_4arch9wavefront6targetE0EEEvS14_.kd
    .uniform_work_group_size: 1
    .uses_dynamic_stack: false
    .vgpr_count:     0
    .vgpr_spill_count: 0
    .wavefront_size: 32
    .workgroup_processor_mode: 1
  - .args:
      - .offset:         0
        .size:           88
        .value_kind:     by_value
    .group_segment_fixed_size: 640
    .kernarg_segment_align: 8
    .kernarg_segment_size: 88
    .language:       OpenCL C
    .language_version:
      - 2
      - 0
    .max_flat_workgroup_size: 256
    .name:           _ZN7rocprim17ROCPRIM_400000_NS6detail17trampoline_kernelINS0_14default_configENS1_22reduce_config_selectorIN6thrust23THRUST_200600_302600_NS5tupleIblNS6_9null_typeES8_S8_S8_S8_S8_S8_S8_EEEEZNS1_11reduce_implILb1ES3_NS6_12zip_iteratorINS7_INS6_11hip_rocprim26transform_input_iterator_tIbNSD_35transform_pair_of_input_iterators_tIbNS6_6detail15normal_iteratorINS6_10device_ptrIKtEEEESL_NS6_8equal_toItEEEENSG_9not_fun_tINSD_8identityEEEEENSD_19counting_iterator_tIlEES8_S8_S8_S8_S8_S8_S8_S8_EEEEPS9_S9_NSD_9__find_if7functorIS9_EEEE10hipError_tPvRmT1_T2_T3_mT4_P12ihipStream_tbEUlT_E1_NS1_11comp_targetILNS1_3genE9ELNS1_11target_archE1100ELNS1_3gpuE3ELNS1_3repE0EEENS1_30default_config_static_selectorELNS0_4arch9wavefront6targetE0EEEvS14_
    .private_segment_fixed_size: 0
    .sgpr_count:     34
    .sgpr_spill_count: 0
    .symbol:         _ZN7rocprim17ROCPRIM_400000_NS6detail17trampoline_kernelINS0_14default_configENS1_22reduce_config_selectorIN6thrust23THRUST_200600_302600_NS5tupleIblNS6_9null_typeES8_S8_S8_S8_S8_S8_S8_EEEEZNS1_11reduce_implILb1ES3_NS6_12zip_iteratorINS7_INS6_11hip_rocprim26transform_input_iterator_tIbNSD_35transform_pair_of_input_iterators_tIbNS6_6detail15normal_iteratorINS6_10device_ptrIKtEEEESL_NS6_8equal_toItEEEENSG_9not_fun_tINSD_8identityEEEEENSD_19counting_iterator_tIlEES8_S8_S8_S8_S8_S8_S8_S8_EEEEPS9_S9_NSD_9__find_if7functorIS9_EEEE10hipError_tPvRmT1_T2_T3_mT4_P12ihipStream_tbEUlT_E1_NS1_11comp_targetILNS1_3genE9ELNS1_11target_archE1100ELNS1_3gpuE3ELNS1_3repE0EEENS1_30default_config_static_selectorELNS0_4arch9wavefront6targetE0EEEvS14_.kd
    .uniform_work_group_size: 1
    .uses_dynamic_stack: false
    .vgpr_count:     27
    .vgpr_spill_count: 0
    .wavefront_size: 32
    .workgroup_processor_mode: 1
  - .args:
      - .offset:         0
        .size:           88
        .value_kind:     by_value
    .group_segment_fixed_size: 0
    .kernarg_segment_align: 8
    .kernarg_segment_size: 88
    .language:       OpenCL C
    .language_version:
      - 2
      - 0
    .max_flat_workgroup_size: 256
    .name:           _ZN7rocprim17ROCPRIM_400000_NS6detail17trampoline_kernelINS0_14default_configENS1_22reduce_config_selectorIN6thrust23THRUST_200600_302600_NS5tupleIblNS6_9null_typeES8_S8_S8_S8_S8_S8_S8_EEEEZNS1_11reduce_implILb1ES3_NS6_12zip_iteratorINS7_INS6_11hip_rocprim26transform_input_iterator_tIbNSD_35transform_pair_of_input_iterators_tIbNS6_6detail15normal_iteratorINS6_10device_ptrIKtEEEESL_NS6_8equal_toItEEEENSG_9not_fun_tINSD_8identityEEEEENSD_19counting_iterator_tIlEES8_S8_S8_S8_S8_S8_S8_S8_EEEEPS9_S9_NSD_9__find_if7functorIS9_EEEE10hipError_tPvRmT1_T2_T3_mT4_P12ihipStream_tbEUlT_E1_NS1_11comp_targetILNS1_3genE8ELNS1_11target_archE1030ELNS1_3gpuE2ELNS1_3repE0EEENS1_30default_config_static_selectorELNS0_4arch9wavefront6targetE0EEEvS14_
    .private_segment_fixed_size: 0
    .sgpr_count:     0
    .sgpr_spill_count: 0
    .symbol:         _ZN7rocprim17ROCPRIM_400000_NS6detail17trampoline_kernelINS0_14default_configENS1_22reduce_config_selectorIN6thrust23THRUST_200600_302600_NS5tupleIblNS6_9null_typeES8_S8_S8_S8_S8_S8_S8_EEEEZNS1_11reduce_implILb1ES3_NS6_12zip_iteratorINS7_INS6_11hip_rocprim26transform_input_iterator_tIbNSD_35transform_pair_of_input_iterators_tIbNS6_6detail15normal_iteratorINS6_10device_ptrIKtEEEESL_NS6_8equal_toItEEEENSG_9not_fun_tINSD_8identityEEEEENSD_19counting_iterator_tIlEES8_S8_S8_S8_S8_S8_S8_S8_EEEEPS9_S9_NSD_9__find_if7functorIS9_EEEE10hipError_tPvRmT1_T2_T3_mT4_P12ihipStream_tbEUlT_E1_NS1_11comp_targetILNS1_3genE8ELNS1_11target_archE1030ELNS1_3gpuE2ELNS1_3repE0EEENS1_30default_config_static_selectorELNS0_4arch9wavefront6targetE0EEEvS14_.kd
    .uniform_work_group_size: 1
    .uses_dynamic_stack: false
    .vgpr_count:     0
    .vgpr_spill_count: 0
    .wavefront_size: 32
    .workgroup_processor_mode: 1
  - .args:
      - .offset:         0
        .size:           104
        .value_kind:     by_value
    .group_segment_fixed_size: 0
    .kernarg_segment_align: 8
    .kernarg_segment_size: 104
    .language:       OpenCL C
    .language_version:
      - 2
      - 0
    .max_flat_workgroup_size: 128
    .name:           _ZN7rocprim17ROCPRIM_400000_NS6detail17trampoline_kernelINS0_14default_configENS1_22reduce_config_selectorIN6thrust23THRUST_200600_302600_NS5tupleIblNS6_9null_typeES8_S8_S8_S8_S8_S8_S8_EEEEZNS1_11reduce_implILb1ES3_NS6_12zip_iteratorINS7_INS6_11hip_rocprim26transform_input_iterator_tIbNSD_35transform_pair_of_input_iterators_tIbNS6_6detail15normal_iteratorINS6_10device_ptrIKxEEEESL_NS6_8equal_toIxEEEENSG_9not_fun_tINSD_8identityEEEEENSD_19counting_iterator_tIlEES8_S8_S8_S8_S8_S8_S8_S8_EEEEPS9_S9_NSD_9__find_if7functorIS9_EEEE10hipError_tPvRmT1_T2_T3_mT4_P12ihipStream_tbEUlT_E0_NS1_11comp_targetILNS1_3genE0ELNS1_11target_archE4294967295ELNS1_3gpuE0ELNS1_3repE0EEENS1_30default_config_static_selectorELNS0_4arch9wavefront6targetE0EEEvS14_
    .private_segment_fixed_size: 0
    .sgpr_count:     0
    .sgpr_spill_count: 0
    .symbol:         _ZN7rocprim17ROCPRIM_400000_NS6detail17trampoline_kernelINS0_14default_configENS1_22reduce_config_selectorIN6thrust23THRUST_200600_302600_NS5tupleIblNS6_9null_typeES8_S8_S8_S8_S8_S8_S8_EEEEZNS1_11reduce_implILb1ES3_NS6_12zip_iteratorINS7_INS6_11hip_rocprim26transform_input_iterator_tIbNSD_35transform_pair_of_input_iterators_tIbNS6_6detail15normal_iteratorINS6_10device_ptrIKxEEEESL_NS6_8equal_toIxEEEENSG_9not_fun_tINSD_8identityEEEEENSD_19counting_iterator_tIlEES8_S8_S8_S8_S8_S8_S8_S8_EEEEPS9_S9_NSD_9__find_if7functorIS9_EEEE10hipError_tPvRmT1_T2_T3_mT4_P12ihipStream_tbEUlT_E0_NS1_11comp_targetILNS1_3genE0ELNS1_11target_archE4294967295ELNS1_3gpuE0ELNS1_3repE0EEENS1_30default_config_static_selectorELNS0_4arch9wavefront6targetE0EEEvS14_.kd
    .uniform_work_group_size: 1
    .uses_dynamic_stack: false
    .vgpr_count:     0
    .vgpr_spill_count: 0
    .wavefront_size: 32
    .workgroup_processor_mode: 1
  - .args:
      - .offset:         0
        .size:           104
        .value_kind:     by_value
    .group_segment_fixed_size: 0
    .kernarg_segment_align: 8
    .kernarg_segment_size: 104
    .language:       OpenCL C
    .language_version:
      - 2
      - 0
    .max_flat_workgroup_size: 256
    .name:           _ZN7rocprim17ROCPRIM_400000_NS6detail17trampoline_kernelINS0_14default_configENS1_22reduce_config_selectorIN6thrust23THRUST_200600_302600_NS5tupleIblNS6_9null_typeES8_S8_S8_S8_S8_S8_S8_EEEEZNS1_11reduce_implILb1ES3_NS6_12zip_iteratorINS7_INS6_11hip_rocprim26transform_input_iterator_tIbNSD_35transform_pair_of_input_iterators_tIbNS6_6detail15normal_iteratorINS6_10device_ptrIKxEEEESL_NS6_8equal_toIxEEEENSG_9not_fun_tINSD_8identityEEEEENSD_19counting_iterator_tIlEES8_S8_S8_S8_S8_S8_S8_S8_EEEEPS9_S9_NSD_9__find_if7functorIS9_EEEE10hipError_tPvRmT1_T2_T3_mT4_P12ihipStream_tbEUlT_E0_NS1_11comp_targetILNS1_3genE5ELNS1_11target_archE942ELNS1_3gpuE9ELNS1_3repE0EEENS1_30default_config_static_selectorELNS0_4arch9wavefront6targetE0EEEvS14_
    .private_segment_fixed_size: 0
    .sgpr_count:     0
    .sgpr_spill_count: 0
    .symbol:         _ZN7rocprim17ROCPRIM_400000_NS6detail17trampoline_kernelINS0_14default_configENS1_22reduce_config_selectorIN6thrust23THRUST_200600_302600_NS5tupleIblNS6_9null_typeES8_S8_S8_S8_S8_S8_S8_EEEEZNS1_11reduce_implILb1ES3_NS6_12zip_iteratorINS7_INS6_11hip_rocprim26transform_input_iterator_tIbNSD_35transform_pair_of_input_iterators_tIbNS6_6detail15normal_iteratorINS6_10device_ptrIKxEEEESL_NS6_8equal_toIxEEEENSG_9not_fun_tINSD_8identityEEEEENSD_19counting_iterator_tIlEES8_S8_S8_S8_S8_S8_S8_S8_EEEEPS9_S9_NSD_9__find_if7functorIS9_EEEE10hipError_tPvRmT1_T2_T3_mT4_P12ihipStream_tbEUlT_E0_NS1_11comp_targetILNS1_3genE5ELNS1_11target_archE942ELNS1_3gpuE9ELNS1_3repE0EEENS1_30default_config_static_selectorELNS0_4arch9wavefront6targetE0EEEvS14_.kd
    .uniform_work_group_size: 1
    .uses_dynamic_stack: false
    .vgpr_count:     0
    .vgpr_spill_count: 0
    .wavefront_size: 32
    .workgroup_processor_mode: 1
  - .args:
      - .offset:         0
        .size:           104
        .value_kind:     by_value
    .group_segment_fixed_size: 0
    .kernarg_segment_align: 8
    .kernarg_segment_size: 104
    .language:       OpenCL C
    .language_version:
      - 2
      - 0
    .max_flat_workgroup_size: 256
    .name:           _ZN7rocprim17ROCPRIM_400000_NS6detail17trampoline_kernelINS0_14default_configENS1_22reduce_config_selectorIN6thrust23THRUST_200600_302600_NS5tupleIblNS6_9null_typeES8_S8_S8_S8_S8_S8_S8_EEEEZNS1_11reduce_implILb1ES3_NS6_12zip_iteratorINS7_INS6_11hip_rocprim26transform_input_iterator_tIbNSD_35transform_pair_of_input_iterators_tIbNS6_6detail15normal_iteratorINS6_10device_ptrIKxEEEESL_NS6_8equal_toIxEEEENSG_9not_fun_tINSD_8identityEEEEENSD_19counting_iterator_tIlEES8_S8_S8_S8_S8_S8_S8_S8_EEEEPS9_S9_NSD_9__find_if7functorIS9_EEEE10hipError_tPvRmT1_T2_T3_mT4_P12ihipStream_tbEUlT_E0_NS1_11comp_targetILNS1_3genE4ELNS1_11target_archE910ELNS1_3gpuE8ELNS1_3repE0EEENS1_30default_config_static_selectorELNS0_4arch9wavefront6targetE0EEEvS14_
    .private_segment_fixed_size: 0
    .sgpr_count:     0
    .sgpr_spill_count: 0
    .symbol:         _ZN7rocprim17ROCPRIM_400000_NS6detail17trampoline_kernelINS0_14default_configENS1_22reduce_config_selectorIN6thrust23THRUST_200600_302600_NS5tupleIblNS6_9null_typeES8_S8_S8_S8_S8_S8_S8_EEEEZNS1_11reduce_implILb1ES3_NS6_12zip_iteratorINS7_INS6_11hip_rocprim26transform_input_iterator_tIbNSD_35transform_pair_of_input_iterators_tIbNS6_6detail15normal_iteratorINS6_10device_ptrIKxEEEESL_NS6_8equal_toIxEEEENSG_9not_fun_tINSD_8identityEEEEENSD_19counting_iterator_tIlEES8_S8_S8_S8_S8_S8_S8_S8_EEEEPS9_S9_NSD_9__find_if7functorIS9_EEEE10hipError_tPvRmT1_T2_T3_mT4_P12ihipStream_tbEUlT_E0_NS1_11comp_targetILNS1_3genE4ELNS1_11target_archE910ELNS1_3gpuE8ELNS1_3repE0EEENS1_30default_config_static_selectorELNS0_4arch9wavefront6targetE0EEEvS14_.kd
    .uniform_work_group_size: 1
    .uses_dynamic_stack: false
    .vgpr_count:     0
    .vgpr_spill_count: 0
    .wavefront_size: 32
    .workgroup_processor_mode: 1
  - .args:
      - .offset:         0
        .size:           104
        .value_kind:     by_value
    .group_segment_fixed_size: 0
    .kernarg_segment_align: 8
    .kernarg_segment_size: 104
    .language:       OpenCL C
    .language_version:
      - 2
      - 0
    .max_flat_workgroup_size: 128
    .name:           _ZN7rocprim17ROCPRIM_400000_NS6detail17trampoline_kernelINS0_14default_configENS1_22reduce_config_selectorIN6thrust23THRUST_200600_302600_NS5tupleIblNS6_9null_typeES8_S8_S8_S8_S8_S8_S8_EEEEZNS1_11reduce_implILb1ES3_NS6_12zip_iteratorINS7_INS6_11hip_rocprim26transform_input_iterator_tIbNSD_35transform_pair_of_input_iterators_tIbNS6_6detail15normal_iteratorINS6_10device_ptrIKxEEEESL_NS6_8equal_toIxEEEENSG_9not_fun_tINSD_8identityEEEEENSD_19counting_iterator_tIlEES8_S8_S8_S8_S8_S8_S8_S8_EEEEPS9_S9_NSD_9__find_if7functorIS9_EEEE10hipError_tPvRmT1_T2_T3_mT4_P12ihipStream_tbEUlT_E0_NS1_11comp_targetILNS1_3genE3ELNS1_11target_archE908ELNS1_3gpuE7ELNS1_3repE0EEENS1_30default_config_static_selectorELNS0_4arch9wavefront6targetE0EEEvS14_
    .private_segment_fixed_size: 0
    .sgpr_count:     0
    .sgpr_spill_count: 0
    .symbol:         _ZN7rocprim17ROCPRIM_400000_NS6detail17trampoline_kernelINS0_14default_configENS1_22reduce_config_selectorIN6thrust23THRUST_200600_302600_NS5tupleIblNS6_9null_typeES8_S8_S8_S8_S8_S8_S8_EEEEZNS1_11reduce_implILb1ES3_NS6_12zip_iteratorINS7_INS6_11hip_rocprim26transform_input_iterator_tIbNSD_35transform_pair_of_input_iterators_tIbNS6_6detail15normal_iteratorINS6_10device_ptrIKxEEEESL_NS6_8equal_toIxEEEENSG_9not_fun_tINSD_8identityEEEEENSD_19counting_iterator_tIlEES8_S8_S8_S8_S8_S8_S8_S8_EEEEPS9_S9_NSD_9__find_if7functorIS9_EEEE10hipError_tPvRmT1_T2_T3_mT4_P12ihipStream_tbEUlT_E0_NS1_11comp_targetILNS1_3genE3ELNS1_11target_archE908ELNS1_3gpuE7ELNS1_3repE0EEENS1_30default_config_static_selectorELNS0_4arch9wavefront6targetE0EEEvS14_.kd
    .uniform_work_group_size: 1
    .uses_dynamic_stack: false
    .vgpr_count:     0
    .vgpr_spill_count: 0
    .wavefront_size: 32
    .workgroup_processor_mode: 1
  - .args:
      - .offset:         0
        .size:           104
        .value_kind:     by_value
    .group_segment_fixed_size: 0
    .kernarg_segment_align: 8
    .kernarg_segment_size: 104
    .language:       OpenCL C
    .language_version:
      - 2
      - 0
    .max_flat_workgroup_size: 128
    .name:           _ZN7rocprim17ROCPRIM_400000_NS6detail17trampoline_kernelINS0_14default_configENS1_22reduce_config_selectorIN6thrust23THRUST_200600_302600_NS5tupleIblNS6_9null_typeES8_S8_S8_S8_S8_S8_S8_EEEEZNS1_11reduce_implILb1ES3_NS6_12zip_iteratorINS7_INS6_11hip_rocprim26transform_input_iterator_tIbNSD_35transform_pair_of_input_iterators_tIbNS6_6detail15normal_iteratorINS6_10device_ptrIKxEEEESL_NS6_8equal_toIxEEEENSG_9not_fun_tINSD_8identityEEEEENSD_19counting_iterator_tIlEES8_S8_S8_S8_S8_S8_S8_S8_EEEEPS9_S9_NSD_9__find_if7functorIS9_EEEE10hipError_tPvRmT1_T2_T3_mT4_P12ihipStream_tbEUlT_E0_NS1_11comp_targetILNS1_3genE2ELNS1_11target_archE906ELNS1_3gpuE6ELNS1_3repE0EEENS1_30default_config_static_selectorELNS0_4arch9wavefront6targetE0EEEvS14_
    .private_segment_fixed_size: 0
    .sgpr_count:     0
    .sgpr_spill_count: 0
    .symbol:         _ZN7rocprim17ROCPRIM_400000_NS6detail17trampoline_kernelINS0_14default_configENS1_22reduce_config_selectorIN6thrust23THRUST_200600_302600_NS5tupleIblNS6_9null_typeES8_S8_S8_S8_S8_S8_S8_EEEEZNS1_11reduce_implILb1ES3_NS6_12zip_iteratorINS7_INS6_11hip_rocprim26transform_input_iterator_tIbNSD_35transform_pair_of_input_iterators_tIbNS6_6detail15normal_iteratorINS6_10device_ptrIKxEEEESL_NS6_8equal_toIxEEEENSG_9not_fun_tINSD_8identityEEEEENSD_19counting_iterator_tIlEES8_S8_S8_S8_S8_S8_S8_S8_EEEEPS9_S9_NSD_9__find_if7functorIS9_EEEE10hipError_tPvRmT1_T2_T3_mT4_P12ihipStream_tbEUlT_E0_NS1_11comp_targetILNS1_3genE2ELNS1_11target_archE906ELNS1_3gpuE6ELNS1_3repE0EEENS1_30default_config_static_selectorELNS0_4arch9wavefront6targetE0EEEvS14_.kd
    .uniform_work_group_size: 1
    .uses_dynamic_stack: false
    .vgpr_count:     0
    .vgpr_spill_count: 0
    .wavefront_size: 32
    .workgroup_processor_mode: 1
  - .args:
      - .offset:         0
        .size:           104
        .value_kind:     by_value
    .group_segment_fixed_size: 0
    .kernarg_segment_align: 8
    .kernarg_segment_size: 104
    .language:       OpenCL C
    .language_version:
      - 2
      - 0
    .max_flat_workgroup_size: 256
    .name:           _ZN7rocprim17ROCPRIM_400000_NS6detail17trampoline_kernelINS0_14default_configENS1_22reduce_config_selectorIN6thrust23THRUST_200600_302600_NS5tupleIblNS6_9null_typeES8_S8_S8_S8_S8_S8_S8_EEEEZNS1_11reduce_implILb1ES3_NS6_12zip_iteratorINS7_INS6_11hip_rocprim26transform_input_iterator_tIbNSD_35transform_pair_of_input_iterators_tIbNS6_6detail15normal_iteratorINS6_10device_ptrIKxEEEESL_NS6_8equal_toIxEEEENSG_9not_fun_tINSD_8identityEEEEENSD_19counting_iterator_tIlEES8_S8_S8_S8_S8_S8_S8_S8_EEEEPS9_S9_NSD_9__find_if7functorIS9_EEEE10hipError_tPvRmT1_T2_T3_mT4_P12ihipStream_tbEUlT_E0_NS1_11comp_targetILNS1_3genE10ELNS1_11target_archE1201ELNS1_3gpuE5ELNS1_3repE0EEENS1_30default_config_static_selectorELNS0_4arch9wavefront6targetE0EEEvS14_
    .private_segment_fixed_size: 0
    .sgpr_count:     0
    .sgpr_spill_count: 0
    .symbol:         _ZN7rocprim17ROCPRIM_400000_NS6detail17trampoline_kernelINS0_14default_configENS1_22reduce_config_selectorIN6thrust23THRUST_200600_302600_NS5tupleIblNS6_9null_typeES8_S8_S8_S8_S8_S8_S8_EEEEZNS1_11reduce_implILb1ES3_NS6_12zip_iteratorINS7_INS6_11hip_rocprim26transform_input_iterator_tIbNSD_35transform_pair_of_input_iterators_tIbNS6_6detail15normal_iteratorINS6_10device_ptrIKxEEEESL_NS6_8equal_toIxEEEENSG_9not_fun_tINSD_8identityEEEEENSD_19counting_iterator_tIlEES8_S8_S8_S8_S8_S8_S8_S8_EEEEPS9_S9_NSD_9__find_if7functorIS9_EEEE10hipError_tPvRmT1_T2_T3_mT4_P12ihipStream_tbEUlT_E0_NS1_11comp_targetILNS1_3genE10ELNS1_11target_archE1201ELNS1_3gpuE5ELNS1_3repE0EEENS1_30default_config_static_selectorELNS0_4arch9wavefront6targetE0EEEvS14_.kd
    .uniform_work_group_size: 1
    .uses_dynamic_stack: false
    .vgpr_count:     0
    .vgpr_spill_count: 0
    .wavefront_size: 32
    .workgroup_processor_mode: 1
  - .args:
      - .offset:         0
        .size:           104
        .value_kind:     by_value
    .group_segment_fixed_size: 0
    .kernarg_segment_align: 8
    .kernarg_segment_size: 104
    .language:       OpenCL C
    .language_version:
      - 2
      - 0
    .max_flat_workgroup_size: 256
    .name:           _ZN7rocprim17ROCPRIM_400000_NS6detail17trampoline_kernelINS0_14default_configENS1_22reduce_config_selectorIN6thrust23THRUST_200600_302600_NS5tupleIblNS6_9null_typeES8_S8_S8_S8_S8_S8_S8_EEEEZNS1_11reduce_implILb1ES3_NS6_12zip_iteratorINS7_INS6_11hip_rocprim26transform_input_iterator_tIbNSD_35transform_pair_of_input_iterators_tIbNS6_6detail15normal_iteratorINS6_10device_ptrIKxEEEESL_NS6_8equal_toIxEEEENSG_9not_fun_tINSD_8identityEEEEENSD_19counting_iterator_tIlEES8_S8_S8_S8_S8_S8_S8_S8_EEEEPS9_S9_NSD_9__find_if7functorIS9_EEEE10hipError_tPvRmT1_T2_T3_mT4_P12ihipStream_tbEUlT_E0_NS1_11comp_targetILNS1_3genE10ELNS1_11target_archE1200ELNS1_3gpuE4ELNS1_3repE0EEENS1_30default_config_static_selectorELNS0_4arch9wavefront6targetE0EEEvS14_
    .private_segment_fixed_size: 0
    .sgpr_count:     0
    .sgpr_spill_count: 0
    .symbol:         _ZN7rocprim17ROCPRIM_400000_NS6detail17trampoline_kernelINS0_14default_configENS1_22reduce_config_selectorIN6thrust23THRUST_200600_302600_NS5tupleIblNS6_9null_typeES8_S8_S8_S8_S8_S8_S8_EEEEZNS1_11reduce_implILb1ES3_NS6_12zip_iteratorINS7_INS6_11hip_rocprim26transform_input_iterator_tIbNSD_35transform_pair_of_input_iterators_tIbNS6_6detail15normal_iteratorINS6_10device_ptrIKxEEEESL_NS6_8equal_toIxEEEENSG_9not_fun_tINSD_8identityEEEEENSD_19counting_iterator_tIlEES8_S8_S8_S8_S8_S8_S8_S8_EEEEPS9_S9_NSD_9__find_if7functorIS9_EEEE10hipError_tPvRmT1_T2_T3_mT4_P12ihipStream_tbEUlT_E0_NS1_11comp_targetILNS1_3genE10ELNS1_11target_archE1200ELNS1_3gpuE4ELNS1_3repE0EEENS1_30default_config_static_selectorELNS0_4arch9wavefront6targetE0EEEvS14_.kd
    .uniform_work_group_size: 1
    .uses_dynamic_stack: false
    .vgpr_count:     0
    .vgpr_spill_count: 0
    .wavefront_size: 32
    .workgroup_processor_mode: 1
  - .args:
      - .offset:         0
        .size:           104
        .value_kind:     by_value
    .group_segment_fixed_size: 256
    .kernarg_segment_align: 8
    .kernarg_segment_size: 104
    .language:       OpenCL C
    .language_version:
      - 2
      - 0
    .max_flat_workgroup_size: 256
    .name:           _ZN7rocprim17ROCPRIM_400000_NS6detail17trampoline_kernelINS0_14default_configENS1_22reduce_config_selectorIN6thrust23THRUST_200600_302600_NS5tupleIblNS6_9null_typeES8_S8_S8_S8_S8_S8_S8_EEEEZNS1_11reduce_implILb1ES3_NS6_12zip_iteratorINS7_INS6_11hip_rocprim26transform_input_iterator_tIbNSD_35transform_pair_of_input_iterators_tIbNS6_6detail15normal_iteratorINS6_10device_ptrIKxEEEESL_NS6_8equal_toIxEEEENSG_9not_fun_tINSD_8identityEEEEENSD_19counting_iterator_tIlEES8_S8_S8_S8_S8_S8_S8_S8_EEEEPS9_S9_NSD_9__find_if7functorIS9_EEEE10hipError_tPvRmT1_T2_T3_mT4_P12ihipStream_tbEUlT_E0_NS1_11comp_targetILNS1_3genE9ELNS1_11target_archE1100ELNS1_3gpuE3ELNS1_3repE0EEENS1_30default_config_static_selectorELNS0_4arch9wavefront6targetE0EEEvS14_
    .private_segment_fixed_size: 0
    .sgpr_count:     30
    .sgpr_spill_count: 0
    .symbol:         _ZN7rocprim17ROCPRIM_400000_NS6detail17trampoline_kernelINS0_14default_configENS1_22reduce_config_selectorIN6thrust23THRUST_200600_302600_NS5tupleIblNS6_9null_typeES8_S8_S8_S8_S8_S8_S8_EEEEZNS1_11reduce_implILb1ES3_NS6_12zip_iteratorINS7_INS6_11hip_rocprim26transform_input_iterator_tIbNSD_35transform_pair_of_input_iterators_tIbNS6_6detail15normal_iteratorINS6_10device_ptrIKxEEEESL_NS6_8equal_toIxEEEENSG_9not_fun_tINSD_8identityEEEEENSD_19counting_iterator_tIlEES8_S8_S8_S8_S8_S8_S8_S8_EEEEPS9_S9_NSD_9__find_if7functorIS9_EEEE10hipError_tPvRmT1_T2_T3_mT4_P12ihipStream_tbEUlT_E0_NS1_11comp_targetILNS1_3genE9ELNS1_11target_archE1100ELNS1_3gpuE3ELNS1_3repE0EEENS1_30default_config_static_selectorELNS0_4arch9wavefront6targetE0EEEvS14_.kd
    .uniform_work_group_size: 1
    .uses_dynamic_stack: false
    .vgpr_count:     19
    .vgpr_spill_count: 0
    .wavefront_size: 32
    .workgroup_processor_mode: 1
  - .args:
      - .offset:         0
        .size:           104
        .value_kind:     by_value
    .group_segment_fixed_size: 0
    .kernarg_segment_align: 8
    .kernarg_segment_size: 104
    .language:       OpenCL C
    .language_version:
      - 2
      - 0
    .max_flat_workgroup_size: 256
    .name:           _ZN7rocprim17ROCPRIM_400000_NS6detail17trampoline_kernelINS0_14default_configENS1_22reduce_config_selectorIN6thrust23THRUST_200600_302600_NS5tupleIblNS6_9null_typeES8_S8_S8_S8_S8_S8_S8_EEEEZNS1_11reduce_implILb1ES3_NS6_12zip_iteratorINS7_INS6_11hip_rocprim26transform_input_iterator_tIbNSD_35transform_pair_of_input_iterators_tIbNS6_6detail15normal_iteratorINS6_10device_ptrIKxEEEESL_NS6_8equal_toIxEEEENSG_9not_fun_tINSD_8identityEEEEENSD_19counting_iterator_tIlEES8_S8_S8_S8_S8_S8_S8_S8_EEEEPS9_S9_NSD_9__find_if7functorIS9_EEEE10hipError_tPvRmT1_T2_T3_mT4_P12ihipStream_tbEUlT_E0_NS1_11comp_targetILNS1_3genE8ELNS1_11target_archE1030ELNS1_3gpuE2ELNS1_3repE0EEENS1_30default_config_static_selectorELNS0_4arch9wavefront6targetE0EEEvS14_
    .private_segment_fixed_size: 0
    .sgpr_count:     0
    .sgpr_spill_count: 0
    .symbol:         _ZN7rocprim17ROCPRIM_400000_NS6detail17trampoline_kernelINS0_14default_configENS1_22reduce_config_selectorIN6thrust23THRUST_200600_302600_NS5tupleIblNS6_9null_typeES8_S8_S8_S8_S8_S8_S8_EEEEZNS1_11reduce_implILb1ES3_NS6_12zip_iteratorINS7_INS6_11hip_rocprim26transform_input_iterator_tIbNSD_35transform_pair_of_input_iterators_tIbNS6_6detail15normal_iteratorINS6_10device_ptrIKxEEEESL_NS6_8equal_toIxEEEENSG_9not_fun_tINSD_8identityEEEEENSD_19counting_iterator_tIlEES8_S8_S8_S8_S8_S8_S8_S8_EEEEPS9_S9_NSD_9__find_if7functorIS9_EEEE10hipError_tPvRmT1_T2_T3_mT4_P12ihipStream_tbEUlT_E0_NS1_11comp_targetILNS1_3genE8ELNS1_11target_archE1030ELNS1_3gpuE2ELNS1_3repE0EEENS1_30default_config_static_selectorELNS0_4arch9wavefront6targetE0EEEvS14_.kd
    .uniform_work_group_size: 1
    .uses_dynamic_stack: false
    .vgpr_count:     0
    .vgpr_spill_count: 0
    .wavefront_size: 32
    .workgroup_processor_mode: 1
  - .args:
      - .offset:         0
        .size:           88
        .value_kind:     by_value
    .group_segment_fixed_size: 0
    .kernarg_segment_align: 8
    .kernarg_segment_size: 88
    .language:       OpenCL C
    .language_version:
      - 2
      - 0
    .max_flat_workgroup_size: 128
    .name:           _ZN7rocprim17ROCPRIM_400000_NS6detail17trampoline_kernelINS0_14default_configENS1_22reduce_config_selectorIN6thrust23THRUST_200600_302600_NS5tupleIblNS6_9null_typeES8_S8_S8_S8_S8_S8_S8_EEEEZNS1_11reduce_implILb1ES3_NS6_12zip_iteratorINS7_INS6_11hip_rocprim26transform_input_iterator_tIbNSD_35transform_pair_of_input_iterators_tIbNS6_6detail15normal_iteratorINS6_10device_ptrIKxEEEESL_NS6_8equal_toIxEEEENSG_9not_fun_tINSD_8identityEEEEENSD_19counting_iterator_tIlEES8_S8_S8_S8_S8_S8_S8_S8_EEEEPS9_S9_NSD_9__find_if7functorIS9_EEEE10hipError_tPvRmT1_T2_T3_mT4_P12ihipStream_tbEUlT_E1_NS1_11comp_targetILNS1_3genE0ELNS1_11target_archE4294967295ELNS1_3gpuE0ELNS1_3repE0EEENS1_30default_config_static_selectorELNS0_4arch9wavefront6targetE0EEEvS14_
    .private_segment_fixed_size: 0
    .sgpr_count:     0
    .sgpr_spill_count: 0
    .symbol:         _ZN7rocprim17ROCPRIM_400000_NS6detail17trampoline_kernelINS0_14default_configENS1_22reduce_config_selectorIN6thrust23THRUST_200600_302600_NS5tupleIblNS6_9null_typeES8_S8_S8_S8_S8_S8_S8_EEEEZNS1_11reduce_implILb1ES3_NS6_12zip_iteratorINS7_INS6_11hip_rocprim26transform_input_iterator_tIbNSD_35transform_pair_of_input_iterators_tIbNS6_6detail15normal_iteratorINS6_10device_ptrIKxEEEESL_NS6_8equal_toIxEEEENSG_9not_fun_tINSD_8identityEEEEENSD_19counting_iterator_tIlEES8_S8_S8_S8_S8_S8_S8_S8_EEEEPS9_S9_NSD_9__find_if7functorIS9_EEEE10hipError_tPvRmT1_T2_T3_mT4_P12ihipStream_tbEUlT_E1_NS1_11comp_targetILNS1_3genE0ELNS1_11target_archE4294967295ELNS1_3gpuE0ELNS1_3repE0EEENS1_30default_config_static_selectorELNS0_4arch9wavefront6targetE0EEEvS14_.kd
    .uniform_work_group_size: 1
    .uses_dynamic_stack: false
    .vgpr_count:     0
    .vgpr_spill_count: 0
    .wavefront_size: 32
    .workgroup_processor_mode: 1
  - .args:
      - .offset:         0
        .size:           88
        .value_kind:     by_value
    .group_segment_fixed_size: 0
    .kernarg_segment_align: 8
    .kernarg_segment_size: 88
    .language:       OpenCL C
    .language_version:
      - 2
      - 0
    .max_flat_workgroup_size: 256
    .name:           _ZN7rocprim17ROCPRIM_400000_NS6detail17trampoline_kernelINS0_14default_configENS1_22reduce_config_selectorIN6thrust23THRUST_200600_302600_NS5tupleIblNS6_9null_typeES8_S8_S8_S8_S8_S8_S8_EEEEZNS1_11reduce_implILb1ES3_NS6_12zip_iteratorINS7_INS6_11hip_rocprim26transform_input_iterator_tIbNSD_35transform_pair_of_input_iterators_tIbNS6_6detail15normal_iteratorINS6_10device_ptrIKxEEEESL_NS6_8equal_toIxEEEENSG_9not_fun_tINSD_8identityEEEEENSD_19counting_iterator_tIlEES8_S8_S8_S8_S8_S8_S8_S8_EEEEPS9_S9_NSD_9__find_if7functorIS9_EEEE10hipError_tPvRmT1_T2_T3_mT4_P12ihipStream_tbEUlT_E1_NS1_11comp_targetILNS1_3genE5ELNS1_11target_archE942ELNS1_3gpuE9ELNS1_3repE0EEENS1_30default_config_static_selectorELNS0_4arch9wavefront6targetE0EEEvS14_
    .private_segment_fixed_size: 0
    .sgpr_count:     0
    .sgpr_spill_count: 0
    .symbol:         _ZN7rocprim17ROCPRIM_400000_NS6detail17trampoline_kernelINS0_14default_configENS1_22reduce_config_selectorIN6thrust23THRUST_200600_302600_NS5tupleIblNS6_9null_typeES8_S8_S8_S8_S8_S8_S8_EEEEZNS1_11reduce_implILb1ES3_NS6_12zip_iteratorINS7_INS6_11hip_rocprim26transform_input_iterator_tIbNSD_35transform_pair_of_input_iterators_tIbNS6_6detail15normal_iteratorINS6_10device_ptrIKxEEEESL_NS6_8equal_toIxEEEENSG_9not_fun_tINSD_8identityEEEEENSD_19counting_iterator_tIlEES8_S8_S8_S8_S8_S8_S8_S8_EEEEPS9_S9_NSD_9__find_if7functorIS9_EEEE10hipError_tPvRmT1_T2_T3_mT4_P12ihipStream_tbEUlT_E1_NS1_11comp_targetILNS1_3genE5ELNS1_11target_archE942ELNS1_3gpuE9ELNS1_3repE0EEENS1_30default_config_static_selectorELNS0_4arch9wavefront6targetE0EEEvS14_.kd
    .uniform_work_group_size: 1
    .uses_dynamic_stack: false
    .vgpr_count:     0
    .vgpr_spill_count: 0
    .wavefront_size: 32
    .workgroup_processor_mode: 1
  - .args:
      - .offset:         0
        .size:           88
        .value_kind:     by_value
    .group_segment_fixed_size: 0
    .kernarg_segment_align: 8
    .kernarg_segment_size: 88
    .language:       OpenCL C
    .language_version:
      - 2
      - 0
    .max_flat_workgroup_size: 256
    .name:           _ZN7rocprim17ROCPRIM_400000_NS6detail17trampoline_kernelINS0_14default_configENS1_22reduce_config_selectorIN6thrust23THRUST_200600_302600_NS5tupleIblNS6_9null_typeES8_S8_S8_S8_S8_S8_S8_EEEEZNS1_11reduce_implILb1ES3_NS6_12zip_iteratorINS7_INS6_11hip_rocprim26transform_input_iterator_tIbNSD_35transform_pair_of_input_iterators_tIbNS6_6detail15normal_iteratorINS6_10device_ptrIKxEEEESL_NS6_8equal_toIxEEEENSG_9not_fun_tINSD_8identityEEEEENSD_19counting_iterator_tIlEES8_S8_S8_S8_S8_S8_S8_S8_EEEEPS9_S9_NSD_9__find_if7functorIS9_EEEE10hipError_tPvRmT1_T2_T3_mT4_P12ihipStream_tbEUlT_E1_NS1_11comp_targetILNS1_3genE4ELNS1_11target_archE910ELNS1_3gpuE8ELNS1_3repE0EEENS1_30default_config_static_selectorELNS0_4arch9wavefront6targetE0EEEvS14_
    .private_segment_fixed_size: 0
    .sgpr_count:     0
    .sgpr_spill_count: 0
    .symbol:         _ZN7rocprim17ROCPRIM_400000_NS6detail17trampoline_kernelINS0_14default_configENS1_22reduce_config_selectorIN6thrust23THRUST_200600_302600_NS5tupleIblNS6_9null_typeES8_S8_S8_S8_S8_S8_S8_EEEEZNS1_11reduce_implILb1ES3_NS6_12zip_iteratorINS7_INS6_11hip_rocprim26transform_input_iterator_tIbNSD_35transform_pair_of_input_iterators_tIbNS6_6detail15normal_iteratorINS6_10device_ptrIKxEEEESL_NS6_8equal_toIxEEEENSG_9not_fun_tINSD_8identityEEEEENSD_19counting_iterator_tIlEES8_S8_S8_S8_S8_S8_S8_S8_EEEEPS9_S9_NSD_9__find_if7functorIS9_EEEE10hipError_tPvRmT1_T2_T3_mT4_P12ihipStream_tbEUlT_E1_NS1_11comp_targetILNS1_3genE4ELNS1_11target_archE910ELNS1_3gpuE8ELNS1_3repE0EEENS1_30default_config_static_selectorELNS0_4arch9wavefront6targetE0EEEvS14_.kd
    .uniform_work_group_size: 1
    .uses_dynamic_stack: false
    .vgpr_count:     0
    .vgpr_spill_count: 0
    .wavefront_size: 32
    .workgroup_processor_mode: 1
  - .args:
      - .offset:         0
        .size:           88
        .value_kind:     by_value
    .group_segment_fixed_size: 0
    .kernarg_segment_align: 8
    .kernarg_segment_size: 88
    .language:       OpenCL C
    .language_version:
      - 2
      - 0
    .max_flat_workgroup_size: 128
    .name:           _ZN7rocprim17ROCPRIM_400000_NS6detail17trampoline_kernelINS0_14default_configENS1_22reduce_config_selectorIN6thrust23THRUST_200600_302600_NS5tupleIblNS6_9null_typeES8_S8_S8_S8_S8_S8_S8_EEEEZNS1_11reduce_implILb1ES3_NS6_12zip_iteratorINS7_INS6_11hip_rocprim26transform_input_iterator_tIbNSD_35transform_pair_of_input_iterators_tIbNS6_6detail15normal_iteratorINS6_10device_ptrIKxEEEESL_NS6_8equal_toIxEEEENSG_9not_fun_tINSD_8identityEEEEENSD_19counting_iterator_tIlEES8_S8_S8_S8_S8_S8_S8_S8_EEEEPS9_S9_NSD_9__find_if7functorIS9_EEEE10hipError_tPvRmT1_T2_T3_mT4_P12ihipStream_tbEUlT_E1_NS1_11comp_targetILNS1_3genE3ELNS1_11target_archE908ELNS1_3gpuE7ELNS1_3repE0EEENS1_30default_config_static_selectorELNS0_4arch9wavefront6targetE0EEEvS14_
    .private_segment_fixed_size: 0
    .sgpr_count:     0
    .sgpr_spill_count: 0
    .symbol:         _ZN7rocprim17ROCPRIM_400000_NS6detail17trampoline_kernelINS0_14default_configENS1_22reduce_config_selectorIN6thrust23THRUST_200600_302600_NS5tupleIblNS6_9null_typeES8_S8_S8_S8_S8_S8_S8_EEEEZNS1_11reduce_implILb1ES3_NS6_12zip_iteratorINS7_INS6_11hip_rocprim26transform_input_iterator_tIbNSD_35transform_pair_of_input_iterators_tIbNS6_6detail15normal_iteratorINS6_10device_ptrIKxEEEESL_NS6_8equal_toIxEEEENSG_9not_fun_tINSD_8identityEEEEENSD_19counting_iterator_tIlEES8_S8_S8_S8_S8_S8_S8_S8_EEEEPS9_S9_NSD_9__find_if7functorIS9_EEEE10hipError_tPvRmT1_T2_T3_mT4_P12ihipStream_tbEUlT_E1_NS1_11comp_targetILNS1_3genE3ELNS1_11target_archE908ELNS1_3gpuE7ELNS1_3repE0EEENS1_30default_config_static_selectorELNS0_4arch9wavefront6targetE0EEEvS14_.kd
    .uniform_work_group_size: 1
    .uses_dynamic_stack: false
    .vgpr_count:     0
    .vgpr_spill_count: 0
    .wavefront_size: 32
    .workgroup_processor_mode: 1
  - .args:
      - .offset:         0
        .size:           88
        .value_kind:     by_value
    .group_segment_fixed_size: 0
    .kernarg_segment_align: 8
    .kernarg_segment_size: 88
    .language:       OpenCL C
    .language_version:
      - 2
      - 0
    .max_flat_workgroup_size: 128
    .name:           _ZN7rocprim17ROCPRIM_400000_NS6detail17trampoline_kernelINS0_14default_configENS1_22reduce_config_selectorIN6thrust23THRUST_200600_302600_NS5tupleIblNS6_9null_typeES8_S8_S8_S8_S8_S8_S8_EEEEZNS1_11reduce_implILb1ES3_NS6_12zip_iteratorINS7_INS6_11hip_rocprim26transform_input_iterator_tIbNSD_35transform_pair_of_input_iterators_tIbNS6_6detail15normal_iteratorINS6_10device_ptrIKxEEEESL_NS6_8equal_toIxEEEENSG_9not_fun_tINSD_8identityEEEEENSD_19counting_iterator_tIlEES8_S8_S8_S8_S8_S8_S8_S8_EEEEPS9_S9_NSD_9__find_if7functorIS9_EEEE10hipError_tPvRmT1_T2_T3_mT4_P12ihipStream_tbEUlT_E1_NS1_11comp_targetILNS1_3genE2ELNS1_11target_archE906ELNS1_3gpuE6ELNS1_3repE0EEENS1_30default_config_static_selectorELNS0_4arch9wavefront6targetE0EEEvS14_
    .private_segment_fixed_size: 0
    .sgpr_count:     0
    .sgpr_spill_count: 0
    .symbol:         _ZN7rocprim17ROCPRIM_400000_NS6detail17trampoline_kernelINS0_14default_configENS1_22reduce_config_selectorIN6thrust23THRUST_200600_302600_NS5tupleIblNS6_9null_typeES8_S8_S8_S8_S8_S8_S8_EEEEZNS1_11reduce_implILb1ES3_NS6_12zip_iteratorINS7_INS6_11hip_rocprim26transform_input_iterator_tIbNSD_35transform_pair_of_input_iterators_tIbNS6_6detail15normal_iteratorINS6_10device_ptrIKxEEEESL_NS6_8equal_toIxEEEENSG_9not_fun_tINSD_8identityEEEEENSD_19counting_iterator_tIlEES8_S8_S8_S8_S8_S8_S8_S8_EEEEPS9_S9_NSD_9__find_if7functorIS9_EEEE10hipError_tPvRmT1_T2_T3_mT4_P12ihipStream_tbEUlT_E1_NS1_11comp_targetILNS1_3genE2ELNS1_11target_archE906ELNS1_3gpuE6ELNS1_3repE0EEENS1_30default_config_static_selectorELNS0_4arch9wavefront6targetE0EEEvS14_.kd
    .uniform_work_group_size: 1
    .uses_dynamic_stack: false
    .vgpr_count:     0
    .vgpr_spill_count: 0
    .wavefront_size: 32
    .workgroup_processor_mode: 1
  - .args:
      - .offset:         0
        .size:           88
        .value_kind:     by_value
    .group_segment_fixed_size: 0
    .kernarg_segment_align: 8
    .kernarg_segment_size: 88
    .language:       OpenCL C
    .language_version:
      - 2
      - 0
    .max_flat_workgroup_size: 256
    .name:           _ZN7rocprim17ROCPRIM_400000_NS6detail17trampoline_kernelINS0_14default_configENS1_22reduce_config_selectorIN6thrust23THRUST_200600_302600_NS5tupleIblNS6_9null_typeES8_S8_S8_S8_S8_S8_S8_EEEEZNS1_11reduce_implILb1ES3_NS6_12zip_iteratorINS7_INS6_11hip_rocprim26transform_input_iterator_tIbNSD_35transform_pair_of_input_iterators_tIbNS6_6detail15normal_iteratorINS6_10device_ptrIKxEEEESL_NS6_8equal_toIxEEEENSG_9not_fun_tINSD_8identityEEEEENSD_19counting_iterator_tIlEES8_S8_S8_S8_S8_S8_S8_S8_EEEEPS9_S9_NSD_9__find_if7functorIS9_EEEE10hipError_tPvRmT1_T2_T3_mT4_P12ihipStream_tbEUlT_E1_NS1_11comp_targetILNS1_3genE10ELNS1_11target_archE1201ELNS1_3gpuE5ELNS1_3repE0EEENS1_30default_config_static_selectorELNS0_4arch9wavefront6targetE0EEEvS14_
    .private_segment_fixed_size: 0
    .sgpr_count:     0
    .sgpr_spill_count: 0
    .symbol:         _ZN7rocprim17ROCPRIM_400000_NS6detail17trampoline_kernelINS0_14default_configENS1_22reduce_config_selectorIN6thrust23THRUST_200600_302600_NS5tupleIblNS6_9null_typeES8_S8_S8_S8_S8_S8_S8_EEEEZNS1_11reduce_implILb1ES3_NS6_12zip_iteratorINS7_INS6_11hip_rocprim26transform_input_iterator_tIbNSD_35transform_pair_of_input_iterators_tIbNS6_6detail15normal_iteratorINS6_10device_ptrIKxEEEESL_NS6_8equal_toIxEEEENSG_9not_fun_tINSD_8identityEEEEENSD_19counting_iterator_tIlEES8_S8_S8_S8_S8_S8_S8_S8_EEEEPS9_S9_NSD_9__find_if7functorIS9_EEEE10hipError_tPvRmT1_T2_T3_mT4_P12ihipStream_tbEUlT_E1_NS1_11comp_targetILNS1_3genE10ELNS1_11target_archE1201ELNS1_3gpuE5ELNS1_3repE0EEENS1_30default_config_static_selectorELNS0_4arch9wavefront6targetE0EEEvS14_.kd
    .uniform_work_group_size: 1
    .uses_dynamic_stack: false
    .vgpr_count:     0
    .vgpr_spill_count: 0
    .wavefront_size: 32
    .workgroup_processor_mode: 1
  - .args:
      - .offset:         0
        .size:           88
        .value_kind:     by_value
    .group_segment_fixed_size: 0
    .kernarg_segment_align: 8
    .kernarg_segment_size: 88
    .language:       OpenCL C
    .language_version:
      - 2
      - 0
    .max_flat_workgroup_size: 256
    .name:           _ZN7rocprim17ROCPRIM_400000_NS6detail17trampoline_kernelINS0_14default_configENS1_22reduce_config_selectorIN6thrust23THRUST_200600_302600_NS5tupleIblNS6_9null_typeES8_S8_S8_S8_S8_S8_S8_EEEEZNS1_11reduce_implILb1ES3_NS6_12zip_iteratorINS7_INS6_11hip_rocprim26transform_input_iterator_tIbNSD_35transform_pair_of_input_iterators_tIbNS6_6detail15normal_iteratorINS6_10device_ptrIKxEEEESL_NS6_8equal_toIxEEEENSG_9not_fun_tINSD_8identityEEEEENSD_19counting_iterator_tIlEES8_S8_S8_S8_S8_S8_S8_S8_EEEEPS9_S9_NSD_9__find_if7functorIS9_EEEE10hipError_tPvRmT1_T2_T3_mT4_P12ihipStream_tbEUlT_E1_NS1_11comp_targetILNS1_3genE10ELNS1_11target_archE1200ELNS1_3gpuE4ELNS1_3repE0EEENS1_30default_config_static_selectorELNS0_4arch9wavefront6targetE0EEEvS14_
    .private_segment_fixed_size: 0
    .sgpr_count:     0
    .sgpr_spill_count: 0
    .symbol:         _ZN7rocprim17ROCPRIM_400000_NS6detail17trampoline_kernelINS0_14default_configENS1_22reduce_config_selectorIN6thrust23THRUST_200600_302600_NS5tupleIblNS6_9null_typeES8_S8_S8_S8_S8_S8_S8_EEEEZNS1_11reduce_implILb1ES3_NS6_12zip_iteratorINS7_INS6_11hip_rocprim26transform_input_iterator_tIbNSD_35transform_pair_of_input_iterators_tIbNS6_6detail15normal_iteratorINS6_10device_ptrIKxEEEESL_NS6_8equal_toIxEEEENSG_9not_fun_tINSD_8identityEEEEENSD_19counting_iterator_tIlEES8_S8_S8_S8_S8_S8_S8_S8_EEEEPS9_S9_NSD_9__find_if7functorIS9_EEEE10hipError_tPvRmT1_T2_T3_mT4_P12ihipStream_tbEUlT_E1_NS1_11comp_targetILNS1_3genE10ELNS1_11target_archE1200ELNS1_3gpuE4ELNS1_3repE0EEENS1_30default_config_static_selectorELNS0_4arch9wavefront6targetE0EEEvS14_.kd
    .uniform_work_group_size: 1
    .uses_dynamic_stack: false
    .vgpr_count:     0
    .vgpr_spill_count: 0
    .wavefront_size: 32
    .workgroup_processor_mode: 1
  - .args:
      - .offset:         0
        .size:           88
        .value_kind:     by_value
    .group_segment_fixed_size: 640
    .kernarg_segment_align: 8
    .kernarg_segment_size: 88
    .language:       OpenCL C
    .language_version:
      - 2
      - 0
    .max_flat_workgroup_size: 256
    .name:           _ZN7rocprim17ROCPRIM_400000_NS6detail17trampoline_kernelINS0_14default_configENS1_22reduce_config_selectorIN6thrust23THRUST_200600_302600_NS5tupleIblNS6_9null_typeES8_S8_S8_S8_S8_S8_S8_EEEEZNS1_11reduce_implILb1ES3_NS6_12zip_iteratorINS7_INS6_11hip_rocprim26transform_input_iterator_tIbNSD_35transform_pair_of_input_iterators_tIbNS6_6detail15normal_iteratorINS6_10device_ptrIKxEEEESL_NS6_8equal_toIxEEEENSG_9not_fun_tINSD_8identityEEEEENSD_19counting_iterator_tIlEES8_S8_S8_S8_S8_S8_S8_S8_EEEEPS9_S9_NSD_9__find_if7functorIS9_EEEE10hipError_tPvRmT1_T2_T3_mT4_P12ihipStream_tbEUlT_E1_NS1_11comp_targetILNS1_3genE9ELNS1_11target_archE1100ELNS1_3gpuE3ELNS1_3repE0EEENS1_30default_config_static_selectorELNS0_4arch9wavefront6targetE0EEEvS14_
    .private_segment_fixed_size: 0
    .sgpr_count:     34
    .sgpr_spill_count: 0
    .symbol:         _ZN7rocprim17ROCPRIM_400000_NS6detail17trampoline_kernelINS0_14default_configENS1_22reduce_config_selectorIN6thrust23THRUST_200600_302600_NS5tupleIblNS6_9null_typeES8_S8_S8_S8_S8_S8_S8_EEEEZNS1_11reduce_implILb1ES3_NS6_12zip_iteratorINS7_INS6_11hip_rocprim26transform_input_iterator_tIbNSD_35transform_pair_of_input_iterators_tIbNS6_6detail15normal_iteratorINS6_10device_ptrIKxEEEESL_NS6_8equal_toIxEEEENSG_9not_fun_tINSD_8identityEEEEENSD_19counting_iterator_tIlEES8_S8_S8_S8_S8_S8_S8_S8_EEEEPS9_S9_NSD_9__find_if7functorIS9_EEEE10hipError_tPvRmT1_T2_T3_mT4_P12ihipStream_tbEUlT_E1_NS1_11comp_targetILNS1_3genE9ELNS1_11target_archE1100ELNS1_3gpuE3ELNS1_3repE0EEENS1_30default_config_static_selectorELNS0_4arch9wavefront6targetE0EEEvS14_.kd
    .uniform_work_group_size: 1
    .uses_dynamic_stack: false
    .vgpr_count:     34
    .vgpr_spill_count: 0
    .wavefront_size: 32
    .workgroup_processor_mode: 1
  - .args:
      - .offset:         0
        .size:           88
        .value_kind:     by_value
    .group_segment_fixed_size: 0
    .kernarg_segment_align: 8
    .kernarg_segment_size: 88
    .language:       OpenCL C
    .language_version:
      - 2
      - 0
    .max_flat_workgroup_size: 256
    .name:           _ZN7rocprim17ROCPRIM_400000_NS6detail17trampoline_kernelINS0_14default_configENS1_22reduce_config_selectorIN6thrust23THRUST_200600_302600_NS5tupleIblNS6_9null_typeES8_S8_S8_S8_S8_S8_S8_EEEEZNS1_11reduce_implILb1ES3_NS6_12zip_iteratorINS7_INS6_11hip_rocprim26transform_input_iterator_tIbNSD_35transform_pair_of_input_iterators_tIbNS6_6detail15normal_iteratorINS6_10device_ptrIKxEEEESL_NS6_8equal_toIxEEEENSG_9not_fun_tINSD_8identityEEEEENSD_19counting_iterator_tIlEES8_S8_S8_S8_S8_S8_S8_S8_EEEEPS9_S9_NSD_9__find_if7functorIS9_EEEE10hipError_tPvRmT1_T2_T3_mT4_P12ihipStream_tbEUlT_E1_NS1_11comp_targetILNS1_3genE8ELNS1_11target_archE1030ELNS1_3gpuE2ELNS1_3repE0EEENS1_30default_config_static_selectorELNS0_4arch9wavefront6targetE0EEEvS14_
    .private_segment_fixed_size: 0
    .sgpr_count:     0
    .sgpr_spill_count: 0
    .symbol:         _ZN7rocprim17ROCPRIM_400000_NS6detail17trampoline_kernelINS0_14default_configENS1_22reduce_config_selectorIN6thrust23THRUST_200600_302600_NS5tupleIblNS6_9null_typeES8_S8_S8_S8_S8_S8_S8_EEEEZNS1_11reduce_implILb1ES3_NS6_12zip_iteratorINS7_INS6_11hip_rocprim26transform_input_iterator_tIbNSD_35transform_pair_of_input_iterators_tIbNS6_6detail15normal_iteratorINS6_10device_ptrIKxEEEESL_NS6_8equal_toIxEEEENSG_9not_fun_tINSD_8identityEEEEENSD_19counting_iterator_tIlEES8_S8_S8_S8_S8_S8_S8_S8_EEEEPS9_S9_NSD_9__find_if7functorIS9_EEEE10hipError_tPvRmT1_T2_T3_mT4_P12ihipStream_tbEUlT_E1_NS1_11comp_targetILNS1_3genE8ELNS1_11target_archE1030ELNS1_3gpuE2ELNS1_3repE0EEENS1_30default_config_static_selectorELNS0_4arch9wavefront6targetE0EEEvS14_.kd
    .uniform_work_group_size: 1
    .uses_dynamic_stack: false
    .vgpr_count:     0
    .vgpr_spill_count: 0
    .wavefront_size: 32
    .workgroup_processor_mode: 1
  - .args:
      - .offset:         0
        .size:           104
        .value_kind:     by_value
    .group_segment_fixed_size: 0
    .kernarg_segment_align: 8
    .kernarg_segment_size: 104
    .language:       OpenCL C
    .language_version:
      - 2
      - 0
    .max_flat_workgroup_size: 128
    .name:           _ZN7rocprim17ROCPRIM_400000_NS6detail17trampoline_kernelINS0_14default_configENS1_22reduce_config_selectorIN6thrust23THRUST_200600_302600_NS5tupleIblNS6_9null_typeES8_S8_S8_S8_S8_S8_S8_EEEEZNS1_11reduce_implILb1ES3_NS6_12zip_iteratorINS7_INS6_11hip_rocprim26transform_input_iterator_tIbNSD_35transform_pair_of_input_iterators_tIbNS6_6detail15normal_iteratorINS6_10device_ptrIKiEEEESL_NS6_8equal_toIiEEEENSG_9not_fun_tINSD_8identityEEEEENSD_19counting_iterator_tIlEES8_S8_S8_S8_S8_S8_S8_S8_EEEEPS9_S9_NSD_9__find_if7functorIS9_EEEE10hipError_tPvRmT1_T2_T3_mT4_P12ihipStream_tbEUlT_E0_NS1_11comp_targetILNS1_3genE0ELNS1_11target_archE4294967295ELNS1_3gpuE0ELNS1_3repE0EEENS1_30default_config_static_selectorELNS0_4arch9wavefront6targetE0EEEvS14_
    .private_segment_fixed_size: 0
    .sgpr_count:     0
    .sgpr_spill_count: 0
    .symbol:         _ZN7rocprim17ROCPRIM_400000_NS6detail17trampoline_kernelINS0_14default_configENS1_22reduce_config_selectorIN6thrust23THRUST_200600_302600_NS5tupleIblNS6_9null_typeES8_S8_S8_S8_S8_S8_S8_EEEEZNS1_11reduce_implILb1ES3_NS6_12zip_iteratorINS7_INS6_11hip_rocprim26transform_input_iterator_tIbNSD_35transform_pair_of_input_iterators_tIbNS6_6detail15normal_iteratorINS6_10device_ptrIKiEEEESL_NS6_8equal_toIiEEEENSG_9not_fun_tINSD_8identityEEEEENSD_19counting_iterator_tIlEES8_S8_S8_S8_S8_S8_S8_S8_EEEEPS9_S9_NSD_9__find_if7functorIS9_EEEE10hipError_tPvRmT1_T2_T3_mT4_P12ihipStream_tbEUlT_E0_NS1_11comp_targetILNS1_3genE0ELNS1_11target_archE4294967295ELNS1_3gpuE0ELNS1_3repE0EEENS1_30default_config_static_selectorELNS0_4arch9wavefront6targetE0EEEvS14_.kd
    .uniform_work_group_size: 1
    .uses_dynamic_stack: false
    .vgpr_count:     0
    .vgpr_spill_count: 0
    .wavefront_size: 32
    .workgroup_processor_mode: 1
  - .args:
      - .offset:         0
        .size:           104
        .value_kind:     by_value
    .group_segment_fixed_size: 0
    .kernarg_segment_align: 8
    .kernarg_segment_size: 104
    .language:       OpenCL C
    .language_version:
      - 2
      - 0
    .max_flat_workgroup_size: 256
    .name:           _ZN7rocprim17ROCPRIM_400000_NS6detail17trampoline_kernelINS0_14default_configENS1_22reduce_config_selectorIN6thrust23THRUST_200600_302600_NS5tupleIblNS6_9null_typeES8_S8_S8_S8_S8_S8_S8_EEEEZNS1_11reduce_implILb1ES3_NS6_12zip_iteratorINS7_INS6_11hip_rocprim26transform_input_iterator_tIbNSD_35transform_pair_of_input_iterators_tIbNS6_6detail15normal_iteratorINS6_10device_ptrIKiEEEESL_NS6_8equal_toIiEEEENSG_9not_fun_tINSD_8identityEEEEENSD_19counting_iterator_tIlEES8_S8_S8_S8_S8_S8_S8_S8_EEEEPS9_S9_NSD_9__find_if7functorIS9_EEEE10hipError_tPvRmT1_T2_T3_mT4_P12ihipStream_tbEUlT_E0_NS1_11comp_targetILNS1_3genE5ELNS1_11target_archE942ELNS1_3gpuE9ELNS1_3repE0EEENS1_30default_config_static_selectorELNS0_4arch9wavefront6targetE0EEEvS14_
    .private_segment_fixed_size: 0
    .sgpr_count:     0
    .sgpr_spill_count: 0
    .symbol:         _ZN7rocprim17ROCPRIM_400000_NS6detail17trampoline_kernelINS0_14default_configENS1_22reduce_config_selectorIN6thrust23THRUST_200600_302600_NS5tupleIblNS6_9null_typeES8_S8_S8_S8_S8_S8_S8_EEEEZNS1_11reduce_implILb1ES3_NS6_12zip_iteratorINS7_INS6_11hip_rocprim26transform_input_iterator_tIbNSD_35transform_pair_of_input_iterators_tIbNS6_6detail15normal_iteratorINS6_10device_ptrIKiEEEESL_NS6_8equal_toIiEEEENSG_9not_fun_tINSD_8identityEEEEENSD_19counting_iterator_tIlEES8_S8_S8_S8_S8_S8_S8_S8_EEEEPS9_S9_NSD_9__find_if7functorIS9_EEEE10hipError_tPvRmT1_T2_T3_mT4_P12ihipStream_tbEUlT_E0_NS1_11comp_targetILNS1_3genE5ELNS1_11target_archE942ELNS1_3gpuE9ELNS1_3repE0EEENS1_30default_config_static_selectorELNS0_4arch9wavefront6targetE0EEEvS14_.kd
    .uniform_work_group_size: 1
    .uses_dynamic_stack: false
    .vgpr_count:     0
    .vgpr_spill_count: 0
    .wavefront_size: 32
    .workgroup_processor_mode: 1
  - .args:
      - .offset:         0
        .size:           104
        .value_kind:     by_value
    .group_segment_fixed_size: 0
    .kernarg_segment_align: 8
    .kernarg_segment_size: 104
    .language:       OpenCL C
    .language_version:
      - 2
      - 0
    .max_flat_workgroup_size: 256
    .name:           _ZN7rocprim17ROCPRIM_400000_NS6detail17trampoline_kernelINS0_14default_configENS1_22reduce_config_selectorIN6thrust23THRUST_200600_302600_NS5tupleIblNS6_9null_typeES8_S8_S8_S8_S8_S8_S8_EEEEZNS1_11reduce_implILb1ES3_NS6_12zip_iteratorINS7_INS6_11hip_rocprim26transform_input_iterator_tIbNSD_35transform_pair_of_input_iterators_tIbNS6_6detail15normal_iteratorINS6_10device_ptrIKiEEEESL_NS6_8equal_toIiEEEENSG_9not_fun_tINSD_8identityEEEEENSD_19counting_iterator_tIlEES8_S8_S8_S8_S8_S8_S8_S8_EEEEPS9_S9_NSD_9__find_if7functorIS9_EEEE10hipError_tPvRmT1_T2_T3_mT4_P12ihipStream_tbEUlT_E0_NS1_11comp_targetILNS1_3genE4ELNS1_11target_archE910ELNS1_3gpuE8ELNS1_3repE0EEENS1_30default_config_static_selectorELNS0_4arch9wavefront6targetE0EEEvS14_
    .private_segment_fixed_size: 0
    .sgpr_count:     0
    .sgpr_spill_count: 0
    .symbol:         _ZN7rocprim17ROCPRIM_400000_NS6detail17trampoline_kernelINS0_14default_configENS1_22reduce_config_selectorIN6thrust23THRUST_200600_302600_NS5tupleIblNS6_9null_typeES8_S8_S8_S8_S8_S8_S8_EEEEZNS1_11reduce_implILb1ES3_NS6_12zip_iteratorINS7_INS6_11hip_rocprim26transform_input_iterator_tIbNSD_35transform_pair_of_input_iterators_tIbNS6_6detail15normal_iteratorINS6_10device_ptrIKiEEEESL_NS6_8equal_toIiEEEENSG_9not_fun_tINSD_8identityEEEEENSD_19counting_iterator_tIlEES8_S8_S8_S8_S8_S8_S8_S8_EEEEPS9_S9_NSD_9__find_if7functorIS9_EEEE10hipError_tPvRmT1_T2_T3_mT4_P12ihipStream_tbEUlT_E0_NS1_11comp_targetILNS1_3genE4ELNS1_11target_archE910ELNS1_3gpuE8ELNS1_3repE0EEENS1_30default_config_static_selectorELNS0_4arch9wavefront6targetE0EEEvS14_.kd
    .uniform_work_group_size: 1
    .uses_dynamic_stack: false
    .vgpr_count:     0
    .vgpr_spill_count: 0
    .wavefront_size: 32
    .workgroup_processor_mode: 1
  - .args:
      - .offset:         0
        .size:           104
        .value_kind:     by_value
    .group_segment_fixed_size: 0
    .kernarg_segment_align: 8
    .kernarg_segment_size: 104
    .language:       OpenCL C
    .language_version:
      - 2
      - 0
    .max_flat_workgroup_size: 128
    .name:           _ZN7rocprim17ROCPRIM_400000_NS6detail17trampoline_kernelINS0_14default_configENS1_22reduce_config_selectorIN6thrust23THRUST_200600_302600_NS5tupleIblNS6_9null_typeES8_S8_S8_S8_S8_S8_S8_EEEEZNS1_11reduce_implILb1ES3_NS6_12zip_iteratorINS7_INS6_11hip_rocprim26transform_input_iterator_tIbNSD_35transform_pair_of_input_iterators_tIbNS6_6detail15normal_iteratorINS6_10device_ptrIKiEEEESL_NS6_8equal_toIiEEEENSG_9not_fun_tINSD_8identityEEEEENSD_19counting_iterator_tIlEES8_S8_S8_S8_S8_S8_S8_S8_EEEEPS9_S9_NSD_9__find_if7functorIS9_EEEE10hipError_tPvRmT1_T2_T3_mT4_P12ihipStream_tbEUlT_E0_NS1_11comp_targetILNS1_3genE3ELNS1_11target_archE908ELNS1_3gpuE7ELNS1_3repE0EEENS1_30default_config_static_selectorELNS0_4arch9wavefront6targetE0EEEvS14_
    .private_segment_fixed_size: 0
    .sgpr_count:     0
    .sgpr_spill_count: 0
    .symbol:         _ZN7rocprim17ROCPRIM_400000_NS6detail17trampoline_kernelINS0_14default_configENS1_22reduce_config_selectorIN6thrust23THRUST_200600_302600_NS5tupleIblNS6_9null_typeES8_S8_S8_S8_S8_S8_S8_EEEEZNS1_11reduce_implILb1ES3_NS6_12zip_iteratorINS7_INS6_11hip_rocprim26transform_input_iterator_tIbNSD_35transform_pair_of_input_iterators_tIbNS6_6detail15normal_iteratorINS6_10device_ptrIKiEEEESL_NS6_8equal_toIiEEEENSG_9not_fun_tINSD_8identityEEEEENSD_19counting_iterator_tIlEES8_S8_S8_S8_S8_S8_S8_S8_EEEEPS9_S9_NSD_9__find_if7functorIS9_EEEE10hipError_tPvRmT1_T2_T3_mT4_P12ihipStream_tbEUlT_E0_NS1_11comp_targetILNS1_3genE3ELNS1_11target_archE908ELNS1_3gpuE7ELNS1_3repE0EEENS1_30default_config_static_selectorELNS0_4arch9wavefront6targetE0EEEvS14_.kd
    .uniform_work_group_size: 1
    .uses_dynamic_stack: false
    .vgpr_count:     0
    .vgpr_spill_count: 0
    .wavefront_size: 32
    .workgroup_processor_mode: 1
  - .args:
      - .offset:         0
        .size:           104
        .value_kind:     by_value
    .group_segment_fixed_size: 0
    .kernarg_segment_align: 8
    .kernarg_segment_size: 104
    .language:       OpenCL C
    .language_version:
      - 2
      - 0
    .max_flat_workgroup_size: 128
    .name:           _ZN7rocprim17ROCPRIM_400000_NS6detail17trampoline_kernelINS0_14default_configENS1_22reduce_config_selectorIN6thrust23THRUST_200600_302600_NS5tupleIblNS6_9null_typeES8_S8_S8_S8_S8_S8_S8_EEEEZNS1_11reduce_implILb1ES3_NS6_12zip_iteratorINS7_INS6_11hip_rocprim26transform_input_iterator_tIbNSD_35transform_pair_of_input_iterators_tIbNS6_6detail15normal_iteratorINS6_10device_ptrIKiEEEESL_NS6_8equal_toIiEEEENSG_9not_fun_tINSD_8identityEEEEENSD_19counting_iterator_tIlEES8_S8_S8_S8_S8_S8_S8_S8_EEEEPS9_S9_NSD_9__find_if7functorIS9_EEEE10hipError_tPvRmT1_T2_T3_mT4_P12ihipStream_tbEUlT_E0_NS1_11comp_targetILNS1_3genE2ELNS1_11target_archE906ELNS1_3gpuE6ELNS1_3repE0EEENS1_30default_config_static_selectorELNS0_4arch9wavefront6targetE0EEEvS14_
    .private_segment_fixed_size: 0
    .sgpr_count:     0
    .sgpr_spill_count: 0
    .symbol:         _ZN7rocprim17ROCPRIM_400000_NS6detail17trampoline_kernelINS0_14default_configENS1_22reduce_config_selectorIN6thrust23THRUST_200600_302600_NS5tupleIblNS6_9null_typeES8_S8_S8_S8_S8_S8_S8_EEEEZNS1_11reduce_implILb1ES3_NS6_12zip_iteratorINS7_INS6_11hip_rocprim26transform_input_iterator_tIbNSD_35transform_pair_of_input_iterators_tIbNS6_6detail15normal_iteratorINS6_10device_ptrIKiEEEESL_NS6_8equal_toIiEEEENSG_9not_fun_tINSD_8identityEEEEENSD_19counting_iterator_tIlEES8_S8_S8_S8_S8_S8_S8_S8_EEEEPS9_S9_NSD_9__find_if7functorIS9_EEEE10hipError_tPvRmT1_T2_T3_mT4_P12ihipStream_tbEUlT_E0_NS1_11comp_targetILNS1_3genE2ELNS1_11target_archE906ELNS1_3gpuE6ELNS1_3repE0EEENS1_30default_config_static_selectorELNS0_4arch9wavefront6targetE0EEEvS14_.kd
    .uniform_work_group_size: 1
    .uses_dynamic_stack: false
    .vgpr_count:     0
    .vgpr_spill_count: 0
    .wavefront_size: 32
    .workgroup_processor_mode: 1
  - .args:
      - .offset:         0
        .size:           104
        .value_kind:     by_value
    .group_segment_fixed_size: 0
    .kernarg_segment_align: 8
    .kernarg_segment_size: 104
    .language:       OpenCL C
    .language_version:
      - 2
      - 0
    .max_flat_workgroup_size: 256
    .name:           _ZN7rocprim17ROCPRIM_400000_NS6detail17trampoline_kernelINS0_14default_configENS1_22reduce_config_selectorIN6thrust23THRUST_200600_302600_NS5tupleIblNS6_9null_typeES8_S8_S8_S8_S8_S8_S8_EEEEZNS1_11reduce_implILb1ES3_NS6_12zip_iteratorINS7_INS6_11hip_rocprim26transform_input_iterator_tIbNSD_35transform_pair_of_input_iterators_tIbNS6_6detail15normal_iteratorINS6_10device_ptrIKiEEEESL_NS6_8equal_toIiEEEENSG_9not_fun_tINSD_8identityEEEEENSD_19counting_iterator_tIlEES8_S8_S8_S8_S8_S8_S8_S8_EEEEPS9_S9_NSD_9__find_if7functorIS9_EEEE10hipError_tPvRmT1_T2_T3_mT4_P12ihipStream_tbEUlT_E0_NS1_11comp_targetILNS1_3genE10ELNS1_11target_archE1201ELNS1_3gpuE5ELNS1_3repE0EEENS1_30default_config_static_selectorELNS0_4arch9wavefront6targetE0EEEvS14_
    .private_segment_fixed_size: 0
    .sgpr_count:     0
    .sgpr_spill_count: 0
    .symbol:         _ZN7rocprim17ROCPRIM_400000_NS6detail17trampoline_kernelINS0_14default_configENS1_22reduce_config_selectorIN6thrust23THRUST_200600_302600_NS5tupleIblNS6_9null_typeES8_S8_S8_S8_S8_S8_S8_EEEEZNS1_11reduce_implILb1ES3_NS6_12zip_iteratorINS7_INS6_11hip_rocprim26transform_input_iterator_tIbNSD_35transform_pair_of_input_iterators_tIbNS6_6detail15normal_iteratorINS6_10device_ptrIKiEEEESL_NS6_8equal_toIiEEEENSG_9not_fun_tINSD_8identityEEEEENSD_19counting_iterator_tIlEES8_S8_S8_S8_S8_S8_S8_S8_EEEEPS9_S9_NSD_9__find_if7functorIS9_EEEE10hipError_tPvRmT1_T2_T3_mT4_P12ihipStream_tbEUlT_E0_NS1_11comp_targetILNS1_3genE10ELNS1_11target_archE1201ELNS1_3gpuE5ELNS1_3repE0EEENS1_30default_config_static_selectorELNS0_4arch9wavefront6targetE0EEEvS14_.kd
    .uniform_work_group_size: 1
    .uses_dynamic_stack: false
    .vgpr_count:     0
    .vgpr_spill_count: 0
    .wavefront_size: 32
    .workgroup_processor_mode: 1
  - .args:
      - .offset:         0
        .size:           104
        .value_kind:     by_value
    .group_segment_fixed_size: 0
    .kernarg_segment_align: 8
    .kernarg_segment_size: 104
    .language:       OpenCL C
    .language_version:
      - 2
      - 0
    .max_flat_workgroup_size: 256
    .name:           _ZN7rocprim17ROCPRIM_400000_NS6detail17trampoline_kernelINS0_14default_configENS1_22reduce_config_selectorIN6thrust23THRUST_200600_302600_NS5tupleIblNS6_9null_typeES8_S8_S8_S8_S8_S8_S8_EEEEZNS1_11reduce_implILb1ES3_NS6_12zip_iteratorINS7_INS6_11hip_rocprim26transform_input_iterator_tIbNSD_35transform_pair_of_input_iterators_tIbNS6_6detail15normal_iteratorINS6_10device_ptrIKiEEEESL_NS6_8equal_toIiEEEENSG_9not_fun_tINSD_8identityEEEEENSD_19counting_iterator_tIlEES8_S8_S8_S8_S8_S8_S8_S8_EEEEPS9_S9_NSD_9__find_if7functorIS9_EEEE10hipError_tPvRmT1_T2_T3_mT4_P12ihipStream_tbEUlT_E0_NS1_11comp_targetILNS1_3genE10ELNS1_11target_archE1200ELNS1_3gpuE4ELNS1_3repE0EEENS1_30default_config_static_selectorELNS0_4arch9wavefront6targetE0EEEvS14_
    .private_segment_fixed_size: 0
    .sgpr_count:     0
    .sgpr_spill_count: 0
    .symbol:         _ZN7rocprim17ROCPRIM_400000_NS6detail17trampoline_kernelINS0_14default_configENS1_22reduce_config_selectorIN6thrust23THRUST_200600_302600_NS5tupleIblNS6_9null_typeES8_S8_S8_S8_S8_S8_S8_EEEEZNS1_11reduce_implILb1ES3_NS6_12zip_iteratorINS7_INS6_11hip_rocprim26transform_input_iterator_tIbNSD_35transform_pair_of_input_iterators_tIbNS6_6detail15normal_iteratorINS6_10device_ptrIKiEEEESL_NS6_8equal_toIiEEEENSG_9not_fun_tINSD_8identityEEEEENSD_19counting_iterator_tIlEES8_S8_S8_S8_S8_S8_S8_S8_EEEEPS9_S9_NSD_9__find_if7functorIS9_EEEE10hipError_tPvRmT1_T2_T3_mT4_P12ihipStream_tbEUlT_E0_NS1_11comp_targetILNS1_3genE10ELNS1_11target_archE1200ELNS1_3gpuE4ELNS1_3repE0EEENS1_30default_config_static_selectorELNS0_4arch9wavefront6targetE0EEEvS14_.kd
    .uniform_work_group_size: 1
    .uses_dynamic_stack: false
    .vgpr_count:     0
    .vgpr_spill_count: 0
    .wavefront_size: 32
    .workgroup_processor_mode: 1
  - .args:
      - .offset:         0
        .size:           104
        .value_kind:     by_value
    .group_segment_fixed_size: 256
    .kernarg_segment_align: 8
    .kernarg_segment_size: 104
    .language:       OpenCL C
    .language_version:
      - 2
      - 0
    .max_flat_workgroup_size: 256
    .name:           _ZN7rocprim17ROCPRIM_400000_NS6detail17trampoline_kernelINS0_14default_configENS1_22reduce_config_selectorIN6thrust23THRUST_200600_302600_NS5tupleIblNS6_9null_typeES8_S8_S8_S8_S8_S8_S8_EEEEZNS1_11reduce_implILb1ES3_NS6_12zip_iteratorINS7_INS6_11hip_rocprim26transform_input_iterator_tIbNSD_35transform_pair_of_input_iterators_tIbNS6_6detail15normal_iteratorINS6_10device_ptrIKiEEEESL_NS6_8equal_toIiEEEENSG_9not_fun_tINSD_8identityEEEEENSD_19counting_iterator_tIlEES8_S8_S8_S8_S8_S8_S8_S8_EEEEPS9_S9_NSD_9__find_if7functorIS9_EEEE10hipError_tPvRmT1_T2_T3_mT4_P12ihipStream_tbEUlT_E0_NS1_11comp_targetILNS1_3genE9ELNS1_11target_archE1100ELNS1_3gpuE3ELNS1_3repE0EEENS1_30default_config_static_selectorELNS0_4arch9wavefront6targetE0EEEvS14_
    .private_segment_fixed_size: 0
    .sgpr_count:     30
    .sgpr_spill_count: 0
    .symbol:         _ZN7rocprim17ROCPRIM_400000_NS6detail17trampoline_kernelINS0_14default_configENS1_22reduce_config_selectorIN6thrust23THRUST_200600_302600_NS5tupleIblNS6_9null_typeES8_S8_S8_S8_S8_S8_S8_EEEEZNS1_11reduce_implILb1ES3_NS6_12zip_iteratorINS7_INS6_11hip_rocprim26transform_input_iterator_tIbNSD_35transform_pair_of_input_iterators_tIbNS6_6detail15normal_iteratorINS6_10device_ptrIKiEEEESL_NS6_8equal_toIiEEEENSG_9not_fun_tINSD_8identityEEEEENSD_19counting_iterator_tIlEES8_S8_S8_S8_S8_S8_S8_S8_EEEEPS9_S9_NSD_9__find_if7functorIS9_EEEE10hipError_tPvRmT1_T2_T3_mT4_P12ihipStream_tbEUlT_E0_NS1_11comp_targetILNS1_3genE9ELNS1_11target_archE1100ELNS1_3gpuE3ELNS1_3repE0EEENS1_30default_config_static_selectorELNS0_4arch9wavefront6targetE0EEEvS14_.kd
    .uniform_work_group_size: 1
    .uses_dynamic_stack: false
    .vgpr_count:     16
    .vgpr_spill_count: 0
    .wavefront_size: 32
    .workgroup_processor_mode: 1
  - .args:
      - .offset:         0
        .size:           104
        .value_kind:     by_value
    .group_segment_fixed_size: 0
    .kernarg_segment_align: 8
    .kernarg_segment_size: 104
    .language:       OpenCL C
    .language_version:
      - 2
      - 0
    .max_flat_workgroup_size: 256
    .name:           _ZN7rocprim17ROCPRIM_400000_NS6detail17trampoline_kernelINS0_14default_configENS1_22reduce_config_selectorIN6thrust23THRUST_200600_302600_NS5tupleIblNS6_9null_typeES8_S8_S8_S8_S8_S8_S8_EEEEZNS1_11reduce_implILb1ES3_NS6_12zip_iteratorINS7_INS6_11hip_rocprim26transform_input_iterator_tIbNSD_35transform_pair_of_input_iterators_tIbNS6_6detail15normal_iteratorINS6_10device_ptrIKiEEEESL_NS6_8equal_toIiEEEENSG_9not_fun_tINSD_8identityEEEEENSD_19counting_iterator_tIlEES8_S8_S8_S8_S8_S8_S8_S8_EEEEPS9_S9_NSD_9__find_if7functorIS9_EEEE10hipError_tPvRmT1_T2_T3_mT4_P12ihipStream_tbEUlT_E0_NS1_11comp_targetILNS1_3genE8ELNS1_11target_archE1030ELNS1_3gpuE2ELNS1_3repE0EEENS1_30default_config_static_selectorELNS0_4arch9wavefront6targetE0EEEvS14_
    .private_segment_fixed_size: 0
    .sgpr_count:     0
    .sgpr_spill_count: 0
    .symbol:         _ZN7rocprim17ROCPRIM_400000_NS6detail17trampoline_kernelINS0_14default_configENS1_22reduce_config_selectorIN6thrust23THRUST_200600_302600_NS5tupleIblNS6_9null_typeES8_S8_S8_S8_S8_S8_S8_EEEEZNS1_11reduce_implILb1ES3_NS6_12zip_iteratorINS7_INS6_11hip_rocprim26transform_input_iterator_tIbNSD_35transform_pair_of_input_iterators_tIbNS6_6detail15normal_iteratorINS6_10device_ptrIKiEEEESL_NS6_8equal_toIiEEEENSG_9not_fun_tINSD_8identityEEEEENSD_19counting_iterator_tIlEES8_S8_S8_S8_S8_S8_S8_S8_EEEEPS9_S9_NSD_9__find_if7functorIS9_EEEE10hipError_tPvRmT1_T2_T3_mT4_P12ihipStream_tbEUlT_E0_NS1_11comp_targetILNS1_3genE8ELNS1_11target_archE1030ELNS1_3gpuE2ELNS1_3repE0EEENS1_30default_config_static_selectorELNS0_4arch9wavefront6targetE0EEEvS14_.kd
    .uniform_work_group_size: 1
    .uses_dynamic_stack: false
    .vgpr_count:     0
    .vgpr_spill_count: 0
    .wavefront_size: 32
    .workgroup_processor_mode: 1
  - .args:
      - .offset:         0
        .size:           88
        .value_kind:     by_value
    .group_segment_fixed_size: 0
    .kernarg_segment_align: 8
    .kernarg_segment_size: 88
    .language:       OpenCL C
    .language_version:
      - 2
      - 0
    .max_flat_workgroup_size: 128
    .name:           _ZN7rocprim17ROCPRIM_400000_NS6detail17trampoline_kernelINS0_14default_configENS1_22reduce_config_selectorIN6thrust23THRUST_200600_302600_NS5tupleIblNS6_9null_typeES8_S8_S8_S8_S8_S8_S8_EEEEZNS1_11reduce_implILb1ES3_NS6_12zip_iteratorINS7_INS6_11hip_rocprim26transform_input_iterator_tIbNSD_35transform_pair_of_input_iterators_tIbNS6_6detail15normal_iteratorINS6_10device_ptrIKiEEEESL_NS6_8equal_toIiEEEENSG_9not_fun_tINSD_8identityEEEEENSD_19counting_iterator_tIlEES8_S8_S8_S8_S8_S8_S8_S8_EEEEPS9_S9_NSD_9__find_if7functorIS9_EEEE10hipError_tPvRmT1_T2_T3_mT4_P12ihipStream_tbEUlT_E1_NS1_11comp_targetILNS1_3genE0ELNS1_11target_archE4294967295ELNS1_3gpuE0ELNS1_3repE0EEENS1_30default_config_static_selectorELNS0_4arch9wavefront6targetE0EEEvS14_
    .private_segment_fixed_size: 0
    .sgpr_count:     0
    .sgpr_spill_count: 0
    .symbol:         _ZN7rocprim17ROCPRIM_400000_NS6detail17trampoline_kernelINS0_14default_configENS1_22reduce_config_selectorIN6thrust23THRUST_200600_302600_NS5tupleIblNS6_9null_typeES8_S8_S8_S8_S8_S8_S8_EEEEZNS1_11reduce_implILb1ES3_NS6_12zip_iteratorINS7_INS6_11hip_rocprim26transform_input_iterator_tIbNSD_35transform_pair_of_input_iterators_tIbNS6_6detail15normal_iteratorINS6_10device_ptrIKiEEEESL_NS6_8equal_toIiEEEENSG_9not_fun_tINSD_8identityEEEEENSD_19counting_iterator_tIlEES8_S8_S8_S8_S8_S8_S8_S8_EEEEPS9_S9_NSD_9__find_if7functorIS9_EEEE10hipError_tPvRmT1_T2_T3_mT4_P12ihipStream_tbEUlT_E1_NS1_11comp_targetILNS1_3genE0ELNS1_11target_archE4294967295ELNS1_3gpuE0ELNS1_3repE0EEENS1_30default_config_static_selectorELNS0_4arch9wavefront6targetE0EEEvS14_.kd
    .uniform_work_group_size: 1
    .uses_dynamic_stack: false
    .vgpr_count:     0
    .vgpr_spill_count: 0
    .wavefront_size: 32
    .workgroup_processor_mode: 1
  - .args:
      - .offset:         0
        .size:           88
        .value_kind:     by_value
    .group_segment_fixed_size: 0
    .kernarg_segment_align: 8
    .kernarg_segment_size: 88
    .language:       OpenCL C
    .language_version:
      - 2
      - 0
    .max_flat_workgroup_size: 256
    .name:           _ZN7rocprim17ROCPRIM_400000_NS6detail17trampoline_kernelINS0_14default_configENS1_22reduce_config_selectorIN6thrust23THRUST_200600_302600_NS5tupleIblNS6_9null_typeES8_S8_S8_S8_S8_S8_S8_EEEEZNS1_11reduce_implILb1ES3_NS6_12zip_iteratorINS7_INS6_11hip_rocprim26transform_input_iterator_tIbNSD_35transform_pair_of_input_iterators_tIbNS6_6detail15normal_iteratorINS6_10device_ptrIKiEEEESL_NS6_8equal_toIiEEEENSG_9not_fun_tINSD_8identityEEEEENSD_19counting_iterator_tIlEES8_S8_S8_S8_S8_S8_S8_S8_EEEEPS9_S9_NSD_9__find_if7functorIS9_EEEE10hipError_tPvRmT1_T2_T3_mT4_P12ihipStream_tbEUlT_E1_NS1_11comp_targetILNS1_3genE5ELNS1_11target_archE942ELNS1_3gpuE9ELNS1_3repE0EEENS1_30default_config_static_selectorELNS0_4arch9wavefront6targetE0EEEvS14_
    .private_segment_fixed_size: 0
    .sgpr_count:     0
    .sgpr_spill_count: 0
    .symbol:         _ZN7rocprim17ROCPRIM_400000_NS6detail17trampoline_kernelINS0_14default_configENS1_22reduce_config_selectorIN6thrust23THRUST_200600_302600_NS5tupleIblNS6_9null_typeES8_S8_S8_S8_S8_S8_S8_EEEEZNS1_11reduce_implILb1ES3_NS6_12zip_iteratorINS7_INS6_11hip_rocprim26transform_input_iterator_tIbNSD_35transform_pair_of_input_iterators_tIbNS6_6detail15normal_iteratorINS6_10device_ptrIKiEEEESL_NS6_8equal_toIiEEEENSG_9not_fun_tINSD_8identityEEEEENSD_19counting_iterator_tIlEES8_S8_S8_S8_S8_S8_S8_S8_EEEEPS9_S9_NSD_9__find_if7functorIS9_EEEE10hipError_tPvRmT1_T2_T3_mT4_P12ihipStream_tbEUlT_E1_NS1_11comp_targetILNS1_3genE5ELNS1_11target_archE942ELNS1_3gpuE9ELNS1_3repE0EEENS1_30default_config_static_selectorELNS0_4arch9wavefront6targetE0EEEvS14_.kd
    .uniform_work_group_size: 1
    .uses_dynamic_stack: false
    .vgpr_count:     0
    .vgpr_spill_count: 0
    .wavefront_size: 32
    .workgroup_processor_mode: 1
  - .args:
      - .offset:         0
        .size:           88
        .value_kind:     by_value
    .group_segment_fixed_size: 0
    .kernarg_segment_align: 8
    .kernarg_segment_size: 88
    .language:       OpenCL C
    .language_version:
      - 2
      - 0
    .max_flat_workgroup_size: 256
    .name:           _ZN7rocprim17ROCPRIM_400000_NS6detail17trampoline_kernelINS0_14default_configENS1_22reduce_config_selectorIN6thrust23THRUST_200600_302600_NS5tupleIblNS6_9null_typeES8_S8_S8_S8_S8_S8_S8_EEEEZNS1_11reduce_implILb1ES3_NS6_12zip_iteratorINS7_INS6_11hip_rocprim26transform_input_iterator_tIbNSD_35transform_pair_of_input_iterators_tIbNS6_6detail15normal_iteratorINS6_10device_ptrIKiEEEESL_NS6_8equal_toIiEEEENSG_9not_fun_tINSD_8identityEEEEENSD_19counting_iterator_tIlEES8_S8_S8_S8_S8_S8_S8_S8_EEEEPS9_S9_NSD_9__find_if7functorIS9_EEEE10hipError_tPvRmT1_T2_T3_mT4_P12ihipStream_tbEUlT_E1_NS1_11comp_targetILNS1_3genE4ELNS1_11target_archE910ELNS1_3gpuE8ELNS1_3repE0EEENS1_30default_config_static_selectorELNS0_4arch9wavefront6targetE0EEEvS14_
    .private_segment_fixed_size: 0
    .sgpr_count:     0
    .sgpr_spill_count: 0
    .symbol:         _ZN7rocprim17ROCPRIM_400000_NS6detail17trampoline_kernelINS0_14default_configENS1_22reduce_config_selectorIN6thrust23THRUST_200600_302600_NS5tupleIblNS6_9null_typeES8_S8_S8_S8_S8_S8_S8_EEEEZNS1_11reduce_implILb1ES3_NS6_12zip_iteratorINS7_INS6_11hip_rocprim26transform_input_iterator_tIbNSD_35transform_pair_of_input_iterators_tIbNS6_6detail15normal_iteratorINS6_10device_ptrIKiEEEESL_NS6_8equal_toIiEEEENSG_9not_fun_tINSD_8identityEEEEENSD_19counting_iterator_tIlEES8_S8_S8_S8_S8_S8_S8_S8_EEEEPS9_S9_NSD_9__find_if7functorIS9_EEEE10hipError_tPvRmT1_T2_T3_mT4_P12ihipStream_tbEUlT_E1_NS1_11comp_targetILNS1_3genE4ELNS1_11target_archE910ELNS1_3gpuE8ELNS1_3repE0EEENS1_30default_config_static_selectorELNS0_4arch9wavefront6targetE0EEEvS14_.kd
    .uniform_work_group_size: 1
    .uses_dynamic_stack: false
    .vgpr_count:     0
    .vgpr_spill_count: 0
    .wavefront_size: 32
    .workgroup_processor_mode: 1
  - .args:
      - .offset:         0
        .size:           88
        .value_kind:     by_value
    .group_segment_fixed_size: 0
    .kernarg_segment_align: 8
    .kernarg_segment_size: 88
    .language:       OpenCL C
    .language_version:
      - 2
      - 0
    .max_flat_workgroup_size: 128
    .name:           _ZN7rocprim17ROCPRIM_400000_NS6detail17trampoline_kernelINS0_14default_configENS1_22reduce_config_selectorIN6thrust23THRUST_200600_302600_NS5tupleIblNS6_9null_typeES8_S8_S8_S8_S8_S8_S8_EEEEZNS1_11reduce_implILb1ES3_NS6_12zip_iteratorINS7_INS6_11hip_rocprim26transform_input_iterator_tIbNSD_35transform_pair_of_input_iterators_tIbNS6_6detail15normal_iteratorINS6_10device_ptrIKiEEEESL_NS6_8equal_toIiEEEENSG_9not_fun_tINSD_8identityEEEEENSD_19counting_iterator_tIlEES8_S8_S8_S8_S8_S8_S8_S8_EEEEPS9_S9_NSD_9__find_if7functorIS9_EEEE10hipError_tPvRmT1_T2_T3_mT4_P12ihipStream_tbEUlT_E1_NS1_11comp_targetILNS1_3genE3ELNS1_11target_archE908ELNS1_3gpuE7ELNS1_3repE0EEENS1_30default_config_static_selectorELNS0_4arch9wavefront6targetE0EEEvS14_
    .private_segment_fixed_size: 0
    .sgpr_count:     0
    .sgpr_spill_count: 0
    .symbol:         _ZN7rocprim17ROCPRIM_400000_NS6detail17trampoline_kernelINS0_14default_configENS1_22reduce_config_selectorIN6thrust23THRUST_200600_302600_NS5tupleIblNS6_9null_typeES8_S8_S8_S8_S8_S8_S8_EEEEZNS1_11reduce_implILb1ES3_NS6_12zip_iteratorINS7_INS6_11hip_rocprim26transform_input_iterator_tIbNSD_35transform_pair_of_input_iterators_tIbNS6_6detail15normal_iteratorINS6_10device_ptrIKiEEEESL_NS6_8equal_toIiEEEENSG_9not_fun_tINSD_8identityEEEEENSD_19counting_iterator_tIlEES8_S8_S8_S8_S8_S8_S8_S8_EEEEPS9_S9_NSD_9__find_if7functorIS9_EEEE10hipError_tPvRmT1_T2_T3_mT4_P12ihipStream_tbEUlT_E1_NS1_11comp_targetILNS1_3genE3ELNS1_11target_archE908ELNS1_3gpuE7ELNS1_3repE0EEENS1_30default_config_static_selectorELNS0_4arch9wavefront6targetE0EEEvS14_.kd
    .uniform_work_group_size: 1
    .uses_dynamic_stack: false
    .vgpr_count:     0
    .vgpr_spill_count: 0
    .wavefront_size: 32
    .workgroup_processor_mode: 1
  - .args:
      - .offset:         0
        .size:           88
        .value_kind:     by_value
    .group_segment_fixed_size: 0
    .kernarg_segment_align: 8
    .kernarg_segment_size: 88
    .language:       OpenCL C
    .language_version:
      - 2
      - 0
    .max_flat_workgroup_size: 128
    .name:           _ZN7rocprim17ROCPRIM_400000_NS6detail17trampoline_kernelINS0_14default_configENS1_22reduce_config_selectorIN6thrust23THRUST_200600_302600_NS5tupleIblNS6_9null_typeES8_S8_S8_S8_S8_S8_S8_EEEEZNS1_11reduce_implILb1ES3_NS6_12zip_iteratorINS7_INS6_11hip_rocprim26transform_input_iterator_tIbNSD_35transform_pair_of_input_iterators_tIbNS6_6detail15normal_iteratorINS6_10device_ptrIKiEEEESL_NS6_8equal_toIiEEEENSG_9not_fun_tINSD_8identityEEEEENSD_19counting_iterator_tIlEES8_S8_S8_S8_S8_S8_S8_S8_EEEEPS9_S9_NSD_9__find_if7functorIS9_EEEE10hipError_tPvRmT1_T2_T3_mT4_P12ihipStream_tbEUlT_E1_NS1_11comp_targetILNS1_3genE2ELNS1_11target_archE906ELNS1_3gpuE6ELNS1_3repE0EEENS1_30default_config_static_selectorELNS0_4arch9wavefront6targetE0EEEvS14_
    .private_segment_fixed_size: 0
    .sgpr_count:     0
    .sgpr_spill_count: 0
    .symbol:         _ZN7rocprim17ROCPRIM_400000_NS6detail17trampoline_kernelINS0_14default_configENS1_22reduce_config_selectorIN6thrust23THRUST_200600_302600_NS5tupleIblNS6_9null_typeES8_S8_S8_S8_S8_S8_S8_EEEEZNS1_11reduce_implILb1ES3_NS6_12zip_iteratorINS7_INS6_11hip_rocprim26transform_input_iterator_tIbNSD_35transform_pair_of_input_iterators_tIbNS6_6detail15normal_iteratorINS6_10device_ptrIKiEEEESL_NS6_8equal_toIiEEEENSG_9not_fun_tINSD_8identityEEEEENSD_19counting_iterator_tIlEES8_S8_S8_S8_S8_S8_S8_S8_EEEEPS9_S9_NSD_9__find_if7functorIS9_EEEE10hipError_tPvRmT1_T2_T3_mT4_P12ihipStream_tbEUlT_E1_NS1_11comp_targetILNS1_3genE2ELNS1_11target_archE906ELNS1_3gpuE6ELNS1_3repE0EEENS1_30default_config_static_selectorELNS0_4arch9wavefront6targetE0EEEvS14_.kd
    .uniform_work_group_size: 1
    .uses_dynamic_stack: false
    .vgpr_count:     0
    .vgpr_spill_count: 0
    .wavefront_size: 32
    .workgroup_processor_mode: 1
  - .args:
      - .offset:         0
        .size:           88
        .value_kind:     by_value
    .group_segment_fixed_size: 0
    .kernarg_segment_align: 8
    .kernarg_segment_size: 88
    .language:       OpenCL C
    .language_version:
      - 2
      - 0
    .max_flat_workgroup_size: 256
    .name:           _ZN7rocprim17ROCPRIM_400000_NS6detail17trampoline_kernelINS0_14default_configENS1_22reduce_config_selectorIN6thrust23THRUST_200600_302600_NS5tupleIblNS6_9null_typeES8_S8_S8_S8_S8_S8_S8_EEEEZNS1_11reduce_implILb1ES3_NS6_12zip_iteratorINS7_INS6_11hip_rocprim26transform_input_iterator_tIbNSD_35transform_pair_of_input_iterators_tIbNS6_6detail15normal_iteratorINS6_10device_ptrIKiEEEESL_NS6_8equal_toIiEEEENSG_9not_fun_tINSD_8identityEEEEENSD_19counting_iterator_tIlEES8_S8_S8_S8_S8_S8_S8_S8_EEEEPS9_S9_NSD_9__find_if7functorIS9_EEEE10hipError_tPvRmT1_T2_T3_mT4_P12ihipStream_tbEUlT_E1_NS1_11comp_targetILNS1_3genE10ELNS1_11target_archE1201ELNS1_3gpuE5ELNS1_3repE0EEENS1_30default_config_static_selectorELNS0_4arch9wavefront6targetE0EEEvS14_
    .private_segment_fixed_size: 0
    .sgpr_count:     0
    .sgpr_spill_count: 0
    .symbol:         _ZN7rocprim17ROCPRIM_400000_NS6detail17trampoline_kernelINS0_14default_configENS1_22reduce_config_selectorIN6thrust23THRUST_200600_302600_NS5tupleIblNS6_9null_typeES8_S8_S8_S8_S8_S8_S8_EEEEZNS1_11reduce_implILb1ES3_NS6_12zip_iteratorINS7_INS6_11hip_rocprim26transform_input_iterator_tIbNSD_35transform_pair_of_input_iterators_tIbNS6_6detail15normal_iteratorINS6_10device_ptrIKiEEEESL_NS6_8equal_toIiEEEENSG_9not_fun_tINSD_8identityEEEEENSD_19counting_iterator_tIlEES8_S8_S8_S8_S8_S8_S8_S8_EEEEPS9_S9_NSD_9__find_if7functorIS9_EEEE10hipError_tPvRmT1_T2_T3_mT4_P12ihipStream_tbEUlT_E1_NS1_11comp_targetILNS1_3genE10ELNS1_11target_archE1201ELNS1_3gpuE5ELNS1_3repE0EEENS1_30default_config_static_selectorELNS0_4arch9wavefront6targetE0EEEvS14_.kd
    .uniform_work_group_size: 1
    .uses_dynamic_stack: false
    .vgpr_count:     0
    .vgpr_spill_count: 0
    .wavefront_size: 32
    .workgroup_processor_mode: 1
  - .args:
      - .offset:         0
        .size:           88
        .value_kind:     by_value
    .group_segment_fixed_size: 0
    .kernarg_segment_align: 8
    .kernarg_segment_size: 88
    .language:       OpenCL C
    .language_version:
      - 2
      - 0
    .max_flat_workgroup_size: 256
    .name:           _ZN7rocprim17ROCPRIM_400000_NS6detail17trampoline_kernelINS0_14default_configENS1_22reduce_config_selectorIN6thrust23THRUST_200600_302600_NS5tupleIblNS6_9null_typeES8_S8_S8_S8_S8_S8_S8_EEEEZNS1_11reduce_implILb1ES3_NS6_12zip_iteratorINS7_INS6_11hip_rocprim26transform_input_iterator_tIbNSD_35transform_pair_of_input_iterators_tIbNS6_6detail15normal_iteratorINS6_10device_ptrIKiEEEESL_NS6_8equal_toIiEEEENSG_9not_fun_tINSD_8identityEEEEENSD_19counting_iterator_tIlEES8_S8_S8_S8_S8_S8_S8_S8_EEEEPS9_S9_NSD_9__find_if7functorIS9_EEEE10hipError_tPvRmT1_T2_T3_mT4_P12ihipStream_tbEUlT_E1_NS1_11comp_targetILNS1_3genE10ELNS1_11target_archE1200ELNS1_3gpuE4ELNS1_3repE0EEENS1_30default_config_static_selectorELNS0_4arch9wavefront6targetE0EEEvS14_
    .private_segment_fixed_size: 0
    .sgpr_count:     0
    .sgpr_spill_count: 0
    .symbol:         _ZN7rocprim17ROCPRIM_400000_NS6detail17trampoline_kernelINS0_14default_configENS1_22reduce_config_selectorIN6thrust23THRUST_200600_302600_NS5tupleIblNS6_9null_typeES8_S8_S8_S8_S8_S8_S8_EEEEZNS1_11reduce_implILb1ES3_NS6_12zip_iteratorINS7_INS6_11hip_rocprim26transform_input_iterator_tIbNSD_35transform_pair_of_input_iterators_tIbNS6_6detail15normal_iteratorINS6_10device_ptrIKiEEEESL_NS6_8equal_toIiEEEENSG_9not_fun_tINSD_8identityEEEEENSD_19counting_iterator_tIlEES8_S8_S8_S8_S8_S8_S8_S8_EEEEPS9_S9_NSD_9__find_if7functorIS9_EEEE10hipError_tPvRmT1_T2_T3_mT4_P12ihipStream_tbEUlT_E1_NS1_11comp_targetILNS1_3genE10ELNS1_11target_archE1200ELNS1_3gpuE4ELNS1_3repE0EEENS1_30default_config_static_selectorELNS0_4arch9wavefront6targetE0EEEvS14_.kd
    .uniform_work_group_size: 1
    .uses_dynamic_stack: false
    .vgpr_count:     0
    .vgpr_spill_count: 0
    .wavefront_size: 32
    .workgroup_processor_mode: 1
  - .args:
      - .offset:         0
        .size:           88
        .value_kind:     by_value
    .group_segment_fixed_size: 640
    .kernarg_segment_align: 8
    .kernarg_segment_size: 88
    .language:       OpenCL C
    .language_version:
      - 2
      - 0
    .max_flat_workgroup_size: 256
    .name:           _ZN7rocprim17ROCPRIM_400000_NS6detail17trampoline_kernelINS0_14default_configENS1_22reduce_config_selectorIN6thrust23THRUST_200600_302600_NS5tupleIblNS6_9null_typeES8_S8_S8_S8_S8_S8_S8_EEEEZNS1_11reduce_implILb1ES3_NS6_12zip_iteratorINS7_INS6_11hip_rocprim26transform_input_iterator_tIbNSD_35transform_pair_of_input_iterators_tIbNS6_6detail15normal_iteratorINS6_10device_ptrIKiEEEESL_NS6_8equal_toIiEEEENSG_9not_fun_tINSD_8identityEEEEENSD_19counting_iterator_tIlEES8_S8_S8_S8_S8_S8_S8_S8_EEEEPS9_S9_NSD_9__find_if7functorIS9_EEEE10hipError_tPvRmT1_T2_T3_mT4_P12ihipStream_tbEUlT_E1_NS1_11comp_targetILNS1_3genE9ELNS1_11target_archE1100ELNS1_3gpuE3ELNS1_3repE0EEENS1_30default_config_static_selectorELNS0_4arch9wavefront6targetE0EEEvS14_
    .private_segment_fixed_size: 0
    .sgpr_count:     34
    .sgpr_spill_count: 0
    .symbol:         _ZN7rocprim17ROCPRIM_400000_NS6detail17trampoline_kernelINS0_14default_configENS1_22reduce_config_selectorIN6thrust23THRUST_200600_302600_NS5tupleIblNS6_9null_typeES8_S8_S8_S8_S8_S8_S8_EEEEZNS1_11reduce_implILb1ES3_NS6_12zip_iteratorINS7_INS6_11hip_rocprim26transform_input_iterator_tIbNSD_35transform_pair_of_input_iterators_tIbNS6_6detail15normal_iteratorINS6_10device_ptrIKiEEEESL_NS6_8equal_toIiEEEENSG_9not_fun_tINSD_8identityEEEEENSD_19counting_iterator_tIlEES8_S8_S8_S8_S8_S8_S8_S8_EEEEPS9_S9_NSD_9__find_if7functorIS9_EEEE10hipError_tPvRmT1_T2_T3_mT4_P12ihipStream_tbEUlT_E1_NS1_11comp_targetILNS1_3genE9ELNS1_11target_archE1100ELNS1_3gpuE3ELNS1_3repE0EEENS1_30default_config_static_selectorELNS0_4arch9wavefront6targetE0EEEvS14_.kd
    .uniform_work_group_size: 1
    .uses_dynamic_stack: false
    .vgpr_count:     27
    .vgpr_spill_count: 0
    .wavefront_size: 32
    .workgroup_processor_mode: 1
  - .args:
      - .offset:         0
        .size:           88
        .value_kind:     by_value
    .group_segment_fixed_size: 0
    .kernarg_segment_align: 8
    .kernarg_segment_size: 88
    .language:       OpenCL C
    .language_version:
      - 2
      - 0
    .max_flat_workgroup_size: 256
    .name:           _ZN7rocprim17ROCPRIM_400000_NS6detail17trampoline_kernelINS0_14default_configENS1_22reduce_config_selectorIN6thrust23THRUST_200600_302600_NS5tupleIblNS6_9null_typeES8_S8_S8_S8_S8_S8_S8_EEEEZNS1_11reduce_implILb1ES3_NS6_12zip_iteratorINS7_INS6_11hip_rocprim26transform_input_iterator_tIbNSD_35transform_pair_of_input_iterators_tIbNS6_6detail15normal_iteratorINS6_10device_ptrIKiEEEESL_NS6_8equal_toIiEEEENSG_9not_fun_tINSD_8identityEEEEENSD_19counting_iterator_tIlEES8_S8_S8_S8_S8_S8_S8_S8_EEEEPS9_S9_NSD_9__find_if7functorIS9_EEEE10hipError_tPvRmT1_T2_T3_mT4_P12ihipStream_tbEUlT_E1_NS1_11comp_targetILNS1_3genE8ELNS1_11target_archE1030ELNS1_3gpuE2ELNS1_3repE0EEENS1_30default_config_static_selectorELNS0_4arch9wavefront6targetE0EEEvS14_
    .private_segment_fixed_size: 0
    .sgpr_count:     0
    .sgpr_spill_count: 0
    .symbol:         _ZN7rocprim17ROCPRIM_400000_NS6detail17trampoline_kernelINS0_14default_configENS1_22reduce_config_selectorIN6thrust23THRUST_200600_302600_NS5tupleIblNS6_9null_typeES8_S8_S8_S8_S8_S8_S8_EEEEZNS1_11reduce_implILb1ES3_NS6_12zip_iteratorINS7_INS6_11hip_rocprim26transform_input_iterator_tIbNSD_35transform_pair_of_input_iterators_tIbNS6_6detail15normal_iteratorINS6_10device_ptrIKiEEEESL_NS6_8equal_toIiEEEENSG_9not_fun_tINSD_8identityEEEEENSD_19counting_iterator_tIlEES8_S8_S8_S8_S8_S8_S8_S8_EEEEPS9_S9_NSD_9__find_if7functorIS9_EEEE10hipError_tPvRmT1_T2_T3_mT4_P12ihipStream_tbEUlT_E1_NS1_11comp_targetILNS1_3genE8ELNS1_11target_archE1030ELNS1_3gpuE2ELNS1_3repE0EEENS1_30default_config_static_selectorELNS0_4arch9wavefront6targetE0EEEvS14_.kd
    .uniform_work_group_size: 1
    .uses_dynamic_stack: false
    .vgpr_count:     0
    .vgpr_spill_count: 0
    .wavefront_size: 32
    .workgroup_processor_mode: 1
  - .args:
      - .offset:         0
        .size:           104
        .value_kind:     by_value
    .group_segment_fixed_size: 0
    .kernarg_segment_align: 8
    .kernarg_segment_size: 104
    .language:       OpenCL C
    .language_version:
      - 2
      - 0
    .max_flat_workgroup_size: 128
    .name:           _ZN7rocprim17ROCPRIM_400000_NS6detail17trampoline_kernelINS0_14default_configENS1_22reduce_config_selectorIN6thrust23THRUST_200600_302600_NS5tupleIblNS6_9null_typeES8_S8_S8_S8_S8_S8_S8_EEEEZNS1_11reduce_implILb1ES3_NS6_12zip_iteratorINS7_INS6_11hip_rocprim26transform_input_iterator_tIbNSD_35transform_pair_of_input_iterators_tIbNS6_6detail15normal_iteratorINS6_10device_ptrIKsEEEESL_NS6_8equal_toIsEEEENSG_9not_fun_tINSD_8identityEEEEENSD_19counting_iterator_tIlEES8_S8_S8_S8_S8_S8_S8_S8_EEEEPS9_S9_NSD_9__find_if7functorIS9_EEEE10hipError_tPvRmT1_T2_T3_mT4_P12ihipStream_tbEUlT_E0_NS1_11comp_targetILNS1_3genE0ELNS1_11target_archE4294967295ELNS1_3gpuE0ELNS1_3repE0EEENS1_30default_config_static_selectorELNS0_4arch9wavefront6targetE0EEEvS14_
    .private_segment_fixed_size: 0
    .sgpr_count:     0
    .sgpr_spill_count: 0
    .symbol:         _ZN7rocprim17ROCPRIM_400000_NS6detail17trampoline_kernelINS0_14default_configENS1_22reduce_config_selectorIN6thrust23THRUST_200600_302600_NS5tupleIblNS6_9null_typeES8_S8_S8_S8_S8_S8_S8_EEEEZNS1_11reduce_implILb1ES3_NS6_12zip_iteratorINS7_INS6_11hip_rocprim26transform_input_iterator_tIbNSD_35transform_pair_of_input_iterators_tIbNS6_6detail15normal_iteratorINS6_10device_ptrIKsEEEESL_NS6_8equal_toIsEEEENSG_9not_fun_tINSD_8identityEEEEENSD_19counting_iterator_tIlEES8_S8_S8_S8_S8_S8_S8_S8_EEEEPS9_S9_NSD_9__find_if7functorIS9_EEEE10hipError_tPvRmT1_T2_T3_mT4_P12ihipStream_tbEUlT_E0_NS1_11comp_targetILNS1_3genE0ELNS1_11target_archE4294967295ELNS1_3gpuE0ELNS1_3repE0EEENS1_30default_config_static_selectorELNS0_4arch9wavefront6targetE0EEEvS14_.kd
    .uniform_work_group_size: 1
    .uses_dynamic_stack: false
    .vgpr_count:     0
    .vgpr_spill_count: 0
    .wavefront_size: 32
    .workgroup_processor_mode: 1
  - .args:
      - .offset:         0
        .size:           104
        .value_kind:     by_value
    .group_segment_fixed_size: 0
    .kernarg_segment_align: 8
    .kernarg_segment_size: 104
    .language:       OpenCL C
    .language_version:
      - 2
      - 0
    .max_flat_workgroup_size: 256
    .name:           _ZN7rocprim17ROCPRIM_400000_NS6detail17trampoline_kernelINS0_14default_configENS1_22reduce_config_selectorIN6thrust23THRUST_200600_302600_NS5tupleIblNS6_9null_typeES8_S8_S8_S8_S8_S8_S8_EEEEZNS1_11reduce_implILb1ES3_NS6_12zip_iteratorINS7_INS6_11hip_rocprim26transform_input_iterator_tIbNSD_35transform_pair_of_input_iterators_tIbNS6_6detail15normal_iteratorINS6_10device_ptrIKsEEEESL_NS6_8equal_toIsEEEENSG_9not_fun_tINSD_8identityEEEEENSD_19counting_iterator_tIlEES8_S8_S8_S8_S8_S8_S8_S8_EEEEPS9_S9_NSD_9__find_if7functorIS9_EEEE10hipError_tPvRmT1_T2_T3_mT4_P12ihipStream_tbEUlT_E0_NS1_11comp_targetILNS1_3genE5ELNS1_11target_archE942ELNS1_3gpuE9ELNS1_3repE0EEENS1_30default_config_static_selectorELNS0_4arch9wavefront6targetE0EEEvS14_
    .private_segment_fixed_size: 0
    .sgpr_count:     0
    .sgpr_spill_count: 0
    .symbol:         _ZN7rocprim17ROCPRIM_400000_NS6detail17trampoline_kernelINS0_14default_configENS1_22reduce_config_selectorIN6thrust23THRUST_200600_302600_NS5tupleIblNS6_9null_typeES8_S8_S8_S8_S8_S8_S8_EEEEZNS1_11reduce_implILb1ES3_NS6_12zip_iteratorINS7_INS6_11hip_rocprim26transform_input_iterator_tIbNSD_35transform_pair_of_input_iterators_tIbNS6_6detail15normal_iteratorINS6_10device_ptrIKsEEEESL_NS6_8equal_toIsEEEENSG_9not_fun_tINSD_8identityEEEEENSD_19counting_iterator_tIlEES8_S8_S8_S8_S8_S8_S8_S8_EEEEPS9_S9_NSD_9__find_if7functorIS9_EEEE10hipError_tPvRmT1_T2_T3_mT4_P12ihipStream_tbEUlT_E0_NS1_11comp_targetILNS1_3genE5ELNS1_11target_archE942ELNS1_3gpuE9ELNS1_3repE0EEENS1_30default_config_static_selectorELNS0_4arch9wavefront6targetE0EEEvS14_.kd
    .uniform_work_group_size: 1
    .uses_dynamic_stack: false
    .vgpr_count:     0
    .vgpr_spill_count: 0
    .wavefront_size: 32
    .workgroup_processor_mode: 1
  - .args:
      - .offset:         0
        .size:           104
        .value_kind:     by_value
    .group_segment_fixed_size: 0
    .kernarg_segment_align: 8
    .kernarg_segment_size: 104
    .language:       OpenCL C
    .language_version:
      - 2
      - 0
    .max_flat_workgroup_size: 256
    .name:           _ZN7rocprim17ROCPRIM_400000_NS6detail17trampoline_kernelINS0_14default_configENS1_22reduce_config_selectorIN6thrust23THRUST_200600_302600_NS5tupleIblNS6_9null_typeES8_S8_S8_S8_S8_S8_S8_EEEEZNS1_11reduce_implILb1ES3_NS6_12zip_iteratorINS7_INS6_11hip_rocprim26transform_input_iterator_tIbNSD_35transform_pair_of_input_iterators_tIbNS6_6detail15normal_iteratorINS6_10device_ptrIKsEEEESL_NS6_8equal_toIsEEEENSG_9not_fun_tINSD_8identityEEEEENSD_19counting_iterator_tIlEES8_S8_S8_S8_S8_S8_S8_S8_EEEEPS9_S9_NSD_9__find_if7functorIS9_EEEE10hipError_tPvRmT1_T2_T3_mT4_P12ihipStream_tbEUlT_E0_NS1_11comp_targetILNS1_3genE4ELNS1_11target_archE910ELNS1_3gpuE8ELNS1_3repE0EEENS1_30default_config_static_selectorELNS0_4arch9wavefront6targetE0EEEvS14_
    .private_segment_fixed_size: 0
    .sgpr_count:     0
    .sgpr_spill_count: 0
    .symbol:         _ZN7rocprim17ROCPRIM_400000_NS6detail17trampoline_kernelINS0_14default_configENS1_22reduce_config_selectorIN6thrust23THRUST_200600_302600_NS5tupleIblNS6_9null_typeES8_S8_S8_S8_S8_S8_S8_EEEEZNS1_11reduce_implILb1ES3_NS6_12zip_iteratorINS7_INS6_11hip_rocprim26transform_input_iterator_tIbNSD_35transform_pair_of_input_iterators_tIbNS6_6detail15normal_iteratorINS6_10device_ptrIKsEEEESL_NS6_8equal_toIsEEEENSG_9not_fun_tINSD_8identityEEEEENSD_19counting_iterator_tIlEES8_S8_S8_S8_S8_S8_S8_S8_EEEEPS9_S9_NSD_9__find_if7functorIS9_EEEE10hipError_tPvRmT1_T2_T3_mT4_P12ihipStream_tbEUlT_E0_NS1_11comp_targetILNS1_3genE4ELNS1_11target_archE910ELNS1_3gpuE8ELNS1_3repE0EEENS1_30default_config_static_selectorELNS0_4arch9wavefront6targetE0EEEvS14_.kd
    .uniform_work_group_size: 1
    .uses_dynamic_stack: false
    .vgpr_count:     0
    .vgpr_spill_count: 0
    .wavefront_size: 32
    .workgroup_processor_mode: 1
  - .args:
      - .offset:         0
        .size:           104
        .value_kind:     by_value
    .group_segment_fixed_size: 0
    .kernarg_segment_align: 8
    .kernarg_segment_size: 104
    .language:       OpenCL C
    .language_version:
      - 2
      - 0
    .max_flat_workgroup_size: 128
    .name:           _ZN7rocprim17ROCPRIM_400000_NS6detail17trampoline_kernelINS0_14default_configENS1_22reduce_config_selectorIN6thrust23THRUST_200600_302600_NS5tupleIblNS6_9null_typeES8_S8_S8_S8_S8_S8_S8_EEEEZNS1_11reduce_implILb1ES3_NS6_12zip_iteratorINS7_INS6_11hip_rocprim26transform_input_iterator_tIbNSD_35transform_pair_of_input_iterators_tIbNS6_6detail15normal_iteratorINS6_10device_ptrIKsEEEESL_NS6_8equal_toIsEEEENSG_9not_fun_tINSD_8identityEEEEENSD_19counting_iterator_tIlEES8_S8_S8_S8_S8_S8_S8_S8_EEEEPS9_S9_NSD_9__find_if7functorIS9_EEEE10hipError_tPvRmT1_T2_T3_mT4_P12ihipStream_tbEUlT_E0_NS1_11comp_targetILNS1_3genE3ELNS1_11target_archE908ELNS1_3gpuE7ELNS1_3repE0EEENS1_30default_config_static_selectorELNS0_4arch9wavefront6targetE0EEEvS14_
    .private_segment_fixed_size: 0
    .sgpr_count:     0
    .sgpr_spill_count: 0
    .symbol:         _ZN7rocprim17ROCPRIM_400000_NS6detail17trampoline_kernelINS0_14default_configENS1_22reduce_config_selectorIN6thrust23THRUST_200600_302600_NS5tupleIblNS6_9null_typeES8_S8_S8_S8_S8_S8_S8_EEEEZNS1_11reduce_implILb1ES3_NS6_12zip_iteratorINS7_INS6_11hip_rocprim26transform_input_iterator_tIbNSD_35transform_pair_of_input_iterators_tIbNS6_6detail15normal_iteratorINS6_10device_ptrIKsEEEESL_NS6_8equal_toIsEEEENSG_9not_fun_tINSD_8identityEEEEENSD_19counting_iterator_tIlEES8_S8_S8_S8_S8_S8_S8_S8_EEEEPS9_S9_NSD_9__find_if7functorIS9_EEEE10hipError_tPvRmT1_T2_T3_mT4_P12ihipStream_tbEUlT_E0_NS1_11comp_targetILNS1_3genE3ELNS1_11target_archE908ELNS1_3gpuE7ELNS1_3repE0EEENS1_30default_config_static_selectorELNS0_4arch9wavefront6targetE0EEEvS14_.kd
    .uniform_work_group_size: 1
    .uses_dynamic_stack: false
    .vgpr_count:     0
    .vgpr_spill_count: 0
    .wavefront_size: 32
    .workgroup_processor_mode: 1
  - .args:
      - .offset:         0
        .size:           104
        .value_kind:     by_value
    .group_segment_fixed_size: 0
    .kernarg_segment_align: 8
    .kernarg_segment_size: 104
    .language:       OpenCL C
    .language_version:
      - 2
      - 0
    .max_flat_workgroup_size: 128
    .name:           _ZN7rocprim17ROCPRIM_400000_NS6detail17trampoline_kernelINS0_14default_configENS1_22reduce_config_selectorIN6thrust23THRUST_200600_302600_NS5tupleIblNS6_9null_typeES8_S8_S8_S8_S8_S8_S8_EEEEZNS1_11reduce_implILb1ES3_NS6_12zip_iteratorINS7_INS6_11hip_rocprim26transform_input_iterator_tIbNSD_35transform_pair_of_input_iterators_tIbNS6_6detail15normal_iteratorINS6_10device_ptrIKsEEEESL_NS6_8equal_toIsEEEENSG_9not_fun_tINSD_8identityEEEEENSD_19counting_iterator_tIlEES8_S8_S8_S8_S8_S8_S8_S8_EEEEPS9_S9_NSD_9__find_if7functorIS9_EEEE10hipError_tPvRmT1_T2_T3_mT4_P12ihipStream_tbEUlT_E0_NS1_11comp_targetILNS1_3genE2ELNS1_11target_archE906ELNS1_3gpuE6ELNS1_3repE0EEENS1_30default_config_static_selectorELNS0_4arch9wavefront6targetE0EEEvS14_
    .private_segment_fixed_size: 0
    .sgpr_count:     0
    .sgpr_spill_count: 0
    .symbol:         _ZN7rocprim17ROCPRIM_400000_NS6detail17trampoline_kernelINS0_14default_configENS1_22reduce_config_selectorIN6thrust23THRUST_200600_302600_NS5tupleIblNS6_9null_typeES8_S8_S8_S8_S8_S8_S8_EEEEZNS1_11reduce_implILb1ES3_NS6_12zip_iteratorINS7_INS6_11hip_rocprim26transform_input_iterator_tIbNSD_35transform_pair_of_input_iterators_tIbNS6_6detail15normal_iteratorINS6_10device_ptrIKsEEEESL_NS6_8equal_toIsEEEENSG_9not_fun_tINSD_8identityEEEEENSD_19counting_iterator_tIlEES8_S8_S8_S8_S8_S8_S8_S8_EEEEPS9_S9_NSD_9__find_if7functorIS9_EEEE10hipError_tPvRmT1_T2_T3_mT4_P12ihipStream_tbEUlT_E0_NS1_11comp_targetILNS1_3genE2ELNS1_11target_archE906ELNS1_3gpuE6ELNS1_3repE0EEENS1_30default_config_static_selectorELNS0_4arch9wavefront6targetE0EEEvS14_.kd
    .uniform_work_group_size: 1
    .uses_dynamic_stack: false
    .vgpr_count:     0
    .vgpr_spill_count: 0
    .wavefront_size: 32
    .workgroup_processor_mode: 1
  - .args:
      - .offset:         0
        .size:           104
        .value_kind:     by_value
    .group_segment_fixed_size: 0
    .kernarg_segment_align: 8
    .kernarg_segment_size: 104
    .language:       OpenCL C
    .language_version:
      - 2
      - 0
    .max_flat_workgroup_size: 256
    .name:           _ZN7rocprim17ROCPRIM_400000_NS6detail17trampoline_kernelINS0_14default_configENS1_22reduce_config_selectorIN6thrust23THRUST_200600_302600_NS5tupleIblNS6_9null_typeES8_S8_S8_S8_S8_S8_S8_EEEEZNS1_11reduce_implILb1ES3_NS6_12zip_iteratorINS7_INS6_11hip_rocprim26transform_input_iterator_tIbNSD_35transform_pair_of_input_iterators_tIbNS6_6detail15normal_iteratorINS6_10device_ptrIKsEEEESL_NS6_8equal_toIsEEEENSG_9not_fun_tINSD_8identityEEEEENSD_19counting_iterator_tIlEES8_S8_S8_S8_S8_S8_S8_S8_EEEEPS9_S9_NSD_9__find_if7functorIS9_EEEE10hipError_tPvRmT1_T2_T3_mT4_P12ihipStream_tbEUlT_E0_NS1_11comp_targetILNS1_3genE10ELNS1_11target_archE1201ELNS1_3gpuE5ELNS1_3repE0EEENS1_30default_config_static_selectorELNS0_4arch9wavefront6targetE0EEEvS14_
    .private_segment_fixed_size: 0
    .sgpr_count:     0
    .sgpr_spill_count: 0
    .symbol:         _ZN7rocprim17ROCPRIM_400000_NS6detail17trampoline_kernelINS0_14default_configENS1_22reduce_config_selectorIN6thrust23THRUST_200600_302600_NS5tupleIblNS6_9null_typeES8_S8_S8_S8_S8_S8_S8_EEEEZNS1_11reduce_implILb1ES3_NS6_12zip_iteratorINS7_INS6_11hip_rocprim26transform_input_iterator_tIbNSD_35transform_pair_of_input_iterators_tIbNS6_6detail15normal_iteratorINS6_10device_ptrIKsEEEESL_NS6_8equal_toIsEEEENSG_9not_fun_tINSD_8identityEEEEENSD_19counting_iterator_tIlEES8_S8_S8_S8_S8_S8_S8_S8_EEEEPS9_S9_NSD_9__find_if7functorIS9_EEEE10hipError_tPvRmT1_T2_T3_mT4_P12ihipStream_tbEUlT_E0_NS1_11comp_targetILNS1_3genE10ELNS1_11target_archE1201ELNS1_3gpuE5ELNS1_3repE0EEENS1_30default_config_static_selectorELNS0_4arch9wavefront6targetE0EEEvS14_.kd
    .uniform_work_group_size: 1
    .uses_dynamic_stack: false
    .vgpr_count:     0
    .vgpr_spill_count: 0
    .wavefront_size: 32
    .workgroup_processor_mode: 1
  - .args:
      - .offset:         0
        .size:           104
        .value_kind:     by_value
    .group_segment_fixed_size: 0
    .kernarg_segment_align: 8
    .kernarg_segment_size: 104
    .language:       OpenCL C
    .language_version:
      - 2
      - 0
    .max_flat_workgroup_size: 256
    .name:           _ZN7rocprim17ROCPRIM_400000_NS6detail17trampoline_kernelINS0_14default_configENS1_22reduce_config_selectorIN6thrust23THRUST_200600_302600_NS5tupleIblNS6_9null_typeES8_S8_S8_S8_S8_S8_S8_EEEEZNS1_11reduce_implILb1ES3_NS6_12zip_iteratorINS7_INS6_11hip_rocprim26transform_input_iterator_tIbNSD_35transform_pair_of_input_iterators_tIbNS6_6detail15normal_iteratorINS6_10device_ptrIKsEEEESL_NS6_8equal_toIsEEEENSG_9not_fun_tINSD_8identityEEEEENSD_19counting_iterator_tIlEES8_S8_S8_S8_S8_S8_S8_S8_EEEEPS9_S9_NSD_9__find_if7functorIS9_EEEE10hipError_tPvRmT1_T2_T3_mT4_P12ihipStream_tbEUlT_E0_NS1_11comp_targetILNS1_3genE10ELNS1_11target_archE1200ELNS1_3gpuE4ELNS1_3repE0EEENS1_30default_config_static_selectorELNS0_4arch9wavefront6targetE0EEEvS14_
    .private_segment_fixed_size: 0
    .sgpr_count:     0
    .sgpr_spill_count: 0
    .symbol:         _ZN7rocprim17ROCPRIM_400000_NS6detail17trampoline_kernelINS0_14default_configENS1_22reduce_config_selectorIN6thrust23THRUST_200600_302600_NS5tupleIblNS6_9null_typeES8_S8_S8_S8_S8_S8_S8_EEEEZNS1_11reduce_implILb1ES3_NS6_12zip_iteratorINS7_INS6_11hip_rocprim26transform_input_iterator_tIbNSD_35transform_pair_of_input_iterators_tIbNS6_6detail15normal_iteratorINS6_10device_ptrIKsEEEESL_NS6_8equal_toIsEEEENSG_9not_fun_tINSD_8identityEEEEENSD_19counting_iterator_tIlEES8_S8_S8_S8_S8_S8_S8_S8_EEEEPS9_S9_NSD_9__find_if7functorIS9_EEEE10hipError_tPvRmT1_T2_T3_mT4_P12ihipStream_tbEUlT_E0_NS1_11comp_targetILNS1_3genE10ELNS1_11target_archE1200ELNS1_3gpuE4ELNS1_3repE0EEENS1_30default_config_static_selectorELNS0_4arch9wavefront6targetE0EEEvS14_.kd
    .uniform_work_group_size: 1
    .uses_dynamic_stack: false
    .vgpr_count:     0
    .vgpr_spill_count: 0
    .wavefront_size: 32
    .workgroup_processor_mode: 1
  - .args:
      - .offset:         0
        .size:           104
        .value_kind:     by_value
    .group_segment_fixed_size: 256
    .kernarg_segment_align: 8
    .kernarg_segment_size: 104
    .language:       OpenCL C
    .language_version:
      - 2
      - 0
    .max_flat_workgroup_size: 256
    .name:           _ZN7rocprim17ROCPRIM_400000_NS6detail17trampoline_kernelINS0_14default_configENS1_22reduce_config_selectorIN6thrust23THRUST_200600_302600_NS5tupleIblNS6_9null_typeES8_S8_S8_S8_S8_S8_S8_EEEEZNS1_11reduce_implILb1ES3_NS6_12zip_iteratorINS7_INS6_11hip_rocprim26transform_input_iterator_tIbNSD_35transform_pair_of_input_iterators_tIbNS6_6detail15normal_iteratorINS6_10device_ptrIKsEEEESL_NS6_8equal_toIsEEEENSG_9not_fun_tINSD_8identityEEEEENSD_19counting_iterator_tIlEES8_S8_S8_S8_S8_S8_S8_S8_EEEEPS9_S9_NSD_9__find_if7functorIS9_EEEE10hipError_tPvRmT1_T2_T3_mT4_P12ihipStream_tbEUlT_E0_NS1_11comp_targetILNS1_3genE9ELNS1_11target_archE1100ELNS1_3gpuE3ELNS1_3repE0EEENS1_30default_config_static_selectorELNS0_4arch9wavefront6targetE0EEEvS14_
    .private_segment_fixed_size: 0
    .sgpr_count:     30
    .sgpr_spill_count: 0
    .symbol:         _ZN7rocprim17ROCPRIM_400000_NS6detail17trampoline_kernelINS0_14default_configENS1_22reduce_config_selectorIN6thrust23THRUST_200600_302600_NS5tupleIblNS6_9null_typeES8_S8_S8_S8_S8_S8_S8_EEEEZNS1_11reduce_implILb1ES3_NS6_12zip_iteratorINS7_INS6_11hip_rocprim26transform_input_iterator_tIbNSD_35transform_pair_of_input_iterators_tIbNS6_6detail15normal_iteratorINS6_10device_ptrIKsEEEESL_NS6_8equal_toIsEEEENSG_9not_fun_tINSD_8identityEEEEENSD_19counting_iterator_tIlEES8_S8_S8_S8_S8_S8_S8_S8_EEEEPS9_S9_NSD_9__find_if7functorIS9_EEEE10hipError_tPvRmT1_T2_T3_mT4_P12ihipStream_tbEUlT_E0_NS1_11comp_targetILNS1_3genE9ELNS1_11target_archE1100ELNS1_3gpuE3ELNS1_3repE0EEENS1_30default_config_static_selectorELNS0_4arch9wavefront6targetE0EEEvS14_.kd
    .uniform_work_group_size: 1
    .uses_dynamic_stack: false
    .vgpr_count:     16
    .vgpr_spill_count: 0
    .wavefront_size: 32
    .workgroup_processor_mode: 1
  - .args:
      - .offset:         0
        .size:           104
        .value_kind:     by_value
    .group_segment_fixed_size: 0
    .kernarg_segment_align: 8
    .kernarg_segment_size: 104
    .language:       OpenCL C
    .language_version:
      - 2
      - 0
    .max_flat_workgroup_size: 256
    .name:           _ZN7rocprim17ROCPRIM_400000_NS6detail17trampoline_kernelINS0_14default_configENS1_22reduce_config_selectorIN6thrust23THRUST_200600_302600_NS5tupleIblNS6_9null_typeES8_S8_S8_S8_S8_S8_S8_EEEEZNS1_11reduce_implILb1ES3_NS6_12zip_iteratorINS7_INS6_11hip_rocprim26transform_input_iterator_tIbNSD_35transform_pair_of_input_iterators_tIbNS6_6detail15normal_iteratorINS6_10device_ptrIKsEEEESL_NS6_8equal_toIsEEEENSG_9not_fun_tINSD_8identityEEEEENSD_19counting_iterator_tIlEES8_S8_S8_S8_S8_S8_S8_S8_EEEEPS9_S9_NSD_9__find_if7functorIS9_EEEE10hipError_tPvRmT1_T2_T3_mT4_P12ihipStream_tbEUlT_E0_NS1_11comp_targetILNS1_3genE8ELNS1_11target_archE1030ELNS1_3gpuE2ELNS1_3repE0EEENS1_30default_config_static_selectorELNS0_4arch9wavefront6targetE0EEEvS14_
    .private_segment_fixed_size: 0
    .sgpr_count:     0
    .sgpr_spill_count: 0
    .symbol:         _ZN7rocprim17ROCPRIM_400000_NS6detail17trampoline_kernelINS0_14default_configENS1_22reduce_config_selectorIN6thrust23THRUST_200600_302600_NS5tupleIblNS6_9null_typeES8_S8_S8_S8_S8_S8_S8_EEEEZNS1_11reduce_implILb1ES3_NS6_12zip_iteratorINS7_INS6_11hip_rocprim26transform_input_iterator_tIbNSD_35transform_pair_of_input_iterators_tIbNS6_6detail15normal_iteratorINS6_10device_ptrIKsEEEESL_NS6_8equal_toIsEEEENSG_9not_fun_tINSD_8identityEEEEENSD_19counting_iterator_tIlEES8_S8_S8_S8_S8_S8_S8_S8_EEEEPS9_S9_NSD_9__find_if7functorIS9_EEEE10hipError_tPvRmT1_T2_T3_mT4_P12ihipStream_tbEUlT_E0_NS1_11comp_targetILNS1_3genE8ELNS1_11target_archE1030ELNS1_3gpuE2ELNS1_3repE0EEENS1_30default_config_static_selectorELNS0_4arch9wavefront6targetE0EEEvS14_.kd
    .uniform_work_group_size: 1
    .uses_dynamic_stack: false
    .vgpr_count:     0
    .vgpr_spill_count: 0
    .wavefront_size: 32
    .workgroup_processor_mode: 1
  - .args:
      - .offset:         0
        .size:           88
        .value_kind:     by_value
    .group_segment_fixed_size: 0
    .kernarg_segment_align: 8
    .kernarg_segment_size: 88
    .language:       OpenCL C
    .language_version:
      - 2
      - 0
    .max_flat_workgroup_size: 128
    .name:           _ZN7rocprim17ROCPRIM_400000_NS6detail17trampoline_kernelINS0_14default_configENS1_22reduce_config_selectorIN6thrust23THRUST_200600_302600_NS5tupleIblNS6_9null_typeES8_S8_S8_S8_S8_S8_S8_EEEEZNS1_11reduce_implILb1ES3_NS6_12zip_iteratorINS7_INS6_11hip_rocprim26transform_input_iterator_tIbNSD_35transform_pair_of_input_iterators_tIbNS6_6detail15normal_iteratorINS6_10device_ptrIKsEEEESL_NS6_8equal_toIsEEEENSG_9not_fun_tINSD_8identityEEEEENSD_19counting_iterator_tIlEES8_S8_S8_S8_S8_S8_S8_S8_EEEEPS9_S9_NSD_9__find_if7functorIS9_EEEE10hipError_tPvRmT1_T2_T3_mT4_P12ihipStream_tbEUlT_E1_NS1_11comp_targetILNS1_3genE0ELNS1_11target_archE4294967295ELNS1_3gpuE0ELNS1_3repE0EEENS1_30default_config_static_selectorELNS0_4arch9wavefront6targetE0EEEvS14_
    .private_segment_fixed_size: 0
    .sgpr_count:     0
    .sgpr_spill_count: 0
    .symbol:         _ZN7rocprim17ROCPRIM_400000_NS6detail17trampoline_kernelINS0_14default_configENS1_22reduce_config_selectorIN6thrust23THRUST_200600_302600_NS5tupleIblNS6_9null_typeES8_S8_S8_S8_S8_S8_S8_EEEEZNS1_11reduce_implILb1ES3_NS6_12zip_iteratorINS7_INS6_11hip_rocprim26transform_input_iterator_tIbNSD_35transform_pair_of_input_iterators_tIbNS6_6detail15normal_iteratorINS6_10device_ptrIKsEEEESL_NS6_8equal_toIsEEEENSG_9not_fun_tINSD_8identityEEEEENSD_19counting_iterator_tIlEES8_S8_S8_S8_S8_S8_S8_S8_EEEEPS9_S9_NSD_9__find_if7functorIS9_EEEE10hipError_tPvRmT1_T2_T3_mT4_P12ihipStream_tbEUlT_E1_NS1_11comp_targetILNS1_3genE0ELNS1_11target_archE4294967295ELNS1_3gpuE0ELNS1_3repE0EEENS1_30default_config_static_selectorELNS0_4arch9wavefront6targetE0EEEvS14_.kd
    .uniform_work_group_size: 1
    .uses_dynamic_stack: false
    .vgpr_count:     0
    .vgpr_spill_count: 0
    .wavefront_size: 32
    .workgroup_processor_mode: 1
  - .args:
      - .offset:         0
        .size:           88
        .value_kind:     by_value
    .group_segment_fixed_size: 0
    .kernarg_segment_align: 8
    .kernarg_segment_size: 88
    .language:       OpenCL C
    .language_version:
      - 2
      - 0
    .max_flat_workgroup_size: 256
    .name:           _ZN7rocprim17ROCPRIM_400000_NS6detail17trampoline_kernelINS0_14default_configENS1_22reduce_config_selectorIN6thrust23THRUST_200600_302600_NS5tupleIblNS6_9null_typeES8_S8_S8_S8_S8_S8_S8_EEEEZNS1_11reduce_implILb1ES3_NS6_12zip_iteratorINS7_INS6_11hip_rocprim26transform_input_iterator_tIbNSD_35transform_pair_of_input_iterators_tIbNS6_6detail15normal_iteratorINS6_10device_ptrIKsEEEESL_NS6_8equal_toIsEEEENSG_9not_fun_tINSD_8identityEEEEENSD_19counting_iterator_tIlEES8_S8_S8_S8_S8_S8_S8_S8_EEEEPS9_S9_NSD_9__find_if7functorIS9_EEEE10hipError_tPvRmT1_T2_T3_mT4_P12ihipStream_tbEUlT_E1_NS1_11comp_targetILNS1_3genE5ELNS1_11target_archE942ELNS1_3gpuE9ELNS1_3repE0EEENS1_30default_config_static_selectorELNS0_4arch9wavefront6targetE0EEEvS14_
    .private_segment_fixed_size: 0
    .sgpr_count:     0
    .sgpr_spill_count: 0
    .symbol:         _ZN7rocprim17ROCPRIM_400000_NS6detail17trampoline_kernelINS0_14default_configENS1_22reduce_config_selectorIN6thrust23THRUST_200600_302600_NS5tupleIblNS6_9null_typeES8_S8_S8_S8_S8_S8_S8_EEEEZNS1_11reduce_implILb1ES3_NS6_12zip_iteratorINS7_INS6_11hip_rocprim26transform_input_iterator_tIbNSD_35transform_pair_of_input_iterators_tIbNS6_6detail15normal_iteratorINS6_10device_ptrIKsEEEESL_NS6_8equal_toIsEEEENSG_9not_fun_tINSD_8identityEEEEENSD_19counting_iterator_tIlEES8_S8_S8_S8_S8_S8_S8_S8_EEEEPS9_S9_NSD_9__find_if7functorIS9_EEEE10hipError_tPvRmT1_T2_T3_mT4_P12ihipStream_tbEUlT_E1_NS1_11comp_targetILNS1_3genE5ELNS1_11target_archE942ELNS1_3gpuE9ELNS1_3repE0EEENS1_30default_config_static_selectorELNS0_4arch9wavefront6targetE0EEEvS14_.kd
    .uniform_work_group_size: 1
    .uses_dynamic_stack: false
    .vgpr_count:     0
    .vgpr_spill_count: 0
    .wavefront_size: 32
    .workgroup_processor_mode: 1
  - .args:
      - .offset:         0
        .size:           88
        .value_kind:     by_value
    .group_segment_fixed_size: 0
    .kernarg_segment_align: 8
    .kernarg_segment_size: 88
    .language:       OpenCL C
    .language_version:
      - 2
      - 0
    .max_flat_workgroup_size: 256
    .name:           _ZN7rocprim17ROCPRIM_400000_NS6detail17trampoline_kernelINS0_14default_configENS1_22reduce_config_selectorIN6thrust23THRUST_200600_302600_NS5tupleIblNS6_9null_typeES8_S8_S8_S8_S8_S8_S8_EEEEZNS1_11reduce_implILb1ES3_NS6_12zip_iteratorINS7_INS6_11hip_rocprim26transform_input_iterator_tIbNSD_35transform_pair_of_input_iterators_tIbNS6_6detail15normal_iteratorINS6_10device_ptrIKsEEEESL_NS6_8equal_toIsEEEENSG_9not_fun_tINSD_8identityEEEEENSD_19counting_iterator_tIlEES8_S8_S8_S8_S8_S8_S8_S8_EEEEPS9_S9_NSD_9__find_if7functorIS9_EEEE10hipError_tPvRmT1_T2_T3_mT4_P12ihipStream_tbEUlT_E1_NS1_11comp_targetILNS1_3genE4ELNS1_11target_archE910ELNS1_3gpuE8ELNS1_3repE0EEENS1_30default_config_static_selectorELNS0_4arch9wavefront6targetE0EEEvS14_
    .private_segment_fixed_size: 0
    .sgpr_count:     0
    .sgpr_spill_count: 0
    .symbol:         _ZN7rocprim17ROCPRIM_400000_NS6detail17trampoline_kernelINS0_14default_configENS1_22reduce_config_selectorIN6thrust23THRUST_200600_302600_NS5tupleIblNS6_9null_typeES8_S8_S8_S8_S8_S8_S8_EEEEZNS1_11reduce_implILb1ES3_NS6_12zip_iteratorINS7_INS6_11hip_rocprim26transform_input_iterator_tIbNSD_35transform_pair_of_input_iterators_tIbNS6_6detail15normal_iteratorINS6_10device_ptrIKsEEEESL_NS6_8equal_toIsEEEENSG_9not_fun_tINSD_8identityEEEEENSD_19counting_iterator_tIlEES8_S8_S8_S8_S8_S8_S8_S8_EEEEPS9_S9_NSD_9__find_if7functorIS9_EEEE10hipError_tPvRmT1_T2_T3_mT4_P12ihipStream_tbEUlT_E1_NS1_11comp_targetILNS1_3genE4ELNS1_11target_archE910ELNS1_3gpuE8ELNS1_3repE0EEENS1_30default_config_static_selectorELNS0_4arch9wavefront6targetE0EEEvS14_.kd
    .uniform_work_group_size: 1
    .uses_dynamic_stack: false
    .vgpr_count:     0
    .vgpr_spill_count: 0
    .wavefront_size: 32
    .workgroup_processor_mode: 1
  - .args:
      - .offset:         0
        .size:           88
        .value_kind:     by_value
    .group_segment_fixed_size: 0
    .kernarg_segment_align: 8
    .kernarg_segment_size: 88
    .language:       OpenCL C
    .language_version:
      - 2
      - 0
    .max_flat_workgroup_size: 128
    .name:           _ZN7rocprim17ROCPRIM_400000_NS6detail17trampoline_kernelINS0_14default_configENS1_22reduce_config_selectorIN6thrust23THRUST_200600_302600_NS5tupleIblNS6_9null_typeES8_S8_S8_S8_S8_S8_S8_EEEEZNS1_11reduce_implILb1ES3_NS6_12zip_iteratorINS7_INS6_11hip_rocprim26transform_input_iterator_tIbNSD_35transform_pair_of_input_iterators_tIbNS6_6detail15normal_iteratorINS6_10device_ptrIKsEEEESL_NS6_8equal_toIsEEEENSG_9not_fun_tINSD_8identityEEEEENSD_19counting_iterator_tIlEES8_S8_S8_S8_S8_S8_S8_S8_EEEEPS9_S9_NSD_9__find_if7functorIS9_EEEE10hipError_tPvRmT1_T2_T3_mT4_P12ihipStream_tbEUlT_E1_NS1_11comp_targetILNS1_3genE3ELNS1_11target_archE908ELNS1_3gpuE7ELNS1_3repE0EEENS1_30default_config_static_selectorELNS0_4arch9wavefront6targetE0EEEvS14_
    .private_segment_fixed_size: 0
    .sgpr_count:     0
    .sgpr_spill_count: 0
    .symbol:         _ZN7rocprim17ROCPRIM_400000_NS6detail17trampoline_kernelINS0_14default_configENS1_22reduce_config_selectorIN6thrust23THRUST_200600_302600_NS5tupleIblNS6_9null_typeES8_S8_S8_S8_S8_S8_S8_EEEEZNS1_11reduce_implILb1ES3_NS6_12zip_iteratorINS7_INS6_11hip_rocprim26transform_input_iterator_tIbNSD_35transform_pair_of_input_iterators_tIbNS6_6detail15normal_iteratorINS6_10device_ptrIKsEEEESL_NS6_8equal_toIsEEEENSG_9not_fun_tINSD_8identityEEEEENSD_19counting_iterator_tIlEES8_S8_S8_S8_S8_S8_S8_S8_EEEEPS9_S9_NSD_9__find_if7functorIS9_EEEE10hipError_tPvRmT1_T2_T3_mT4_P12ihipStream_tbEUlT_E1_NS1_11comp_targetILNS1_3genE3ELNS1_11target_archE908ELNS1_3gpuE7ELNS1_3repE0EEENS1_30default_config_static_selectorELNS0_4arch9wavefront6targetE0EEEvS14_.kd
    .uniform_work_group_size: 1
    .uses_dynamic_stack: false
    .vgpr_count:     0
    .vgpr_spill_count: 0
    .wavefront_size: 32
    .workgroup_processor_mode: 1
  - .args:
      - .offset:         0
        .size:           88
        .value_kind:     by_value
    .group_segment_fixed_size: 0
    .kernarg_segment_align: 8
    .kernarg_segment_size: 88
    .language:       OpenCL C
    .language_version:
      - 2
      - 0
    .max_flat_workgroup_size: 128
    .name:           _ZN7rocprim17ROCPRIM_400000_NS6detail17trampoline_kernelINS0_14default_configENS1_22reduce_config_selectorIN6thrust23THRUST_200600_302600_NS5tupleIblNS6_9null_typeES8_S8_S8_S8_S8_S8_S8_EEEEZNS1_11reduce_implILb1ES3_NS6_12zip_iteratorINS7_INS6_11hip_rocprim26transform_input_iterator_tIbNSD_35transform_pair_of_input_iterators_tIbNS6_6detail15normal_iteratorINS6_10device_ptrIKsEEEESL_NS6_8equal_toIsEEEENSG_9not_fun_tINSD_8identityEEEEENSD_19counting_iterator_tIlEES8_S8_S8_S8_S8_S8_S8_S8_EEEEPS9_S9_NSD_9__find_if7functorIS9_EEEE10hipError_tPvRmT1_T2_T3_mT4_P12ihipStream_tbEUlT_E1_NS1_11comp_targetILNS1_3genE2ELNS1_11target_archE906ELNS1_3gpuE6ELNS1_3repE0EEENS1_30default_config_static_selectorELNS0_4arch9wavefront6targetE0EEEvS14_
    .private_segment_fixed_size: 0
    .sgpr_count:     0
    .sgpr_spill_count: 0
    .symbol:         _ZN7rocprim17ROCPRIM_400000_NS6detail17trampoline_kernelINS0_14default_configENS1_22reduce_config_selectorIN6thrust23THRUST_200600_302600_NS5tupleIblNS6_9null_typeES8_S8_S8_S8_S8_S8_S8_EEEEZNS1_11reduce_implILb1ES3_NS6_12zip_iteratorINS7_INS6_11hip_rocprim26transform_input_iterator_tIbNSD_35transform_pair_of_input_iterators_tIbNS6_6detail15normal_iteratorINS6_10device_ptrIKsEEEESL_NS6_8equal_toIsEEEENSG_9not_fun_tINSD_8identityEEEEENSD_19counting_iterator_tIlEES8_S8_S8_S8_S8_S8_S8_S8_EEEEPS9_S9_NSD_9__find_if7functorIS9_EEEE10hipError_tPvRmT1_T2_T3_mT4_P12ihipStream_tbEUlT_E1_NS1_11comp_targetILNS1_3genE2ELNS1_11target_archE906ELNS1_3gpuE6ELNS1_3repE0EEENS1_30default_config_static_selectorELNS0_4arch9wavefront6targetE0EEEvS14_.kd
    .uniform_work_group_size: 1
    .uses_dynamic_stack: false
    .vgpr_count:     0
    .vgpr_spill_count: 0
    .wavefront_size: 32
    .workgroup_processor_mode: 1
  - .args:
      - .offset:         0
        .size:           88
        .value_kind:     by_value
    .group_segment_fixed_size: 0
    .kernarg_segment_align: 8
    .kernarg_segment_size: 88
    .language:       OpenCL C
    .language_version:
      - 2
      - 0
    .max_flat_workgroup_size: 256
    .name:           _ZN7rocprim17ROCPRIM_400000_NS6detail17trampoline_kernelINS0_14default_configENS1_22reduce_config_selectorIN6thrust23THRUST_200600_302600_NS5tupleIblNS6_9null_typeES8_S8_S8_S8_S8_S8_S8_EEEEZNS1_11reduce_implILb1ES3_NS6_12zip_iteratorINS7_INS6_11hip_rocprim26transform_input_iterator_tIbNSD_35transform_pair_of_input_iterators_tIbNS6_6detail15normal_iteratorINS6_10device_ptrIKsEEEESL_NS6_8equal_toIsEEEENSG_9not_fun_tINSD_8identityEEEEENSD_19counting_iterator_tIlEES8_S8_S8_S8_S8_S8_S8_S8_EEEEPS9_S9_NSD_9__find_if7functorIS9_EEEE10hipError_tPvRmT1_T2_T3_mT4_P12ihipStream_tbEUlT_E1_NS1_11comp_targetILNS1_3genE10ELNS1_11target_archE1201ELNS1_3gpuE5ELNS1_3repE0EEENS1_30default_config_static_selectorELNS0_4arch9wavefront6targetE0EEEvS14_
    .private_segment_fixed_size: 0
    .sgpr_count:     0
    .sgpr_spill_count: 0
    .symbol:         _ZN7rocprim17ROCPRIM_400000_NS6detail17trampoline_kernelINS0_14default_configENS1_22reduce_config_selectorIN6thrust23THRUST_200600_302600_NS5tupleIblNS6_9null_typeES8_S8_S8_S8_S8_S8_S8_EEEEZNS1_11reduce_implILb1ES3_NS6_12zip_iteratorINS7_INS6_11hip_rocprim26transform_input_iterator_tIbNSD_35transform_pair_of_input_iterators_tIbNS6_6detail15normal_iteratorINS6_10device_ptrIKsEEEESL_NS6_8equal_toIsEEEENSG_9not_fun_tINSD_8identityEEEEENSD_19counting_iterator_tIlEES8_S8_S8_S8_S8_S8_S8_S8_EEEEPS9_S9_NSD_9__find_if7functorIS9_EEEE10hipError_tPvRmT1_T2_T3_mT4_P12ihipStream_tbEUlT_E1_NS1_11comp_targetILNS1_3genE10ELNS1_11target_archE1201ELNS1_3gpuE5ELNS1_3repE0EEENS1_30default_config_static_selectorELNS0_4arch9wavefront6targetE0EEEvS14_.kd
    .uniform_work_group_size: 1
    .uses_dynamic_stack: false
    .vgpr_count:     0
    .vgpr_spill_count: 0
    .wavefront_size: 32
    .workgroup_processor_mode: 1
  - .args:
      - .offset:         0
        .size:           88
        .value_kind:     by_value
    .group_segment_fixed_size: 0
    .kernarg_segment_align: 8
    .kernarg_segment_size: 88
    .language:       OpenCL C
    .language_version:
      - 2
      - 0
    .max_flat_workgroup_size: 256
    .name:           _ZN7rocprim17ROCPRIM_400000_NS6detail17trampoline_kernelINS0_14default_configENS1_22reduce_config_selectorIN6thrust23THRUST_200600_302600_NS5tupleIblNS6_9null_typeES8_S8_S8_S8_S8_S8_S8_EEEEZNS1_11reduce_implILb1ES3_NS6_12zip_iteratorINS7_INS6_11hip_rocprim26transform_input_iterator_tIbNSD_35transform_pair_of_input_iterators_tIbNS6_6detail15normal_iteratorINS6_10device_ptrIKsEEEESL_NS6_8equal_toIsEEEENSG_9not_fun_tINSD_8identityEEEEENSD_19counting_iterator_tIlEES8_S8_S8_S8_S8_S8_S8_S8_EEEEPS9_S9_NSD_9__find_if7functorIS9_EEEE10hipError_tPvRmT1_T2_T3_mT4_P12ihipStream_tbEUlT_E1_NS1_11comp_targetILNS1_3genE10ELNS1_11target_archE1200ELNS1_3gpuE4ELNS1_3repE0EEENS1_30default_config_static_selectorELNS0_4arch9wavefront6targetE0EEEvS14_
    .private_segment_fixed_size: 0
    .sgpr_count:     0
    .sgpr_spill_count: 0
    .symbol:         _ZN7rocprim17ROCPRIM_400000_NS6detail17trampoline_kernelINS0_14default_configENS1_22reduce_config_selectorIN6thrust23THRUST_200600_302600_NS5tupleIblNS6_9null_typeES8_S8_S8_S8_S8_S8_S8_EEEEZNS1_11reduce_implILb1ES3_NS6_12zip_iteratorINS7_INS6_11hip_rocprim26transform_input_iterator_tIbNSD_35transform_pair_of_input_iterators_tIbNS6_6detail15normal_iteratorINS6_10device_ptrIKsEEEESL_NS6_8equal_toIsEEEENSG_9not_fun_tINSD_8identityEEEEENSD_19counting_iterator_tIlEES8_S8_S8_S8_S8_S8_S8_S8_EEEEPS9_S9_NSD_9__find_if7functorIS9_EEEE10hipError_tPvRmT1_T2_T3_mT4_P12ihipStream_tbEUlT_E1_NS1_11comp_targetILNS1_3genE10ELNS1_11target_archE1200ELNS1_3gpuE4ELNS1_3repE0EEENS1_30default_config_static_selectorELNS0_4arch9wavefront6targetE0EEEvS14_.kd
    .uniform_work_group_size: 1
    .uses_dynamic_stack: false
    .vgpr_count:     0
    .vgpr_spill_count: 0
    .wavefront_size: 32
    .workgroup_processor_mode: 1
  - .args:
      - .offset:         0
        .size:           88
        .value_kind:     by_value
    .group_segment_fixed_size: 640
    .kernarg_segment_align: 8
    .kernarg_segment_size: 88
    .language:       OpenCL C
    .language_version:
      - 2
      - 0
    .max_flat_workgroup_size: 256
    .name:           _ZN7rocprim17ROCPRIM_400000_NS6detail17trampoline_kernelINS0_14default_configENS1_22reduce_config_selectorIN6thrust23THRUST_200600_302600_NS5tupleIblNS6_9null_typeES8_S8_S8_S8_S8_S8_S8_EEEEZNS1_11reduce_implILb1ES3_NS6_12zip_iteratorINS7_INS6_11hip_rocprim26transform_input_iterator_tIbNSD_35transform_pair_of_input_iterators_tIbNS6_6detail15normal_iteratorINS6_10device_ptrIKsEEEESL_NS6_8equal_toIsEEEENSG_9not_fun_tINSD_8identityEEEEENSD_19counting_iterator_tIlEES8_S8_S8_S8_S8_S8_S8_S8_EEEEPS9_S9_NSD_9__find_if7functorIS9_EEEE10hipError_tPvRmT1_T2_T3_mT4_P12ihipStream_tbEUlT_E1_NS1_11comp_targetILNS1_3genE9ELNS1_11target_archE1100ELNS1_3gpuE3ELNS1_3repE0EEENS1_30default_config_static_selectorELNS0_4arch9wavefront6targetE0EEEvS14_
    .private_segment_fixed_size: 0
    .sgpr_count:     34
    .sgpr_spill_count: 0
    .symbol:         _ZN7rocprim17ROCPRIM_400000_NS6detail17trampoline_kernelINS0_14default_configENS1_22reduce_config_selectorIN6thrust23THRUST_200600_302600_NS5tupleIblNS6_9null_typeES8_S8_S8_S8_S8_S8_S8_EEEEZNS1_11reduce_implILb1ES3_NS6_12zip_iteratorINS7_INS6_11hip_rocprim26transform_input_iterator_tIbNSD_35transform_pair_of_input_iterators_tIbNS6_6detail15normal_iteratorINS6_10device_ptrIKsEEEESL_NS6_8equal_toIsEEEENSG_9not_fun_tINSD_8identityEEEEENSD_19counting_iterator_tIlEES8_S8_S8_S8_S8_S8_S8_S8_EEEEPS9_S9_NSD_9__find_if7functorIS9_EEEE10hipError_tPvRmT1_T2_T3_mT4_P12ihipStream_tbEUlT_E1_NS1_11comp_targetILNS1_3genE9ELNS1_11target_archE1100ELNS1_3gpuE3ELNS1_3repE0EEENS1_30default_config_static_selectorELNS0_4arch9wavefront6targetE0EEEvS14_.kd
    .uniform_work_group_size: 1
    .uses_dynamic_stack: false
    .vgpr_count:     27
    .vgpr_spill_count: 0
    .wavefront_size: 32
    .workgroup_processor_mode: 1
  - .args:
      - .offset:         0
        .size:           88
        .value_kind:     by_value
    .group_segment_fixed_size: 0
    .kernarg_segment_align: 8
    .kernarg_segment_size: 88
    .language:       OpenCL C
    .language_version:
      - 2
      - 0
    .max_flat_workgroup_size: 256
    .name:           _ZN7rocprim17ROCPRIM_400000_NS6detail17trampoline_kernelINS0_14default_configENS1_22reduce_config_selectorIN6thrust23THRUST_200600_302600_NS5tupleIblNS6_9null_typeES8_S8_S8_S8_S8_S8_S8_EEEEZNS1_11reduce_implILb1ES3_NS6_12zip_iteratorINS7_INS6_11hip_rocprim26transform_input_iterator_tIbNSD_35transform_pair_of_input_iterators_tIbNS6_6detail15normal_iteratorINS6_10device_ptrIKsEEEESL_NS6_8equal_toIsEEEENSG_9not_fun_tINSD_8identityEEEEENSD_19counting_iterator_tIlEES8_S8_S8_S8_S8_S8_S8_S8_EEEEPS9_S9_NSD_9__find_if7functorIS9_EEEE10hipError_tPvRmT1_T2_T3_mT4_P12ihipStream_tbEUlT_E1_NS1_11comp_targetILNS1_3genE8ELNS1_11target_archE1030ELNS1_3gpuE2ELNS1_3repE0EEENS1_30default_config_static_selectorELNS0_4arch9wavefront6targetE0EEEvS14_
    .private_segment_fixed_size: 0
    .sgpr_count:     0
    .sgpr_spill_count: 0
    .symbol:         _ZN7rocprim17ROCPRIM_400000_NS6detail17trampoline_kernelINS0_14default_configENS1_22reduce_config_selectorIN6thrust23THRUST_200600_302600_NS5tupleIblNS6_9null_typeES8_S8_S8_S8_S8_S8_S8_EEEEZNS1_11reduce_implILb1ES3_NS6_12zip_iteratorINS7_INS6_11hip_rocprim26transform_input_iterator_tIbNSD_35transform_pair_of_input_iterators_tIbNS6_6detail15normal_iteratorINS6_10device_ptrIKsEEEESL_NS6_8equal_toIsEEEENSG_9not_fun_tINSD_8identityEEEEENSD_19counting_iterator_tIlEES8_S8_S8_S8_S8_S8_S8_S8_EEEEPS9_S9_NSD_9__find_if7functorIS9_EEEE10hipError_tPvRmT1_T2_T3_mT4_P12ihipStream_tbEUlT_E1_NS1_11comp_targetILNS1_3genE8ELNS1_11target_archE1030ELNS1_3gpuE2ELNS1_3repE0EEENS1_30default_config_static_selectorELNS0_4arch9wavefront6targetE0EEEvS14_.kd
    .uniform_work_group_size: 1
    .uses_dynamic_stack: false
    .vgpr_count:     0
    .vgpr_spill_count: 0
    .wavefront_size: 32
    .workgroup_processor_mode: 1
  - .args:
      - .offset:         0
        .size:           56
        .value_kind:     by_value
    .group_segment_fixed_size: 0
    .kernarg_segment_align: 8
    .kernarg_segment_size: 56
    .language:       OpenCL C
    .language_version:
      - 2
      - 0
    .max_flat_workgroup_size: 128
    .name:           _ZN7rocprim17ROCPRIM_400000_NS6detail17trampoline_kernelINS0_14default_configENS1_35adjacent_difference_config_selectorILb0EdEEZNS1_24adjacent_difference_implIS3_Lb0ELb0EPKdPdN6thrust23THRUST_200600_302600_NS4plusIdEEEE10hipError_tPvRmT2_T3_mT4_P12ihipStream_tbEUlT_E_NS1_11comp_targetILNS1_3genE0ELNS1_11target_archE4294967295ELNS1_3gpuE0ELNS1_3repE0EEENS1_30default_config_static_selectorELNS0_4arch9wavefront6targetE0EEEvT1_
    .private_segment_fixed_size: 0
    .sgpr_count:     0
    .sgpr_spill_count: 0
    .symbol:         _ZN7rocprim17ROCPRIM_400000_NS6detail17trampoline_kernelINS0_14default_configENS1_35adjacent_difference_config_selectorILb0EdEEZNS1_24adjacent_difference_implIS3_Lb0ELb0EPKdPdN6thrust23THRUST_200600_302600_NS4plusIdEEEE10hipError_tPvRmT2_T3_mT4_P12ihipStream_tbEUlT_E_NS1_11comp_targetILNS1_3genE0ELNS1_11target_archE4294967295ELNS1_3gpuE0ELNS1_3repE0EEENS1_30default_config_static_selectorELNS0_4arch9wavefront6targetE0EEEvT1_.kd
    .uniform_work_group_size: 1
    .uses_dynamic_stack: false
    .vgpr_count:     0
    .vgpr_spill_count: 0
    .wavefront_size: 32
    .workgroup_processor_mode: 1
  - .args:
      - .offset:         0
        .size:           56
        .value_kind:     by_value
    .group_segment_fixed_size: 0
    .kernarg_segment_align: 8
    .kernarg_segment_size: 56
    .language:       OpenCL C
    .language_version:
      - 2
      - 0
    .max_flat_workgroup_size: 32
    .name:           _ZN7rocprim17ROCPRIM_400000_NS6detail17trampoline_kernelINS0_14default_configENS1_35adjacent_difference_config_selectorILb0EdEEZNS1_24adjacent_difference_implIS3_Lb0ELb0EPKdPdN6thrust23THRUST_200600_302600_NS4plusIdEEEE10hipError_tPvRmT2_T3_mT4_P12ihipStream_tbEUlT_E_NS1_11comp_targetILNS1_3genE10ELNS1_11target_archE1201ELNS1_3gpuE5ELNS1_3repE0EEENS1_30default_config_static_selectorELNS0_4arch9wavefront6targetE0EEEvT1_
    .private_segment_fixed_size: 0
    .sgpr_count:     0
    .sgpr_spill_count: 0
    .symbol:         _ZN7rocprim17ROCPRIM_400000_NS6detail17trampoline_kernelINS0_14default_configENS1_35adjacent_difference_config_selectorILb0EdEEZNS1_24adjacent_difference_implIS3_Lb0ELb0EPKdPdN6thrust23THRUST_200600_302600_NS4plusIdEEEE10hipError_tPvRmT2_T3_mT4_P12ihipStream_tbEUlT_E_NS1_11comp_targetILNS1_3genE10ELNS1_11target_archE1201ELNS1_3gpuE5ELNS1_3repE0EEENS1_30default_config_static_selectorELNS0_4arch9wavefront6targetE0EEEvT1_.kd
    .uniform_work_group_size: 1
    .uses_dynamic_stack: false
    .vgpr_count:     0
    .vgpr_spill_count: 0
    .wavefront_size: 32
    .workgroup_processor_mode: 1
  - .args:
      - .offset:         0
        .size:           56
        .value_kind:     by_value
    .group_segment_fixed_size: 0
    .kernarg_segment_align: 8
    .kernarg_segment_size: 56
    .language:       OpenCL C
    .language_version:
      - 2
      - 0
    .max_flat_workgroup_size: 64
    .name:           _ZN7rocprim17ROCPRIM_400000_NS6detail17trampoline_kernelINS0_14default_configENS1_35adjacent_difference_config_selectorILb0EdEEZNS1_24adjacent_difference_implIS3_Lb0ELb0EPKdPdN6thrust23THRUST_200600_302600_NS4plusIdEEEE10hipError_tPvRmT2_T3_mT4_P12ihipStream_tbEUlT_E_NS1_11comp_targetILNS1_3genE5ELNS1_11target_archE942ELNS1_3gpuE9ELNS1_3repE0EEENS1_30default_config_static_selectorELNS0_4arch9wavefront6targetE0EEEvT1_
    .private_segment_fixed_size: 0
    .sgpr_count:     0
    .sgpr_spill_count: 0
    .symbol:         _ZN7rocprim17ROCPRIM_400000_NS6detail17trampoline_kernelINS0_14default_configENS1_35adjacent_difference_config_selectorILb0EdEEZNS1_24adjacent_difference_implIS3_Lb0ELb0EPKdPdN6thrust23THRUST_200600_302600_NS4plusIdEEEE10hipError_tPvRmT2_T3_mT4_P12ihipStream_tbEUlT_E_NS1_11comp_targetILNS1_3genE5ELNS1_11target_archE942ELNS1_3gpuE9ELNS1_3repE0EEENS1_30default_config_static_selectorELNS0_4arch9wavefront6targetE0EEEvT1_.kd
    .uniform_work_group_size: 1
    .uses_dynamic_stack: false
    .vgpr_count:     0
    .vgpr_spill_count: 0
    .wavefront_size: 32
    .workgroup_processor_mode: 1
  - .args:
      - .offset:         0
        .size:           56
        .value_kind:     by_value
    .group_segment_fixed_size: 0
    .kernarg_segment_align: 8
    .kernarg_segment_size: 56
    .language:       OpenCL C
    .language_version:
      - 2
      - 0
    .max_flat_workgroup_size: 256
    .name:           _ZN7rocprim17ROCPRIM_400000_NS6detail17trampoline_kernelINS0_14default_configENS1_35adjacent_difference_config_selectorILb0EdEEZNS1_24adjacent_difference_implIS3_Lb0ELb0EPKdPdN6thrust23THRUST_200600_302600_NS4plusIdEEEE10hipError_tPvRmT2_T3_mT4_P12ihipStream_tbEUlT_E_NS1_11comp_targetILNS1_3genE4ELNS1_11target_archE910ELNS1_3gpuE8ELNS1_3repE0EEENS1_30default_config_static_selectorELNS0_4arch9wavefront6targetE0EEEvT1_
    .private_segment_fixed_size: 0
    .sgpr_count:     0
    .sgpr_spill_count: 0
    .symbol:         _ZN7rocprim17ROCPRIM_400000_NS6detail17trampoline_kernelINS0_14default_configENS1_35adjacent_difference_config_selectorILb0EdEEZNS1_24adjacent_difference_implIS3_Lb0ELb0EPKdPdN6thrust23THRUST_200600_302600_NS4plusIdEEEE10hipError_tPvRmT2_T3_mT4_P12ihipStream_tbEUlT_E_NS1_11comp_targetILNS1_3genE4ELNS1_11target_archE910ELNS1_3gpuE8ELNS1_3repE0EEENS1_30default_config_static_selectorELNS0_4arch9wavefront6targetE0EEEvT1_.kd
    .uniform_work_group_size: 1
    .uses_dynamic_stack: false
    .vgpr_count:     0
    .vgpr_spill_count: 0
    .wavefront_size: 32
    .workgroup_processor_mode: 1
  - .args:
      - .offset:         0
        .size:           56
        .value_kind:     by_value
    .group_segment_fixed_size: 0
    .kernarg_segment_align: 8
    .kernarg_segment_size: 56
    .language:       OpenCL C
    .language_version:
      - 2
      - 0
    .max_flat_workgroup_size: 128
    .name:           _ZN7rocprim17ROCPRIM_400000_NS6detail17trampoline_kernelINS0_14default_configENS1_35adjacent_difference_config_selectorILb0EdEEZNS1_24adjacent_difference_implIS3_Lb0ELb0EPKdPdN6thrust23THRUST_200600_302600_NS4plusIdEEEE10hipError_tPvRmT2_T3_mT4_P12ihipStream_tbEUlT_E_NS1_11comp_targetILNS1_3genE3ELNS1_11target_archE908ELNS1_3gpuE7ELNS1_3repE0EEENS1_30default_config_static_selectorELNS0_4arch9wavefront6targetE0EEEvT1_
    .private_segment_fixed_size: 0
    .sgpr_count:     0
    .sgpr_spill_count: 0
    .symbol:         _ZN7rocprim17ROCPRIM_400000_NS6detail17trampoline_kernelINS0_14default_configENS1_35adjacent_difference_config_selectorILb0EdEEZNS1_24adjacent_difference_implIS3_Lb0ELb0EPKdPdN6thrust23THRUST_200600_302600_NS4plusIdEEEE10hipError_tPvRmT2_T3_mT4_P12ihipStream_tbEUlT_E_NS1_11comp_targetILNS1_3genE3ELNS1_11target_archE908ELNS1_3gpuE7ELNS1_3repE0EEENS1_30default_config_static_selectorELNS0_4arch9wavefront6targetE0EEEvT1_.kd
    .uniform_work_group_size: 1
    .uses_dynamic_stack: false
    .vgpr_count:     0
    .vgpr_spill_count: 0
    .wavefront_size: 32
    .workgroup_processor_mode: 1
  - .args:
      - .offset:         0
        .size:           56
        .value_kind:     by_value
    .group_segment_fixed_size: 0
    .kernarg_segment_align: 8
    .kernarg_segment_size: 56
    .language:       OpenCL C
    .language_version:
      - 2
      - 0
    .max_flat_workgroup_size: 1024
    .name:           _ZN7rocprim17ROCPRIM_400000_NS6detail17trampoline_kernelINS0_14default_configENS1_35adjacent_difference_config_selectorILb0EdEEZNS1_24adjacent_difference_implIS3_Lb0ELb0EPKdPdN6thrust23THRUST_200600_302600_NS4plusIdEEEE10hipError_tPvRmT2_T3_mT4_P12ihipStream_tbEUlT_E_NS1_11comp_targetILNS1_3genE2ELNS1_11target_archE906ELNS1_3gpuE6ELNS1_3repE0EEENS1_30default_config_static_selectorELNS0_4arch9wavefront6targetE0EEEvT1_
    .private_segment_fixed_size: 0
    .sgpr_count:     0
    .sgpr_spill_count: 0
    .symbol:         _ZN7rocprim17ROCPRIM_400000_NS6detail17trampoline_kernelINS0_14default_configENS1_35adjacent_difference_config_selectorILb0EdEEZNS1_24adjacent_difference_implIS3_Lb0ELb0EPKdPdN6thrust23THRUST_200600_302600_NS4plusIdEEEE10hipError_tPvRmT2_T3_mT4_P12ihipStream_tbEUlT_E_NS1_11comp_targetILNS1_3genE2ELNS1_11target_archE906ELNS1_3gpuE6ELNS1_3repE0EEENS1_30default_config_static_selectorELNS0_4arch9wavefront6targetE0EEEvT1_.kd
    .uniform_work_group_size: 1
    .uses_dynamic_stack: false
    .vgpr_count:     0
    .vgpr_spill_count: 0
    .wavefront_size: 32
    .workgroup_processor_mode: 1
  - .args:
      - .offset:         0
        .size:           56
        .value_kind:     by_value
    .group_segment_fixed_size: 16896
    .kernarg_segment_align: 8
    .kernarg_segment_size: 56
    .language:       OpenCL C
    .language_version:
      - 2
      - 0
    .max_flat_workgroup_size: 1024
    .name:           _ZN7rocprim17ROCPRIM_400000_NS6detail17trampoline_kernelINS0_14default_configENS1_35adjacent_difference_config_selectorILb0EdEEZNS1_24adjacent_difference_implIS3_Lb0ELb0EPKdPdN6thrust23THRUST_200600_302600_NS4plusIdEEEE10hipError_tPvRmT2_T3_mT4_P12ihipStream_tbEUlT_E_NS1_11comp_targetILNS1_3genE9ELNS1_11target_archE1100ELNS1_3gpuE3ELNS1_3repE0EEENS1_30default_config_static_selectorELNS0_4arch9wavefront6targetE0EEEvT1_
    .private_segment_fixed_size: 0
    .sgpr_count:     21
    .sgpr_spill_count: 0
    .symbol:         _ZN7rocprim17ROCPRIM_400000_NS6detail17trampoline_kernelINS0_14default_configENS1_35adjacent_difference_config_selectorILb0EdEEZNS1_24adjacent_difference_implIS3_Lb0ELb0EPKdPdN6thrust23THRUST_200600_302600_NS4plusIdEEEE10hipError_tPvRmT2_T3_mT4_P12ihipStream_tbEUlT_E_NS1_11comp_targetILNS1_3genE9ELNS1_11target_archE1100ELNS1_3gpuE3ELNS1_3repE0EEENS1_30default_config_static_selectorELNS0_4arch9wavefront6targetE0EEEvT1_.kd
    .uniform_work_group_size: 1
    .uses_dynamic_stack: false
    .vgpr_count:     15
    .vgpr_spill_count: 0
    .wavefront_size: 32
    .workgroup_processor_mode: 1
  - .args:
      - .offset:         0
        .size:           56
        .value_kind:     by_value
    .group_segment_fixed_size: 0
    .kernarg_segment_align: 8
    .kernarg_segment_size: 56
    .language:       OpenCL C
    .language_version:
      - 2
      - 0
    .max_flat_workgroup_size: 1024
    .name:           _ZN7rocprim17ROCPRIM_400000_NS6detail17trampoline_kernelINS0_14default_configENS1_35adjacent_difference_config_selectorILb0EdEEZNS1_24adjacent_difference_implIS3_Lb0ELb0EPKdPdN6thrust23THRUST_200600_302600_NS4plusIdEEEE10hipError_tPvRmT2_T3_mT4_P12ihipStream_tbEUlT_E_NS1_11comp_targetILNS1_3genE8ELNS1_11target_archE1030ELNS1_3gpuE2ELNS1_3repE0EEENS1_30default_config_static_selectorELNS0_4arch9wavefront6targetE0EEEvT1_
    .private_segment_fixed_size: 0
    .sgpr_count:     0
    .sgpr_spill_count: 0
    .symbol:         _ZN7rocprim17ROCPRIM_400000_NS6detail17trampoline_kernelINS0_14default_configENS1_35adjacent_difference_config_selectorILb0EdEEZNS1_24adjacent_difference_implIS3_Lb0ELb0EPKdPdN6thrust23THRUST_200600_302600_NS4plusIdEEEE10hipError_tPvRmT2_T3_mT4_P12ihipStream_tbEUlT_E_NS1_11comp_targetILNS1_3genE8ELNS1_11target_archE1030ELNS1_3gpuE2ELNS1_3repE0EEENS1_30default_config_static_selectorELNS0_4arch9wavefront6targetE0EEEvT1_.kd
    .uniform_work_group_size: 1
    .uses_dynamic_stack: false
    .vgpr_count:     0
    .vgpr_spill_count: 0
    .wavefront_size: 32
    .workgroup_processor_mode: 1
  - .args:
      - .offset:         0
        .size:           56
        .value_kind:     by_value
    .group_segment_fixed_size: 0
    .kernarg_segment_align: 8
    .kernarg_segment_size: 56
    .language:       OpenCL C
    .language_version:
      - 2
      - 0
    .max_flat_workgroup_size: 128
    .name:           _ZN7rocprim17ROCPRIM_400000_NS6detail17trampoline_kernelINS0_14default_configENS1_25transform_config_selectorIdLb0EEEZNS1_14transform_implILb0ES3_S5_NS0_18transform_iteratorINS0_17counting_iteratorImlEEZNS1_24adjacent_difference_implIS3_Lb1ELb0EPKdPdN6thrust23THRUST_200600_302600_NS4plusIdEEEE10hipError_tPvRmT2_T3_mT4_P12ihipStream_tbEUlmE_dEESD_NS0_8identityIvEEEESI_SL_SM_mSN_SP_bEUlT_E_NS1_11comp_targetILNS1_3genE0ELNS1_11target_archE4294967295ELNS1_3gpuE0ELNS1_3repE0EEENS1_30default_config_static_selectorELNS0_4arch9wavefront6targetE0EEEvT1_
    .private_segment_fixed_size: 0
    .sgpr_count:     0
    .sgpr_spill_count: 0
    .symbol:         _ZN7rocprim17ROCPRIM_400000_NS6detail17trampoline_kernelINS0_14default_configENS1_25transform_config_selectorIdLb0EEEZNS1_14transform_implILb0ES3_S5_NS0_18transform_iteratorINS0_17counting_iteratorImlEEZNS1_24adjacent_difference_implIS3_Lb1ELb0EPKdPdN6thrust23THRUST_200600_302600_NS4plusIdEEEE10hipError_tPvRmT2_T3_mT4_P12ihipStream_tbEUlmE_dEESD_NS0_8identityIvEEEESI_SL_SM_mSN_SP_bEUlT_E_NS1_11comp_targetILNS1_3genE0ELNS1_11target_archE4294967295ELNS1_3gpuE0ELNS1_3repE0EEENS1_30default_config_static_selectorELNS0_4arch9wavefront6targetE0EEEvT1_.kd
    .uniform_work_group_size: 1
    .uses_dynamic_stack: false
    .vgpr_count:     0
    .vgpr_spill_count: 0
    .wavefront_size: 32
    .workgroup_processor_mode: 1
  - .args:
      - .offset:         0
        .size:           56
        .value_kind:     by_value
    .group_segment_fixed_size: 0
    .kernarg_segment_align: 8
    .kernarg_segment_size: 56
    .language:       OpenCL C
    .language_version:
      - 2
      - 0
    .max_flat_workgroup_size: 512
    .name:           _ZN7rocprim17ROCPRIM_400000_NS6detail17trampoline_kernelINS0_14default_configENS1_25transform_config_selectorIdLb0EEEZNS1_14transform_implILb0ES3_S5_NS0_18transform_iteratorINS0_17counting_iteratorImlEEZNS1_24adjacent_difference_implIS3_Lb1ELb0EPKdPdN6thrust23THRUST_200600_302600_NS4plusIdEEEE10hipError_tPvRmT2_T3_mT4_P12ihipStream_tbEUlmE_dEESD_NS0_8identityIvEEEESI_SL_SM_mSN_SP_bEUlT_E_NS1_11comp_targetILNS1_3genE5ELNS1_11target_archE942ELNS1_3gpuE9ELNS1_3repE0EEENS1_30default_config_static_selectorELNS0_4arch9wavefront6targetE0EEEvT1_
    .private_segment_fixed_size: 0
    .sgpr_count:     0
    .sgpr_spill_count: 0
    .symbol:         _ZN7rocprim17ROCPRIM_400000_NS6detail17trampoline_kernelINS0_14default_configENS1_25transform_config_selectorIdLb0EEEZNS1_14transform_implILb0ES3_S5_NS0_18transform_iteratorINS0_17counting_iteratorImlEEZNS1_24adjacent_difference_implIS3_Lb1ELb0EPKdPdN6thrust23THRUST_200600_302600_NS4plusIdEEEE10hipError_tPvRmT2_T3_mT4_P12ihipStream_tbEUlmE_dEESD_NS0_8identityIvEEEESI_SL_SM_mSN_SP_bEUlT_E_NS1_11comp_targetILNS1_3genE5ELNS1_11target_archE942ELNS1_3gpuE9ELNS1_3repE0EEENS1_30default_config_static_selectorELNS0_4arch9wavefront6targetE0EEEvT1_.kd
    .uniform_work_group_size: 1
    .uses_dynamic_stack: false
    .vgpr_count:     0
    .vgpr_spill_count: 0
    .wavefront_size: 32
    .workgroup_processor_mode: 1
  - .args:
      - .offset:         0
        .size:           56
        .value_kind:     by_value
    .group_segment_fixed_size: 0
    .kernarg_segment_align: 8
    .kernarg_segment_size: 56
    .language:       OpenCL C
    .language_version:
      - 2
      - 0
    .max_flat_workgroup_size: 256
    .name:           _ZN7rocprim17ROCPRIM_400000_NS6detail17trampoline_kernelINS0_14default_configENS1_25transform_config_selectorIdLb0EEEZNS1_14transform_implILb0ES3_S5_NS0_18transform_iteratorINS0_17counting_iteratorImlEEZNS1_24adjacent_difference_implIS3_Lb1ELb0EPKdPdN6thrust23THRUST_200600_302600_NS4plusIdEEEE10hipError_tPvRmT2_T3_mT4_P12ihipStream_tbEUlmE_dEESD_NS0_8identityIvEEEESI_SL_SM_mSN_SP_bEUlT_E_NS1_11comp_targetILNS1_3genE4ELNS1_11target_archE910ELNS1_3gpuE8ELNS1_3repE0EEENS1_30default_config_static_selectorELNS0_4arch9wavefront6targetE0EEEvT1_
    .private_segment_fixed_size: 0
    .sgpr_count:     0
    .sgpr_spill_count: 0
    .symbol:         _ZN7rocprim17ROCPRIM_400000_NS6detail17trampoline_kernelINS0_14default_configENS1_25transform_config_selectorIdLb0EEEZNS1_14transform_implILb0ES3_S5_NS0_18transform_iteratorINS0_17counting_iteratorImlEEZNS1_24adjacent_difference_implIS3_Lb1ELb0EPKdPdN6thrust23THRUST_200600_302600_NS4plusIdEEEE10hipError_tPvRmT2_T3_mT4_P12ihipStream_tbEUlmE_dEESD_NS0_8identityIvEEEESI_SL_SM_mSN_SP_bEUlT_E_NS1_11comp_targetILNS1_3genE4ELNS1_11target_archE910ELNS1_3gpuE8ELNS1_3repE0EEENS1_30default_config_static_selectorELNS0_4arch9wavefront6targetE0EEEvT1_.kd
    .uniform_work_group_size: 1
    .uses_dynamic_stack: false
    .vgpr_count:     0
    .vgpr_spill_count: 0
    .wavefront_size: 32
    .workgroup_processor_mode: 1
  - .args:
      - .offset:         0
        .size:           56
        .value_kind:     by_value
    .group_segment_fixed_size: 0
    .kernarg_segment_align: 8
    .kernarg_segment_size: 56
    .language:       OpenCL C
    .language_version:
      - 2
      - 0
    .max_flat_workgroup_size: 128
    .name:           _ZN7rocprim17ROCPRIM_400000_NS6detail17trampoline_kernelINS0_14default_configENS1_25transform_config_selectorIdLb0EEEZNS1_14transform_implILb0ES3_S5_NS0_18transform_iteratorINS0_17counting_iteratorImlEEZNS1_24adjacent_difference_implIS3_Lb1ELb0EPKdPdN6thrust23THRUST_200600_302600_NS4plusIdEEEE10hipError_tPvRmT2_T3_mT4_P12ihipStream_tbEUlmE_dEESD_NS0_8identityIvEEEESI_SL_SM_mSN_SP_bEUlT_E_NS1_11comp_targetILNS1_3genE3ELNS1_11target_archE908ELNS1_3gpuE7ELNS1_3repE0EEENS1_30default_config_static_selectorELNS0_4arch9wavefront6targetE0EEEvT1_
    .private_segment_fixed_size: 0
    .sgpr_count:     0
    .sgpr_spill_count: 0
    .symbol:         _ZN7rocprim17ROCPRIM_400000_NS6detail17trampoline_kernelINS0_14default_configENS1_25transform_config_selectorIdLb0EEEZNS1_14transform_implILb0ES3_S5_NS0_18transform_iteratorINS0_17counting_iteratorImlEEZNS1_24adjacent_difference_implIS3_Lb1ELb0EPKdPdN6thrust23THRUST_200600_302600_NS4plusIdEEEE10hipError_tPvRmT2_T3_mT4_P12ihipStream_tbEUlmE_dEESD_NS0_8identityIvEEEESI_SL_SM_mSN_SP_bEUlT_E_NS1_11comp_targetILNS1_3genE3ELNS1_11target_archE908ELNS1_3gpuE7ELNS1_3repE0EEENS1_30default_config_static_selectorELNS0_4arch9wavefront6targetE0EEEvT1_.kd
    .uniform_work_group_size: 1
    .uses_dynamic_stack: false
    .vgpr_count:     0
    .vgpr_spill_count: 0
    .wavefront_size: 32
    .workgroup_processor_mode: 1
  - .args:
      - .offset:         0
        .size:           56
        .value_kind:     by_value
    .group_segment_fixed_size: 0
    .kernarg_segment_align: 8
    .kernarg_segment_size: 56
    .language:       OpenCL C
    .language_version:
      - 2
      - 0
    .max_flat_workgroup_size: 1024
    .name:           _ZN7rocprim17ROCPRIM_400000_NS6detail17trampoline_kernelINS0_14default_configENS1_25transform_config_selectorIdLb0EEEZNS1_14transform_implILb0ES3_S5_NS0_18transform_iteratorINS0_17counting_iteratorImlEEZNS1_24adjacent_difference_implIS3_Lb1ELb0EPKdPdN6thrust23THRUST_200600_302600_NS4plusIdEEEE10hipError_tPvRmT2_T3_mT4_P12ihipStream_tbEUlmE_dEESD_NS0_8identityIvEEEESI_SL_SM_mSN_SP_bEUlT_E_NS1_11comp_targetILNS1_3genE2ELNS1_11target_archE906ELNS1_3gpuE6ELNS1_3repE0EEENS1_30default_config_static_selectorELNS0_4arch9wavefront6targetE0EEEvT1_
    .private_segment_fixed_size: 0
    .sgpr_count:     0
    .sgpr_spill_count: 0
    .symbol:         _ZN7rocprim17ROCPRIM_400000_NS6detail17trampoline_kernelINS0_14default_configENS1_25transform_config_selectorIdLb0EEEZNS1_14transform_implILb0ES3_S5_NS0_18transform_iteratorINS0_17counting_iteratorImlEEZNS1_24adjacent_difference_implIS3_Lb1ELb0EPKdPdN6thrust23THRUST_200600_302600_NS4plusIdEEEE10hipError_tPvRmT2_T3_mT4_P12ihipStream_tbEUlmE_dEESD_NS0_8identityIvEEEESI_SL_SM_mSN_SP_bEUlT_E_NS1_11comp_targetILNS1_3genE2ELNS1_11target_archE906ELNS1_3gpuE6ELNS1_3repE0EEENS1_30default_config_static_selectorELNS0_4arch9wavefront6targetE0EEEvT1_.kd
    .uniform_work_group_size: 1
    .uses_dynamic_stack: false
    .vgpr_count:     0
    .vgpr_spill_count: 0
    .wavefront_size: 32
    .workgroup_processor_mode: 1
  - .args:
      - .offset:         0
        .size:           56
        .value_kind:     by_value
    .group_segment_fixed_size: 0
    .kernarg_segment_align: 8
    .kernarg_segment_size: 56
    .language:       OpenCL C
    .language_version:
      - 2
      - 0
    .max_flat_workgroup_size: 64
    .name:           _ZN7rocprim17ROCPRIM_400000_NS6detail17trampoline_kernelINS0_14default_configENS1_25transform_config_selectorIdLb0EEEZNS1_14transform_implILb0ES3_S5_NS0_18transform_iteratorINS0_17counting_iteratorImlEEZNS1_24adjacent_difference_implIS3_Lb1ELb0EPKdPdN6thrust23THRUST_200600_302600_NS4plusIdEEEE10hipError_tPvRmT2_T3_mT4_P12ihipStream_tbEUlmE_dEESD_NS0_8identityIvEEEESI_SL_SM_mSN_SP_bEUlT_E_NS1_11comp_targetILNS1_3genE10ELNS1_11target_archE1201ELNS1_3gpuE5ELNS1_3repE0EEENS1_30default_config_static_selectorELNS0_4arch9wavefront6targetE0EEEvT1_
    .private_segment_fixed_size: 0
    .sgpr_count:     0
    .sgpr_spill_count: 0
    .symbol:         _ZN7rocprim17ROCPRIM_400000_NS6detail17trampoline_kernelINS0_14default_configENS1_25transform_config_selectorIdLb0EEEZNS1_14transform_implILb0ES3_S5_NS0_18transform_iteratorINS0_17counting_iteratorImlEEZNS1_24adjacent_difference_implIS3_Lb1ELb0EPKdPdN6thrust23THRUST_200600_302600_NS4plusIdEEEE10hipError_tPvRmT2_T3_mT4_P12ihipStream_tbEUlmE_dEESD_NS0_8identityIvEEEESI_SL_SM_mSN_SP_bEUlT_E_NS1_11comp_targetILNS1_3genE10ELNS1_11target_archE1201ELNS1_3gpuE5ELNS1_3repE0EEENS1_30default_config_static_selectorELNS0_4arch9wavefront6targetE0EEEvT1_.kd
    .uniform_work_group_size: 1
    .uses_dynamic_stack: false
    .vgpr_count:     0
    .vgpr_spill_count: 0
    .wavefront_size: 32
    .workgroup_processor_mode: 1
  - .args:
      - .offset:         0
        .size:           56
        .value_kind:     by_value
    .group_segment_fixed_size: 0
    .kernarg_segment_align: 8
    .kernarg_segment_size: 56
    .language:       OpenCL C
    .language_version:
      - 2
      - 0
    .max_flat_workgroup_size: 512
    .name:           _ZN7rocprim17ROCPRIM_400000_NS6detail17trampoline_kernelINS0_14default_configENS1_25transform_config_selectorIdLb0EEEZNS1_14transform_implILb0ES3_S5_NS0_18transform_iteratorINS0_17counting_iteratorImlEEZNS1_24adjacent_difference_implIS3_Lb1ELb0EPKdPdN6thrust23THRUST_200600_302600_NS4plusIdEEEE10hipError_tPvRmT2_T3_mT4_P12ihipStream_tbEUlmE_dEESD_NS0_8identityIvEEEESI_SL_SM_mSN_SP_bEUlT_E_NS1_11comp_targetILNS1_3genE10ELNS1_11target_archE1200ELNS1_3gpuE4ELNS1_3repE0EEENS1_30default_config_static_selectorELNS0_4arch9wavefront6targetE0EEEvT1_
    .private_segment_fixed_size: 0
    .sgpr_count:     0
    .sgpr_spill_count: 0
    .symbol:         _ZN7rocprim17ROCPRIM_400000_NS6detail17trampoline_kernelINS0_14default_configENS1_25transform_config_selectorIdLb0EEEZNS1_14transform_implILb0ES3_S5_NS0_18transform_iteratorINS0_17counting_iteratorImlEEZNS1_24adjacent_difference_implIS3_Lb1ELb0EPKdPdN6thrust23THRUST_200600_302600_NS4plusIdEEEE10hipError_tPvRmT2_T3_mT4_P12ihipStream_tbEUlmE_dEESD_NS0_8identityIvEEEESI_SL_SM_mSN_SP_bEUlT_E_NS1_11comp_targetILNS1_3genE10ELNS1_11target_archE1200ELNS1_3gpuE4ELNS1_3repE0EEENS1_30default_config_static_selectorELNS0_4arch9wavefront6targetE0EEEvT1_.kd
    .uniform_work_group_size: 1
    .uses_dynamic_stack: false
    .vgpr_count:     0
    .vgpr_spill_count: 0
    .wavefront_size: 32
    .workgroup_processor_mode: 1
  - .args:
      - .offset:         0
        .size:           56
        .value_kind:     by_value
      - .offset:         56
        .size:           4
        .value_kind:     hidden_block_count_x
      - .offset:         60
        .size:           4
        .value_kind:     hidden_block_count_y
      - .offset:         64
        .size:           4
        .value_kind:     hidden_block_count_z
      - .offset:         68
        .size:           2
        .value_kind:     hidden_group_size_x
      - .offset:         70
        .size:           2
        .value_kind:     hidden_group_size_y
      - .offset:         72
        .size:           2
        .value_kind:     hidden_group_size_z
      - .offset:         74
        .size:           2
        .value_kind:     hidden_remainder_x
      - .offset:         76
        .size:           2
        .value_kind:     hidden_remainder_y
      - .offset:         78
        .size:           2
        .value_kind:     hidden_remainder_z
      - .offset:         96
        .size:           8
        .value_kind:     hidden_global_offset_x
      - .offset:         104
        .size:           8
        .value_kind:     hidden_global_offset_y
      - .offset:         112
        .size:           8
        .value_kind:     hidden_global_offset_z
      - .offset:         120
        .size:           2
        .value_kind:     hidden_grid_dims
    .group_segment_fixed_size: 0
    .kernarg_segment_align: 8
    .kernarg_segment_size: 312
    .language:       OpenCL C
    .language_version:
      - 2
      - 0
    .max_flat_workgroup_size: 512
    .name:           _ZN7rocprim17ROCPRIM_400000_NS6detail17trampoline_kernelINS0_14default_configENS1_25transform_config_selectorIdLb0EEEZNS1_14transform_implILb0ES3_S5_NS0_18transform_iteratorINS0_17counting_iteratorImlEEZNS1_24adjacent_difference_implIS3_Lb1ELb0EPKdPdN6thrust23THRUST_200600_302600_NS4plusIdEEEE10hipError_tPvRmT2_T3_mT4_P12ihipStream_tbEUlmE_dEESD_NS0_8identityIvEEEESI_SL_SM_mSN_SP_bEUlT_E_NS1_11comp_targetILNS1_3genE9ELNS1_11target_archE1100ELNS1_3gpuE3ELNS1_3repE0EEENS1_30default_config_static_selectorELNS0_4arch9wavefront6targetE0EEEvT1_
    .private_segment_fixed_size: 0
    .sgpr_count:     18
    .sgpr_spill_count: 0
    .symbol:         _ZN7rocprim17ROCPRIM_400000_NS6detail17trampoline_kernelINS0_14default_configENS1_25transform_config_selectorIdLb0EEEZNS1_14transform_implILb0ES3_S5_NS0_18transform_iteratorINS0_17counting_iteratorImlEEZNS1_24adjacent_difference_implIS3_Lb1ELb0EPKdPdN6thrust23THRUST_200600_302600_NS4plusIdEEEE10hipError_tPvRmT2_T3_mT4_P12ihipStream_tbEUlmE_dEESD_NS0_8identityIvEEEESI_SL_SM_mSN_SP_bEUlT_E_NS1_11comp_targetILNS1_3genE9ELNS1_11target_archE1100ELNS1_3gpuE3ELNS1_3repE0EEENS1_30default_config_static_selectorELNS0_4arch9wavefront6targetE0EEEvT1_.kd
    .uniform_work_group_size: 1
    .uses_dynamic_stack: false
    .vgpr_count:     6
    .vgpr_spill_count: 0
    .wavefront_size: 32
    .workgroup_processor_mode: 1
  - .args:
      - .offset:         0
        .size:           56
        .value_kind:     by_value
    .group_segment_fixed_size: 0
    .kernarg_segment_align: 8
    .kernarg_segment_size: 56
    .language:       OpenCL C
    .language_version:
      - 2
      - 0
    .max_flat_workgroup_size: 512
    .name:           _ZN7rocprim17ROCPRIM_400000_NS6detail17trampoline_kernelINS0_14default_configENS1_25transform_config_selectorIdLb0EEEZNS1_14transform_implILb0ES3_S5_NS0_18transform_iteratorINS0_17counting_iteratorImlEEZNS1_24adjacent_difference_implIS3_Lb1ELb0EPKdPdN6thrust23THRUST_200600_302600_NS4plusIdEEEE10hipError_tPvRmT2_T3_mT4_P12ihipStream_tbEUlmE_dEESD_NS0_8identityIvEEEESI_SL_SM_mSN_SP_bEUlT_E_NS1_11comp_targetILNS1_3genE8ELNS1_11target_archE1030ELNS1_3gpuE2ELNS1_3repE0EEENS1_30default_config_static_selectorELNS0_4arch9wavefront6targetE0EEEvT1_
    .private_segment_fixed_size: 0
    .sgpr_count:     0
    .sgpr_spill_count: 0
    .symbol:         _ZN7rocprim17ROCPRIM_400000_NS6detail17trampoline_kernelINS0_14default_configENS1_25transform_config_selectorIdLb0EEEZNS1_14transform_implILb0ES3_S5_NS0_18transform_iteratorINS0_17counting_iteratorImlEEZNS1_24adjacent_difference_implIS3_Lb1ELb0EPKdPdN6thrust23THRUST_200600_302600_NS4plusIdEEEE10hipError_tPvRmT2_T3_mT4_P12ihipStream_tbEUlmE_dEESD_NS0_8identityIvEEEESI_SL_SM_mSN_SP_bEUlT_E_NS1_11comp_targetILNS1_3genE8ELNS1_11target_archE1030ELNS1_3gpuE2ELNS1_3repE0EEENS1_30default_config_static_selectorELNS0_4arch9wavefront6targetE0EEEvT1_.kd
    .uniform_work_group_size: 1
    .uses_dynamic_stack: false
    .vgpr_count:     0
    .vgpr_spill_count: 0
    .wavefront_size: 32
    .workgroup_processor_mode: 1
  - .args:
      - .offset:         0
        .size:           56
        .value_kind:     by_value
    .group_segment_fixed_size: 0
    .kernarg_segment_align: 8
    .kernarg_segment_size: 56
    .language:       OpenCL C
    .language_version:
      - 2
      - 0
    .max_flat_workgroup_size: 512
    .name:           _ZN7rocprim17ROCPRIM_400000_NS6detail17trampoline_kernelINS0_14default_configENS1_35adjacent_difference_config_selectorILb1EdEEZNS1_24adjacent_difference_implIS3_Lb1ELb0EPKdPdN6thrust23THRUST_200600_302600_NS4plusIdEEEE10hipError_tPvRmT2_T3_mT4_P12ihipStream_tbEUlT_E_NS1_11comp_targetILNS1_3genE0ELNS1_11target_archE4294967295ELNS1_3gpuE0ELNS1_3repE0EEENS1_30default_config_static_selectorELNS0_4arch9wavefront6targetE0EEEvT1_
    .private_segment_fixed_size: 0
    .sgpr_count:     0
    .sgpr_spill_count: 0
    .symbol:         _ZN7rocprim17ROCPRIM_400000_NS6detail17trampoline_kernelINS0_14default_configENS1_35adjacent_difference_config_selectorILb1EdEEZNS1_24adjacent_difference_implIS3_Lb1ELb0EPKdPdN6thrust23THRUST_200600_302600_NS4plusIdEEEE10hipError_tPvRmT2_T3_mT4_P12ihipStream_tbEUlT_E_NS1_11comp_targetILNS1_3genE0ELNS1_11target_archE4294967295ELNS1_3gpuE0ELNS1_3repE0EEENS1_30default_config_static_selectorELNS0_4arch9wavefront6targetE0EEEvT1_.kd
    .uniform_work_group_size: 1
    .uses_dynamic_stack: false
    .vgpr_count:     0
    .vgpr_spill_count: 0
    .wavefront_size: 32
    .workgroup_processor_mode: 1
  - .args:
      - .offset:         0
        .size:           56
        .value_kind:     by_value
    .group_segment_fixed_size: 0
    .kernarg_segment_align: 8
    .kernarg_segment_size: 56
    .language:       OpenCL C
    .language_version:
      - 2
      - 0
    .max_flat_workgroup_size: 256
    .name:           _ZN7rocprim17ROCPRIM_400000_NS6detail17trampoline_kernelINS0_14default_configENS1_35adjacent_difference_config_selectorILb1EdEEZNS1_24adjacent_difference_implIS3_Lb1ELb0EPKdPdN6thrust23THRUST_200600_302600_NS4plusIdEEEE10hipError_tPvRmT2_T3_mT4_P12ihipStream_tbEUlT_E_NS1_11comp_targetILNS1_3genE10ELNS1_11target_archE1201ELNS1_3gpuE5ELNS1_3repE0EEENS1_30default_config_static_selectorELNS0_4arch9wavefront6targetE0EEEvT1_
    .private_segment_fixed_size: 0
    .sgpr_count:     0
    .sgpr_spill_count: 0
    .symbol:         _ZN7rocprim17ROCPRIM_400000_NS6detail17trampoline_kernelINS0_14default_configENS1_35adjacent_difference_config_selectorILb1EdEEZNS1_24adjacent_difference_implIS3_Lb1ELb0EPKdPdN6thrust23THRUST_200600_302600_NS4plusIdEEEE10hipError_tPvRmT2_T3_mT4_P12ihipStream_tbEUlT_E_NS1_11comp_targetILNS1_3genE10ELNS1_11target_archE1201ELNS1_3gpuE5ELNS1_3repE0EEENS1_30default_config_static_selectorELNS0_4arch9wavefront6targetE0EEEvT1_.kd
    .uniform_work_group_size: 1
    .uses_dynamic_stack: false
    .vgpr_count:     0
    .vgpr_spill_count: 0
    .wavefront_size: 32
    .workgroup_processor_mode: 1
  - .args:
      - .offset:         0
        .size:           56
        .value_kind:     by_value
    .group_segment_fixed_size: 0
    .kernarg_segment_align: 8
    .kernarg_segment_size: 56
    .language:       OpenCL C
    .language_version:
      - 2
      - 0
    .max_flat_workgroup_size: 128
    .name:           _ZN7rocprim17ROCPRIM_400000_NS6detail17trampoline_kernelINS0_14default_configENS1_35adjacent_difference_config_selectorILb1EdEEZNS1_24adjacent_difference_implIS3_Lb1ELb0EPKdPdN6thrust23THRUST_200600_302600_NS4plusIdEEEE10hipError_tPvRmT2_T3_mT4_P12ihipStream_tbEUlT_E_NS1_11comp_targetILNS1_3genE5ELNS1_11target_archE942ELNS1_3gpuE9ELNS1_3repE0EEENS1_30default_config_static_selectorELNS0_4arch9wavefront6targetE0EEEvT1_
    .private_segment_fixed_size: 0
    .sgpr_count:     0
    .sgpr_spill_count: 0
    .symbol:         _ZN7rocprim17ROCPRIM_400000_NS6detail17trampoline_kernelINS0_14default_configENS1_35adjacent_difference_config_selectorILb1EdEEZNS1_24adjacent_difference_implIS3_Lb1ELb0EPKdPdN6thrust23THRUST_200600_302600_NS4plusIdEEEE10hipError_tPvRmT2_T3_mT4_P12ihipStream_tbEUlT_E_NS1_11comp_targetILNS1_3genE5ELNS1_11target_archE942ELNS1_3gpuE9ELNS1_3repE0EEENS1_30default_config_static_selectorELNS0_4arch9wavefront6targetE0EEEvT1_.kd
    .uniform_work_group_size: 1
    .uses_dynamic_stack: false
    .vgpr_count:     0
    .vgpr_spill_count: 0
    .wavefront_size: 32
    .workgroup_processor_mode: 1
  - .args:
      - .offset:         0
        .size:           56
        .value_kind:     by_value
    .group_segment_fixed_size: 0
    .kernarg_segment_align: 8
    .kernarg_segment_size: 56
    .language:       OpenCL C
    .language_version:
      - 2
      - 0
    .max_flat_workgroup_size: 512
    .name:           _ZN7rocprim17ROCPRIM_400000_NS6detail17trampoline_kernelINS0_14default_configENS1_35adjacent_difference_config_selectorILb1EdEEZNS1_24adjacent_difference_implIS3_Lb1ELb0EPKdPdN6thrust23THRUST_200600_302600_NS4plusIdEEEE10hipError_tPvRmT2_T3_mT4_P12ihipStream_tbEUlT_E_NS1_11comp_targetILNS1_3genE4ELNS1_11target_archE910ELNS1_3gpuE8ELNS1_3repE0EEENS1_30default_config_static_selectorELNS0_4arch9wavefront6targetE0EEEvT1_
    .private_segment_fixed_size: 0
    .sgpr_count:     0
    .sgpr_spill_count: 0
    .symbol:         _ZN7rocprim17ROCPRIM_400000_NS6detail17trampoline_kernelINS0_14default_configENS1_35adjacent_difference_config_selectorILb1EdEEZNS1_24adjacent_difference_implIS3_Lb1ELb0EPKdPdN6thrust23THRUST_200600_302600_NS4plusIdEEEE10hipError_tPvRmT2_T3_mT4_P12ihipStream_tbEUlT_E_NS1_11comp_targetILNS1_3genE4ELNS1_11target_archE910ELNS1_3gpuE8ELNS1_3repE0EEENS1_30default_config_static_selectorELNS0_4arch9wavefront6targetE0EEEvT1_.kd
    .uniform_work_group_size: 1
    .uses_dynamic_stack: false
    .vgpr_count:     0
    .vgpr_spill_count: 0
    .wavefront_size: 32
    .workgroup_processor_mode: 1
  - .args:
      - .offset:         0
        .size:           56
        .value_kind:     by_value
    .group_segment_fixed_size: 0
    .kernarg_segment_align: 8
    .kernarg_segment_size: 56
    .language:       OpenCL C
    .language_version:
      - 2
      - 0
    .max_flat_workgroup_size: 512
    .name:           _ZN7rocprim17ROCPRIM_400000_NS6detail17trampoline_kernelINS0_14default_configENS1_35adjacent_difference_config_selectorILb1EdEEZNS1_24adjacent_difference_implIS3_Lb1ELb0EPKdPdN6thrust23THRUST_200600_302600_NS4plusIdEEEE10hipError_tPvRmT2_T3_mT4_P12ihipStream_tbEUlT_E_NS1_11comp_targetILNS1_3genE3ELNS1_11target_archE908ELNS1_3gpuE7ELNS1_3repE0EEENS1_30default_config_static_selectorELNS0_4arch9wavefront6targetE0EEEvT1_
    .private_segment_fixed_size: 0
    .sgpr_count:     0
    .sgpr_spill_count: 0
    .symbol:         _ZN7rocprim17ROCPRIM_400000_NS6detail17trampoline_kernelINS0_14default_configENS1_35adjacent_difference_config_selectorILb1EdEEZNS1_24adjacent_difference_implIS3_Lb1ELb0EPKdPdN6thrust23THRUST_200600_302600_NS4plusIdEEEE10hipError_tPvRmT2_T3_mT4_P12ihipStream_tbEUlT_E_NS1_11comp_targetILNS1_3genE3ELNS1_11target_archE908ELNS1_3gpuE7ELNS1_3repE0EEENS1_30default_config_static_selectorELNS0_4arch9wavefront6targetE0EEEvT1_.kd
    .uniform_work_group_size: 1
    .uses_dynamic_stack: false
    .vgpr_count:     0
    .vgpr_spill_count: 0
    .wavefront_size: 32
    .workgroup_processor_mode: 1
  - .args:
      - .offset:         0
        .size:           56
        .value_kind:     by_value
    .group_segment_fixed_size: 0
    .kernarg_segment_align: 8
    .kernarg_segment_size: 56
    .language:       OpenCL C
    .language_version:
      - 2
      - 0
    .max_flat_workgroup_size: 128
    .name:           _ZN7rocprim17ROCPRIM_400000_NS6detail17trampoline_kernelINS0_14default_configENS1_35adjacent_difference_config_selectorILb1EdEEZNS1_24adjacent_difference_implIS3_Lb1ELb0EPKdPdN6thrust23THRUST_200600_302600_NS4plusIdEEEE10hipError_tPvRmT2_T3_mT4_P12ihipStream_tbEUlT_E_NS1_11comp_targetILNS1_3genE2ELNS1_11target_archE906ELNS1_3gpuE6ELNS1_3repE0EEENS1_30default_config_static_selectorELNS0_4arch9wavefront6targetE0EEEvT1_
    .private_segment_fixed_size: 0
    .sgpr_count:     0
    .sgpr_spill_count: 0
    .symbol:         _ZN7rocprim17ROCPRIM_400000_NS6detail17trampoline_kernelINS0_14default_configENS1_35adjacent_difference_config_selectorILb1EdEEZNS1_24adjacent_difference_implIS3_Lb1ELb0EPKdPdN6thrust23THRUST_200600_302600_NS4plusIdEEEE10hipError_tPvRmT2_T3_mT4_P12ihipStream_tbEUlT_E_NS1_11comp_targetILNS1_3genE2ELNS1_11target_archE906ELNS1_3gpuE6ELNS1_3repE0EEENS1_30default_config_static_selectorELNS0_4arch9wavefront6targetE0EEEvT1_.kd
    .uniform_work_group_size: 1
    .uses_dynamic_stack: false
    .vgpr_count:     0
    .vgpr_spill_count: 0
    .wavefront_size: 32
    .workgroup_processor_mode: 1
  - .args:
      - .offset:         0
        .size:           56
        .value_kind:     by_value
    .group_segment_fixed_size: 29696
    .kernarg_segment_align: 8
    .kernarg_segment_size: 56
    .language:       OpenCL C
    .language_version:
      - 2
      - 0
    .max_flat_workgroup_size: 128
    .name:           _ZN7rocprim17ROCPRIM_400000_NS6detail17trampoline_kernelINS0_14default_configENS1_35adjacent_difference_config_selectorILb1EdEEZNS1_24adjacent_difference_implIS3_Lb1ELb0EPKdPdN6thrust23THRUST_200600_302600_NS4plusIdEEEE10hipError_tPvRmT2_T3_mT4_P12ihipStream_tbEUlT_E_NS1_11comp_targetILNS1_3genE9ELNS1_11target_archE1100ELNS1_3gpuE3ELNS1_3repE0EEENS1_30default_config_static_selectorELNS0_4arch9wavefront6targetE0EEEvT1_
    .private_segment_fixed_size: 0
    .sgpr_count:     28
    .sgpr_spill_count: 0
    .symbol:         _ZN7rocprim17ROCPRIM_400000_NS6detail17trampoline_kernelINS0_14default_configENS1_35adjacent_difference_config_selectorILb1EdEEZNS1_24adjacent_difference_implIS3_Lb1ELb0EPKdPdN6thrust23THRUST_200600_302600_NS4plusIdEEEE10hipError_tPvRmT2_T3_mT4_P12ihipStream_tbEUlT_E_NS1_11comp_targetILNS1_3genE9ELNS1_11target_archE1100ELNS1_3gpuE3ELNS1_3repE0EEENS1_30default_config_static_selectorELNS0_4arch9wavefront6targetE0EEEvT1_.kd
    .uniform_work_group_size: 1
    .uses_dynamic_stack: false
    .vgpr_count:     148
    .vgpr_spill_count: 0
    .wavefront_size: 32
    .workgroup_processor_mode: 1
  - .args:
      - .offset:         0
        .size:           56
        .value_kind:     by_value
    .group_segment_fixed_size: 0
    .kernarg_segment_align: 8
    .kernarg_segment_size: 56
    .language:       OpenCL C
    .language_version:
      - 2
      - 0
    .max_flat_workgroup_size: 32
    .name:           _ZN7rocprim17ROCPRIM_400000_NS6detail17trampoline_kernelINS0_14default_configENS1_35adjacent_difference_config_selectorILb1EdEEZNS1_24adjacent_difference_implIS3_Lb1ELb0EPKdPdN6thrust23THRUST_200600_302600_NS4plusIdEEEE10hipError_tPvRmT2_T3_mT4_P12ihipStream_tbEUlT_E_NS1_11comp_targetILNS1_3genE8ELNS1_11target_archE1030ELNS1_3gpuE2ELNS1_3repE0EEENS1_30default_config_static_selectorELNS0_4arch9wavefront6targetE0EEEvT1_
    .private_segment_fixed_size: 0
    .sgpr_count:     0
    .sgpr_spill_count: 0
    .symbol:         _ZN7rocprim17ROCPRIM_400000_NS6detail17trampoline_kernelINS0_14default_configENS1_35adjacent_difference_config_selectorILb1EdEEZNS1_24adjacent_difference_implIS3_Lb1ELb0EPKdPdN6thrust23THRUST_200600_302600_NS4plusIdEEEE10hipError_tPvRmT2_T3_mT4_P12ihipStream_tbEUlT_E_NS1_11comp_targetILNS1_3genE8ELNS1_11target_archE1030ELNS1_3gpuE2ELNS1_3repE0EEENS1_30default_config_static_selectorELNS0_4arch9wavefront6targetE0EEEvT1_.kd
    .uniform_work_group_size: 1
    .uses_dynamic_stack: false
    .vgpr_count:     0
    .vgpr_spill_count: 0
    .wavefront_size: 32
    .workgroup_processor_mode: 1
  - .args:
      - .offset:         0
        .size:           56
        .value_kind:     by_value
    .group_segment_fixed_size: 0
    .kernarg_segment_align: 8
    .kernarg_segment_size: 56
    .language:       OpenCL C
    .language_version:
      - 2
      - 0
    .max_flat_workgroup_size: 128
    .name:           _ZN7rocprim17ROCPRIM_400000_NS6detail17trampoline_kernelINS0_14default_configENS1_35adjacent_difference_config_selectorILb0EfEEZNS1_24adjacent_difference_implIS3_Lb0ELb0EPKfPfN6thrust23THRUST_200600_302600_NS4plusIfEEEE10hipError_tPvRmT2_T3_mT4_P12ihipStream_tbEUlT_E_NS1_11comp_targetILNS1_3genE0ELNS1_11target_archE4294967295ELNS1_3gpuE0ELNS1_3repE0EEENS1_30default_config_static_selectorELNS0_4arch9wavefront6targetE0EEEvT1_
    .private_segment_fixed_size: 0
    .sgpr_count:     0
    .sgpr_spill_count: 0
    .symbol:         _ZN7rocprim17ROCPRIM_400000_NS6detail17trampoline_kernelINS0_14default_configENS1_35adjacent_difference_config_selectorILb0EfEEZNS1_24adjacent_difference_implIS3_Lb0ELb0EPKfPfN6thrust23THRUST_200600_302600_NS4plusIfEEEE10hipError_tPvRmT2_T3_mT4_P12ihipStream_tbEUlT_E_NS1_11comp_targetILNS1_3genE0ELNS1_11target_archE4294967295ELNS1_3gpuE0ELNS1_3repE0EEENS1_30default_config_static_selectorELNS0_4arch9wavefront6targetE0EEEvT1_.kd
    .uniform_work_group_size: 1
    .uses_dynamic_stack: false
    .vgpr_count:     0
    .vgpr_spill_count: 0
    .wavefront_size: 32
    .workgroup_processor_mode: 1
  - .args:
      - .offset:         0
        .size:           56
        .value_kind:     by_value
    .group_segment_fixed_size: 0
    .kernarg_segment_align: 8
    .kernarg_segment_size: 56
    .language:       OpenCL C
    .language_version:
      - 2
      - 0
    .max_flat_workgroup_size: 1024
    .name:           _ZN7rocprim17ROCPRIM_400000_NS6detail17trampoline_kernelINS0_14default_configENS1_35adjacent_difference_config_selectorILb0EfEEZNS1_24adjacent_difference_implIS3_Lb0ELb0EPKfPfN6thrust23THRUST_200600_302600_NS4plusIfEEEE10hipError_tPvRmT2_T3_mT4_P12ihipStream_tbEUlT_E_NS1_11comp_targetILNS1_3genE10ELNS1_11target_archE1201ELNS1_3gpuE5ELNS1_3repE0EEENS1_30default_config_static_selectorELNS0_4arch9wavefront6targetE0EEEvT1_
    .private_segment_fixed_size: 0
    .sgpr_count:     0
    .sgpr_spill_count: 0
    .symbol:         _ZN7rocprim17ROCPRIM_400000_NS6detail17trampoline_kernelINS0_14default_configENS1_35adjacent_difference_config_selectorILb0EfEEZNS1_24adjacent_difference_implIS3_Lb0ELb0EPKfPfN6thrust23THRUST_200600_302600_NS4plusIfEEEE10hipError_tPvRmT2_T3_mT4_P12ihipStream_tbEUlT_E_NS1_11comp_targetILNS1_3genE10ELNS1_11target_archE1201ELNS1_3gpuE5ELNS1_3repE0EEENS1_30default_config_static_selectorELNS0_4arch9wavefront6targetE0EEEvT1_.kd
    .uniform_work_group_size: 1
    .uses_dynamic_stack: false
    .vgpr_count:     0
    .vgpr_spill_count: 0
    .wavefront_size: 32
    .workgroup_processor_mode: 1
  - .args:
      - .offset:         0
        .size:           56
        .value_kind:     by_value
    .group_segment_fixed_size: 0
    .kernarg_segment_align: 8
    .kernarg_segment_size: 56
    .language:       OpenCL C
    .language_version:
      - 2
      - 0
    .max_flat_workgroup_size: 64
    .name:           _ZN7rocprim17ROCPRIM_400000_NS6detail17trampoline_kernelINS0_14default_configENS1_35adjacent_difference_config_selectorILb0EfEEZNS1_24adjacent_difference_implIS3_Lb0ELb0EPKfPfN6thrust23THRUST_200600_302600_NS4plusIfEEEE10hipError_tPvRmT2_T3_mT4_P12ihipStream_tbEUlT_E_NS1_11comp_targetILNS1_3genE5ELNS1_11target_archE942ELNS1_3gpuE9ELNS1_3repE0EEENS1_30default_config_static_selectorELNS0_4arch9wavefront6targetE0EEEvT1_
    .private_segment_fixed_size: 0
    .sgpr_count:     0
    .sgpr_spill_count: 0
    .symbol:         _ZN7rocprim17ROCPRIM_400000_NS6detail17trampoline_kernelINS0_14default_configENS1_35adjacent_difference_config_selectorILb0EfEEZNS1_24adjacent_difference_implIS3_Lb0ELb0EPKfPfN6thrust23THRUST_200600_302600_NS4plusIfEEEE10hipError_tPvRmT2_T3_mT4_P12ihipStream_tbEUlT_E_NS1_11comp_targetILNS1_3genE5ELNS1_11target_archE942ELNS1_3gpuE9ELNS1_3repE0EEENS1_30default_config_static_selectorELNS0_4arch9wavefront6targetE0EEEvT1_.kd
    .uniform_work_group_size: 1
    .uses_dynamic_stack: false
    .vgpr_count:     0
    .vgpr_spill_count: 0
    .wavefront_size: 32
    .workgroup_processor_mode: 1
  - .args:
      - .offset:         0
        .size:           56
        .value_kind:     by_value
    .group_segment_fixed_size: 0
    .kernarg_segment_align: 8
    .kernarg_segment_size: 56
    .language:       OpenCL C
    .language_version:
      - 2
      - 0
    .max_flat_workgroup_size: 512
    .name:           _ZN7rocprim17ROCPRIM_400000_NS6detail17trampoline_kernelINS0_14default_configENS1_35adjacent_difference_config_selectorILb0EfEEZNS1_24adjacent_difference_implIS3_Lb0ELb0EPKfPfN6thrust23THRUST_200600_302600_NS4plusIfEEEE10hipError_tPvRmT2_T3_mT4_P12ihipStream_tbEUlT_E_NS1_11comp_targetILNS1_3genE4ELNS1_11target_archE910ELNS1_3gpuE8ELNS1_3repE0EEENS1_30default_config_static_selectorELNS0_4arch9wavefront6targetE0EEEvT1_
    .private_segment_fixed_size: 0
    .sgpr_count:     0
    .sgpr_spill_count: 0
    .symbol:         _ZN7rocprim17ROCPRIM_400000_NS6detail17trampoline_kernelINS0_14default_configENS1_35adjacent_difference_config_selectorILb0EfEEZNS1_24adjacent_difference_implIS3_Lb0ELb0EPKfPfN6thrust23THRUST_200600_302600_NS4plusIfEEEE10hipError_tPvRmT2_T3_mT4_P12ihipStream_tbEUlT_E_NS1_11comp_targetILNS1_3genE4ELNS1_11target_archE910ELNS1_3gpuE8ELNS1_3repE0EEENS1_30default_config_static_selectorELNS0_4arch9wavefront6targetE0EEEvT1_.kd
    .uniform_work_group_size: 1
    .uses_dynamic_stack: false
    .vgpr_count:     0
    .vgpr_spill_count: 0
    .wavefront_size: 32
    .workgroup_processor_mode: 1
  - .args:
      - .offset:         0
        .size:           56
        .value_kind:     by_value
    .group_segment_fixed_size: 0
    .kernarg_segment_align: 8
    .kernarg_segment_size: 56
    .language:       OpenCL C
    .language_version:
      - 2
      - 0
    .max_flat_workgroup_size: 128
    .name:           _ZN7rocprim17ROCPRIM_400000_NS6detail17trampoline_kernelINS0_14default_configENS1_35adjacent_difference_config_selectorILb0EfEEZNS1_24adjacent_difference_implIS3_Lb0ELb0EPKfPfN6thrust23THRUST_200600_302600_NS4plusIfEEEE10hipError_tPvRmT2_T3_mT4_P12ihipStream_tbEUlT_E_NS1_11comp_targetILNS1_3genE3ELNS1_11target_archE908ELNS1_3gpuE7ELNS1_3repE0EEENS1_30default_config_static_selectorELNS0_4arch9wavefront6targetE0EEEvT1_
    .private_segment_fixed_size: 0
    .sgpr_count:     0
    .sgpr_spill_count: 0
    .symbol:         _ZN7rocprim17ROCPRIM_400000_NS6detail17trampoline_kernelINS0_14default_configENS1_35adjacent_difference_config_selectorILb0EfEEZNS1_24adjacent_difference_implIS3_Lb0ELb0EPKfPfN6thrust23THRUST_200600_302600_NS4plusIfEEEE10hipError_tPvRmT2_T3_mT4_P12ihipStream_tbEUlT_E_NS1_11comp_targetILNS1_3genE3ELNS1_11target_archE908ELNS1_3gpuE7ELNS1_3repE0EEENS1_30default_config_static_selectorELNS0_4arch9wavefront6targetE0EEEvT1_.kd
    .uniform_work_group_size: 1
    .uses_dynamic_stack: false
    .vgpr_count:     0
    .vgpr_spill_count: 0
    .wavefront_size: 32
    .workgroup_processor_mode: 1
  - .args:
      - .offset:         0
        .size:           56
        .value_kind:     by_value
    .group_segment_fixed_size: 0
    .kernarg_segment_align: 8
    .kernarg_segment_size: 56
    .language:       OpenCL C
    .language_version:
      - 2
      - 0
    .max_flat_workgroup_size: 1024
    .name:           _ZN7rocprim17ROCPRIM_400000_NS6detail17trampoline_kernelINS0_14default_configENS1_35adjacent_difference_config_selectorILb0EfEEZNS1_24adjacent_difference_implIS3_Lb0ELb0EPKfPfN6thrust23THRUST_200600_302600_NS4plusIfEEEE10hipError_tPvRmT2_T3_mT4_P12ihipStream_tbEUlT_E_NS1_11comp_targetILNS1_3genE2ELNS1_11target_archE906ELNS1_3gpuE6ELNS1_3repE0EEENS1_30default_config_static_selectorELNS0_4arch9wavefront6targetE0EEEvT1_
    .private_segment_fixed_size: 0
    .sgpr_count:     0
    .sgpr_spill_count: 0
    .symbol:         _ZN7rocprim17ROCPRIM_400000_NS6detail17trampoline_kernelINS0_14default_configENS1_35adjacent_difference_config_selectorILb0EfEEZNS1_24adjacent_difference_implIS3_Lb0ELb0EPKfPfN6thrust23THRUST_200600_302600_NS4plusIfEEEE10hipError_tPvRmT2_T3_mT4_P12ihipStream_tbEUlT_E_NS1_11comp_targetILNS1_3genE2ELNS1_11target_archE906ELNS1_3gpuE6ELNS1_3repE0EEENS1_30default_config_static_selectorELNS0_4arch9wavefront6targetE0EEEvT1_.kd
    .uniform_work_group_size: 1
    .uses_dynamic_stack: false
    .vgpr_count:     0
    .vgpr_spill_count: 0
    .wavefront_size: 32
    .workgroup_processor_mode: 1
  - .args:
      - .offset:         0
        .size:           56
        .value_kind:     by_value
    .group_segment_fixed_size: 20480
    .kernarg_segment_align: 8
    .kernarg_segment_size: 56
    .language:       OpenCL C
    .language_version:
      - 2
      - 0
    .max_flat_workgroup_size: 1024
    .name:           _ZN7rocprim17ROCPRIM_400000_NS6detail17trampoline_kernelINS0_14default_configENS1_35adjacent_difference_config_selectorILb0EfEEZNS1_24adjacent_difference_implIS3_Lb0ELb0EPKfPfN6thrust23THRUST_200600_302600_NS4plusIfEEEE10hipError_tPvRmT2_T3_mT4_P12ihipStream_tbEUlT_E_NS1_11comp_targetILNS1_3genE9ELNS1_11target_archE1100ELNS1_3gpuE3ELNS1_3repE0EEENS1_30default_config_static_selectorELNS0_4arch9wavefront6targetE0EEEvT1_
    .private_segment_fixed_size: 0
    .sgpr_count:     23
    .sgpr_spill_count: 0
    .symbol:         _ZN7rocprim17ROCPRIM_400000_NS6detail17trampoline_kernelINS0_14default_configENS1_35adjacent_difference_config_selectorILb0EfEEZNS1_24adjacent_difference_implIS3_Lb0ELb0EPKfPfN6thrust23THRUST_200600_302600_NS4plusIfEEEE10hipError_tPvRmT2_T3_mT4_P12ihipStream_tbEUlT_E_NS1_11comp_targetILNS1_3genE9ELNS1_11target_archE1100ELNS1_3gpuE3ELNS1_3repE0EEENS1_30default_config_static_selectorELNS0_4arch9wavefront6targetE0EEEvT1_.kd
    .uniform_work_group_size: 1
    .uses_dynamic_stack: false
    .vgpr_count:     17
    .vgpr_spill_count: 0
    .wavefront_size: 32
    .workgroup_processor_mode: 1
  - .args:
      - .offset:         0
        .size:           56
        .value_kind:     by_value
    .group_segment_fixed_size: 0
    .kernarg_segment_align: 8
    .kernarg_segment_size: 56
    .language:       OpenCL C
    .language_version:
      - 2
      - 0
    .max_flat_workgroup_size: 1024
    .name:           _ZN7rocprim17ROCPRIM_400000_NS6detail17trampoline_kernelINS0_14default_configENS1_35adjacent_difference_config_selectorILb0EfEEZNS1_24adjacent_difference_implIS3_Lb0ELb0EPKfPfN6thrust23THRUST_200600_302600_NS4plusIfEEEE10hipError_tPvRmT2_T3_mT4_P12ihipStream_tbEUlT_E_NS1_11comp_targetILNS1_3genE8ELNS1_11target_archE1030ELNS1_3gpuE2ELNS1_3repE0EEENS1_30default_config_static_selectorELNS0_4arch9wavefront6targetE0EEEvT1_
    .private_segment_fixed_size: 0
    .sgpr_count:     0
    .sgpr_spill_count: 0
    .symbol:         _ZN7rocprim17ROCPRIM_400000_NS6detail17trampoline_kernelINS0_14default_configENS1_35adjacent_difference_config_selectorILb0EfEEZNS1_24adjacent_difference_implIS3_Lb0ELb0EPKfPfN6thrust23THRUST_200600_302600_NS4plusIfEEEE10hipError_tPvRmT2_T3_mT4_P12ihipStream_tbEUlT_E_NS1_11comp_targetILNS1_3genE8ELNS1_11target_archE1030ELNS1_3gpuE2ELNS1_3repE0EEENS1_30default_config_static_selectorELNS0_4arch9wavefront6targetE0EEEvT1_.kd
    .uniform_work_group_size: 1
    .uses_dynamic_stack: false
    .vgpr_count:     0
    .vgpr_spill_count: 0
    .wavefront_size: 32
    .workgroup_processor_mode: 1
  - .args:
      - .offset:         0
        .size:           56
        .value_kind:     by_value
    .group_segment_fixed_size: 0
    .kernarg_segment_align: 8
    .kernarg_segment_size: 56
    .language:       OpenCL C
    .language_version:
      - 2
      - 0
    .max_flat_workgroup_size: 128
    .name:           _ZN7rocprim17ROCPRIM_400000_NS6detail17trampoline_kernelINS0_14default_configENS1_25transform_config_selectorIfLb0EEEZNS1_14transform_implILb0ES3_S5_NS0_18transform_iteratorINS0_17counting_iteratorImlEEZNS1_24adjacent_difference_implIS3_Lb1ELb0EPKfPfN6thrust23THRUST_200600_302600_NS4plusIfEEEE10hipError_tPvRmT2_T3_mT4_P12ihipStream_tbEUlmE_fEESD_NS0_8identityIvEEEESI_SL_SM_mSN_SP_bEUlT_E_NS1_11comp_targetILNS1_3genE0ELNS1_11target_archE4294967295ELNS1_3gpuE0ELNS1_3repE0EEENS1_30default_config_static_selectorELNS0_4arch9wavefront6targetE0EEEvT1_
    .private_segment_fixed_size: 0
    .sgpr_count:     0
    .sgpr_spill_count: 0
    .symbol:         _ZN7rocprim17ROCPRIM_400000_NS6detail17trampoline_kernelINS0_14default_configENS1_25transform_config_selectorIfLb0EEEZNS1_14transform_implILb0ES3_S5_NS0_18transform_iteratorINS0_17counting_iteratorImlEEZNS1_24adjacent_difference_implIS3_Lb1ELb0EPKfPfN6thrust23THRUST_200600_302600_NS4plusIfEEEE10hipError_tPvRmT2_T3_mT4_P12ihipStream_tbEUlmE_fEESD_NS0_8identityIvEEEESI_SL_SM_mSN_SP_bEUlT_E_NS1_11comp_targetILNS1_3genE0ELNS1_11target_archE4294967295ELNS1_3gpuE0ELNS1_3repE0EEENS1_30default_config_static_selectorELNS0_4arch9wavefront6targetE0EEEvT1_.kd
    .uniform_work_group_size: 1
    .uses_dynamic_stack: false
    .vgpr_count:     0
    .vgpr_spill_count: 0
    .wavefront_size: 32
    .workgroup_processor_mode: 1
  - .args:
      - .offset:         0
        .size:           56
        .value_kind:     by_value
    .group_segment_fixed_size: 0
    .kernarg_segment_align: 8
    .kernarg_segment_size: 56
    .language:       OpenCL C
    .language_version:
      - 2
      - 0
    .max_flat_workgroup_size: 256
    .name:           _ZN7rocprim17ROCPRIM_400000_NS6detail17trampoline_kernelINS0_14default_configENS1_25transform_config_selectorIfLb0EEEZNS1_14transform_implILb0ES3_S5_NS0_18transform_iteratorINS0_17counting_iteratorImlEEZNS1_24adjacent_difference_implIS3_Lb1ELb0EPKfPfN6thrust23THRUST_200600_302600_NS4plusIfEEEE10hipError_tPvRmT2_T3_mT4_P12ihipStream_tbEUlmE_fEESD_NS0_8identityIvEEEESI_SL_SM_mSN_SP_bEUlT_E_NS1_11comp_targetILNS1_3genE5ELNS1_11target_archE942ELNS1_3gpuE9ELNS1_3repE0EEENS1_30default_config_static_selectorELNS0_4arch9wavefront6targetE0EEEvT1_
    .private_segment_fixed_size: 0
    .sgpr_count:     0
    .sgpr_spill_count: 0
    .symbol:         _ZN7rocprim17ROCPRIM_400000_NS6detail17trampoline_kernelINS0_14default_configENS1_25transform_config_selectorIfLb0EEEZNS1_14transform_implILb0ES3_S5_NS0_18transform_iteratorINS0_17counting_iteratorImlEEZNS1_24adjacent_difference_implIS3_Lb1ELb0EPKfPfN6thrust23THRUST_200600_302600_NS4plusIfEEEE10hipError_tPvRmT2_T3_mT4_P12ihipStream_tbEUlmE_fEESD_NS0_8identityIvEEEESI_SL_SM_mSN_SP_bEUlT_E_NS1_11comp_targetILNS1_3genE5ELNS1_11target_archE942ELNS1_3gpuE9ELNS1_3repE0EEENS1_30default_config_static_selectorELNS0_4arch9wavefront6targetE0EEEvT1_.kd
    .uniform_work_group_size: 1
    .uses_dynamic_stack: false
    .vgpr_count:     0
    .vgpr_spill_count: 0
    .wavefront_size: 32
    .workgroup_processor_mode: 1
  - .args:
      - .offset:         0
        .size:           56
        .value_kind:     by_value
    .group_segment_fixed_size: 0
    .kernarg_segment_align: 8
    .kernarg_segment_size: 56
    .language:       OpenCL C
    .language_version:
      - 2
      - 0
    .max_flat_workgroup_size: 1024
    .name:           _ZN7rocprim17ROCPRIM_400000_NS6detail17trampoline_kernelINS0_14default_configENS1_25transform_config_selectorIfLb0EEEZNS1_14transform_implILb0ES3_S5_NS0_18transform_iteratorINS0_17counting_iteratorImlEEZNS1_24adjacent_difference_implIS3_Lb1ELb0EPKfPfN6thrust23THRUST_200600_302600_NS4plusIfEEEE10hipError_tPvRmT2_T3_mT4_P12ihipStream_tbEUlmE_fEESD_NS0_8identityIvEEEESI_SL_SM_mSN_SP_bEUlT_E_NS1_11comp_targetILNS1_3genE4ELNS1_11target_archE910ELNS1_3gpuE8ELNS1_3repE0EEENS1_30default_config_static_selectorELNS0_4arch9wavefront6targetE0EEEvT1_
    .private_segment_fixed_size: 0
    .sgpr_count:     0
    .sgpr_spill_count: 0
    .symbol:         _ZN7rocprim17ROCPRIM_400000_NS6detail17trampoline_kernelINS0_14default_configENS1_25transform_config_selectorIfLb0EEEZNS1_14transform_implILb0ES3_S5_NS0_18transform_iteratorINS0_17counting_iteratorImlEEZNS1_24adjacent_difference_implIS3_Lb1ELb0EPKfPfN6thrust23THRUST_200600_302600_NS4plusIfEEEE10hipError_tPvRmT2_T3_mT4_P12ihipStream_tbEUlmE_fEESD_NS0_8identityIvEEEESI_SL_SM_mSN_SP_bEUlT_E_NS1_11comp_targetILNS1_3genE4ELNS1_11target_archE910ELNS1_3gpuE8ELNS1_3repE0EEENS1_30default_config_static_selectorELNS0_4arch9wavefront6targetE0EEEvT1_.kd
    .uniform_work_group_size: 1
    .uses_dynamic_stack: false
    .vgpr_count:     0
    .vgpr_spill_count: 0
    .wavefront_size: 32
    .workgroup_processor_mode: 1
  - .args:
      - .offset:         0
        .size:           56
        .value_kind:     by_value
    .group_segment_fixed_size: 0
    .kernarg_segment_align: 8
    .kernarg_segment_size: 56
    .language:       OpenCL C
    .language_version:
      - 2
      - 0
    .max_flat_workgroup_size: 128
    .name:           _ZN7rocprim17ROCPRIM_400000_NS6detail17trampoline_kernelINS0_14default_configENS1_25transform_config_selectorIfLb0EEEZNS1_14transform_implILb0ES3_S5_NS0_18transform_iteratorINS0_17counting_iteratorImlEEZNS1_24adjacent_difference_implIS3_Lb1ELb0EPKfPfN6thrust23THRUST_200600_302600_NS4plusIfEEEE10hipError_tPvRmT2_T3_mT4_P12ihipStream_tbEUlmE_fEESD_NS0_8identityIvEEEESI_SL_SM_mSN_SP_bEUlT_E_NS1_11comp_targetILNS1_3genE3ELNS1_11target_archE908ELNS1_3gpuE7ELNS1_3repE0EEENS1_30default_config_static_selectorELNS0_4arch9wavefront6targetE0EEEvT1_
    .private_segment_fixed_size: 0
    .sgpr_count:     0
    .sgpr_spill_count: 0
    .symbol:         _ZN7rocprim17ROCPRIM_400000_NS6detail17trampoline_kernelINS0_14default_configENS1_25transform_config_selectorIfLb0EEEZNS1_14transform_implILb0ES3_S5_NS0_18transform_iteratorINS0_17counting_iteratorImlEEZNS1_24adjacent_difference_implIS3_Lb1ELb0EPKfPfN6thrust23THRUST_200600_302600_NS4plusIfEEEE10hipError_tPvRmT2_T3_mT4_P12ihipStream_tbEUlmE_fEESD_NS0_8identityIvEEEESI_SL_SM_mSN_SP_bEUlT_E_NS1_11comp_targetILNS1_3genE3ELNS1_11target_archE908ELNS1_3gpuE7ELNS1_3repE0EEENS1_30default_config_static_selectorELNS0_4arch9wavefront6targetE0EEEvT1_.kd
    .uniform_work_group_size: 1
    .uses_dynamic_stack: false
    .vgpr_count:     0
    .vgpr_spill_count: 0
    .wavefront_size: 32
    .workgroup_processor_mode: 1
  - .args:
      - .offset:         0
        .size:           56
        .value_kind:     by_value
    .group_segment_fixed_size: 0
    .kernarg_segment_align: 8
    .kernarg_segment_size: 56
    .language:       OpenCL C
    .language_version:
      - 2
      - 0
    .max_flat_workgroup_size: 1024
    .name:           _ZN7rocprim17ROCPRIM_400000_NS6detail17trampoline_kernelINS0_14default_configENS1_25transform_config_selectorIfLb0EEEZNS1_14transform_implILb0ES3_S5_NS0_18transform_iteratorINS0_17counting_iteratorImlEEZNS1_24adjacent_difference_implIS3_Lb1ELb0EPKfPfN6thrust23THRUST_200600_302600_NS4plusIfEEEE10hipError_tPvRmT2_T3_mT4_P12ihipStream_tbEUlmE_fEESD_NS0_8identityIvEEEESI_SL_SM_mSN_SP_bEUlT_E_NS1_11comp_targetILNS1_3genE2ELNS1_11target_archE906ELNS1_3gpuE6ELNS1_3repE0EEENS1_30default_config_static_selectorELNS0_4arch9wavefront6targetE0EEEvT1_
    .private_segment_fixed_size: 0
    .sgpr_count:     0
    .sgpr_spill_count: 0
    .symbol:         _ZN7rocprim17ROCPRIM_400000_NS6detail17trampoline_kernelINS0_14default_configENS1_25transform_config_selectorIfLb0EEEZNS1_14transform_implILb0ES3_S5_NS0_18transform_iteratorINS0_17counting_iteratorImlEEZNS1_24adjacent_difference_implIS3_Lb1ELb0EPKfPfN6thrust23THRUST_200600_302600_NS4plusIfEEEE10hipError_tPvRmT2_T3_mT4_P12ihipStream_tbEUlmE_fEESD_NS0_8identityIvEEEESI_SL_SM_mSN_SP_bEUlT_E_NS1_11comp_targetILNS1_3genE2ELNS1_11target_archE906ELNS1_3gpuE6ELNS1_3repE0EEENS1_30default_config_static_selectorELNS0_4arch9wavefront6targetE0EEEvT1_.kd
    .uniform_work_group_size: 1
    .uses_dynamic_stack: false
    .vgpr_count:     0
    .vgpr_spill_count: 0
    .wavefront_size: 32
    .workgroup_processor_mode: 1
  - .args:
      - .offset:         0
        .size:           56
        .value_kind:     by_value
    .group_segment_fixed_size: 0
    .kernarg_segment_align: 8
    .kernarg_segment_size: 56
    .language:       OpenCL C
    .language_version:
      - 2
      - 0
    .max_flat_workgroup_size: 512
    .name:           _ZN7rocprim17ROCPRIM_400000_NS6detail17trampoline_kernelINS0_14default_configENS1_25transform_config_selectorIfLb0EEEZNS1_14transform_implILb0ES3_S5_NS0_18transform_iteratorINS0_17counting_iteratorImlEEZNS1_24adjacent_difference_implIS3_Lb1ELb0EPKfPfN6thrust23THRUST_200600_302600_NS4plusIfEEEE10hipError_tPvRmT2_T3_mT4_P12ihipStream_tbEUlmE_fEESD_NS0_8identityIvEEEESI_SL_SM_mSN_SP_bEUlT_E_NS1_11comp_targetILNS1_3genE10ELNS1_11target_archE1201ELNS1_3gpuE5ELNS1_3repE0EEENS1_30default_config_static_selectorELNS0_4arch9wavefront6targetE0EEEvT1_
    .private_segment_fixed_size: 0
    .sgpr_count:     0
    .sgpr_spill_count: 0
    .symbol:         _ZN7rocprim17ROCPRIM_400000_NS6detail17trampoline_kernelINS0_14default_configENS1_25transform_config_selectorIfLb0EEEZNS1_14transform_implILb0ES3_S5_NS0_18transform_iteratorINS0_17counting_iteratorImlEEZNS1_24adjacent_difference_implIS3_Lb1ELb0EPKfPfN6thrust23THRUST_200600_302600_NS4plusIfEEEE10hipError_tPvRmT2_T3_mT4_P12ihipStream_tbEUlmE_fEESD_NS0_8identityIvEEEESI_SL_SM_mSN_SP_bEUlT_E_NS1_11comp_targetILNS1_3genE10ELNS1_11target_archE1201ELNS1_3gpuE5ELNS1_3repE0EEENS1_30default_config_static_selectorELNS0_4arch9wavefront6targetE0EEEvT1_.kd
    .uniform_work_group_size: 1
    .uses_dynamic_stack: false
    .vgpr_count:     0
    .vgpr_spill_count: 0
    .wavefront_size: 32
    .workgroup_processor_mode: 1
  - .args:
      - .offset:         0
        .size:           56
        .value_kind:     by_value
    .group_segment_fixed_size: 0
    .kernarg_segment_align: 8
    .kernarg_segment_size: 56
    .language:       OpenCL C
    .language_version:
      - 2
      - 0
    .max_flat_workgroup_size: 512
    .name:           _ZN7rocprim17ROCPRIM_400000_NS6detail17trampoline_kernelINS0_14default_configENS1_25transform_config_selectorIfLb0EEEZNS1_14transform_implILb0ES3_S5_NS0_18transform_iteratorINS0_17counting_iteratorImlEEZNS1_24adjacent_difference_implIS3_Lb1ELb0EPKfPfN6thrust23THRUST_200600_302600_NS4plusIfEEEE10hipError_tPvRmT2_T3_mT4_P12ihipStream_tbEUlmE_fEESD_NS0_8identityIvEEEESI_SL_SM_mSN_SP_bEUlT_E_NS1_11comp_targetILNS1_3genE10ELNS1_11target_archE1200ELNS1_3gpuE4ELNS1_3repE0EEENS1_30default_config_static_selectorELNS0_4arch9wavefront6targetE0EEEvT1_
    .private_segment_fixed_size: 0
    .sgpr_count:     0
    .sgpr_spill_count: 0
    .symbol:         _ZN7rocprim17ROCPRIM_400000_NS6detail17trampoline_kernelINS0_14default_configENS1_25transform_config_selectorIfLb0EEEZNS1_14transform_implILb0ES3_S5_NS0_18transform_iteratorINS0_17counting_iteratorImlEEZNS1_24adjacent_difference_implIS3_Lb1ELb0EPKfPfN6thrust23THRUST_200600_302600_NS4plusIfEEEE10hipError_tPvRmT2_T3_mT4_P12ihipStream_tbEUlmE_fEESD_NS0_8identityIvEEEESI_SL_SM_mSN_SP_bEUlT_E_NS1_11comp_targetILNS1_3genE10ELNS1_11target_archE1200ELNS1_3gpuE4ELNS1_3repE0EEENS1_30default_config_static_selectorELNS0_4arch9wavefront6targetE0EEEvT1_.kd
    .uniform_work_group_size: 1
    .uses_dynamic_stack: false
    .vgpr_count:     0
    .vgpr_spill_count: 0
    .wavefront_size: 32
    .workgroup_processor_mode: 1
  - .args:
      - .offset:         0
        .size:           56
        .value_kind:     by_value
      - .offset:         56
        .size:           4
        .value_kind:     hidden_block_count_x
      - .offset:         60
        .size:           4
        .value_kind:     hidden_block_count_y
      - .offset:         64
        .size:           4
        .value_kind:     hidden_block_count_z
      - .offset:         68
        .size:           2
        .value_kind:     hidden_group_size_x
      - .offset:         70
        .size:           2
        .value_kind:     hidden_group_size_y
      - .offset:         72
        .size:           2
        .value_kind:     hidden_group_size_z
      - .offset:         74
        .size:           2
        .value_kind:     hidden_remainder_x
      - .offset:         76
        .size:           2
        .value_kind:     hidden_remainder_y
      - .offset:         78
        .size:           2
        .value_kind:     hidden_remainder_z
      - .offset:         96
        .size:           8
        .value_kind:     hidden_global_offset_x
      - .offset:         104
        .size:           8
        .value_kind:     hidden_global_offset_y
      - .offset:         112
        .size:           8
        .value_kind:     hidden_global_offset_z
      - .offset:         120
        .size:           2
        .value_kind:     hidden_grid_dims
    .group_segment_fixed_size: 0
    .kernarg_segment_align: 8
    .kernarg_segment_size: 312
    .language:       OpenCL C
    .language_version:
      - 2
      - 0
    .max_flat_workgroup_size: 1024
    .name:           _ZN7rocprim17ROCPRIM_400000_NS6detail17trampoline_kernelINS0_14default_configENS1_25transform_config_selectorIfLb0EEEZNS1_14transform_implILb0ES3_S5_NS0_18transform_iteratorINS0_17counting_iteratorImlEEZNS1_24adjacent_difference_implIS3_Lb1ELb0EPKfPfN6thrust23THRUST_200600_302600_NS4plusIfEEEE10hipError_tPvRmT2_T3_mT4_P12ihipStream_tbEUlmE_fEESD_NS0_8identityIvEEEESI_SL_SM_mSN_SP_bEUlT_E_NS1_11comp_targetILNS1_3genE9ELNS1_11target_archE1100ELNS1_3gpuE3ELNS1_3repE0EEENS1_30default_config_static_selectorELNS0_4arch9wavefront6targetE0EEEvT1_
    .private_segment_fixed_size: 0
    .sgpr_count:     18
    .sgpr_spill_count: 0
    .symbol:         _ZN7rocprim17ROCPRIM_400000_NS6detail17trampoline_kernelINS0_14default_configENS1_25transform_config_selectorIfLb0EEEZNS1_14transform_implILb0ES3_S5_NS0_18transform_iteratorINS0_17counting_iteratorImlEEZNS1_24adjacent_difference_implIS3_Lb1ELb0EPKfPfN6thrust23THRUST_200600_302600_NS4plusIfEEEE10hipError_tPvRmT2_T3_mT4_P12ihipStream_tbEUlmE_fEESD_NS0_8identityIvEEEESI_SL_SM_mSN_SP_bEUlT_E_NS1_11comp_targetILNS1_3genE9ELNS1_11target_archE1100ELNS1_3gpuE3ELNS1_3repE0EEENS1_30default_config_static_selectorELNS0_4arch9wavefront6targetE0EEEvT1_.kd
    .uniform_work_group_size: 1
    .uses_dynamic_stack: false
    .vgpr_count:     6
    .vgpr_spill_count: 0
    .wavefront_size: 32
    .workgroup_processor_mode: 1
  - .args:
      - .offset:         0
        .size:           56
        .value_kind:     by_value
    .group_segment_fixed_size: 0
    .kernarg_segment_align: 8
    .kernarg_segment_size: 56
    .language:       OpenCL C
    .language_version:
      - 2
      - 0
    .max_flat_workgroup_size: 256
    .name:           _ZN7rocprim17ROCPRIM_400000_NS6detail17trampoline_kernelINS0_14default_configENS1_25transform_config_selectorIfLb0EEEZNS1_14transform_implILb0ES3_S5_NS0_18transform_iteratorINS0_17counting_iteratorImlEEZNS1_24adjacent_difference_implIS3_Lb1ELb0EPKfPfN6thrust23THRUST_200600_302600_NS4plusIfEEEE10hipError_tPvRmT2_T3_mT4_P12ihipStream_tbEUlmE_fEESD_NS0_8identityIvEEEESI_SL_SM_mSN_SP_bEUlT_E_NS1_11comp_targetILNS1_3genE8ELNS1_11target_archE1030ELNS1_3gpuE2ELNS1_3repE0EEENS1_30default_config_static_selectorELNS0_4arch9wavefront6targetE0EEEvT1_
    .private_segment_fixed_size: 0
    .sgpr_count:     0
    .sgpr_spill_count: 0
    .symbol:         _ZN7rocprim17ROCPRIM_400000_NS6detail17trampoline_kernelINS0_14default_configENS1_25transform_config_selectorIfLb0EEEZNS1_14transform_implILb0ES3_S5_NS0_18transform_iteratorINS0_17counting_iteratorImlEEZNS1_24adjacent_difference_implIS3_Lb1ELb0EPKfPfN6thrust23THRUST_200600_302600_NS4plusIfEEEE10hipError_tPvRmT2_T3_mT4_P12ihipStream_tbEUlmE_fEESD_NS0_8identityIvEEEESI_SL_SM_mSN_SP_bEUlT_E_NS1_11comp_targetILNS1_3genE8ELNS1_11target_archE1030ELNS1_3gpuE2ELNS1_3repE0EEENS1_30default_config_static_selectorELNS0_4arch9wavefront6targetE0EEEvT1_.kd
    .uniform_work_group_size: 1
    .uses_dynamic_stack: false
    .vgpr_count:     0
    .vgpr_spill_count: 0
    .wavefront_size: 32
    .workgroup_processor_mode: 1
  - .args:
      - .offset:         0
        .size:           56
        .value_kind:     by_value
    .group_segment_fixed_size: 0
    .kernarg_segment_align: 8
    .kernarg_segment_size: 56
    .language:       OpenCL C
    .language_version:
      - 2
      - 0
    .max_flat_workgroup_size: 1024
    .name:           _ZN7rocprim17ROCPRIM_400000_NS6detail17trampoline_kernelINS0_14default_configENS1_35adjacent_difference_config_selectorILb1EfEEZNS1_24adjacent_difference_implIS3_Lb1ELb0EPKfPfN6thrust23THRUST_200600_302600_NS4plusIfEEEE10hipError_tPvRmT2_T3_mT4_P12ihipStream_tbEUlT_E_NS1_11comp_targetILNS1_3genE0ELNS1_11target_archE4294967295ELNS1_3gpuE0ELNS1_3repE0EEENS1_30default_config_static_selectorELNS0_4arch9wavefront6targetE0EEEvT1_
    .private_segment_fixed_size: 0
    .sgpr_count:     0
    .sgpr_spill_count: 0
    .symbol:         _ZN7rocprim17ROCPRIM_400000_NS6detail17trampoline_kernelINS0_14default_configENS1_35adjacent_difference_config_selectorILb1EfEEZNS1_24adjacent_difference_implIS3_Lb1ELb0EPKfPfN6thrust23THRUST_200600_302600_NS4plusIfEEEE10hipError_tPvRmT2_T3_mT4_P12ihipStream_tbEUlT_E_NS1_11comp_targetILNS1_3genE0ELNS1_11target_archE4294967295ELNS1_3gpuE0ELNS1_3repE0EEENS1_30default_config_static_selectorELNS0_4arch9wavefront6targetE0EEEvT1_.kd
    .uniform_work_group_size: 1
    .uses_dynamic_stack: false
    .vgpr_count:     0
    .vgpr_spill_count: 0
    .wavefront_size: 32
    .workgroup_processor_mode: 1
  - .args:
      - .offset:         0
        .size:           56
        .value_kind:     by_value
    .group_segment_fixed_size: 0
    .kernarg_segment_align: 8
    .kernarg_segment_size: 56
    .language:       OpenCL C
    .language_version:
      - 2
      - 0
    .max_flat_workgroup_size: 128
    .name:           _ZN7rocprim17ROCPRIM_400000_NS6detail17trampoline_kernelINS0_14default_configENS1_35adjacent_difference_config_selectorILb1EfEEZNS1_24adjacent_difference_implIS3_Lb1ELb0EPKfPfN6thrust23THRUST_200600_302600_NS4plusIfEEEE10hipError_tPvRmT2_T3_mT4_P12ihipStream_tbEUlT_E_NS1_11comp_targetILNS1_3genE10ELNS1_11target_archE1201ELNS1_3gpuE5ELNS1_3repE0EEENS1_30default_config_static_selectorELNS0_4arch9wavefront6targetE0EEEvT1_
    .private_segment_fixed_size: 0
    .sgpr_count:     0
    .sgpr_spill_count: 0
    .symbol:         _ZN7rocprim17ROCPRIM_400000_NS6detail17trampoline_kernelINS0_14default_configENS1_35adjacent_difference_config_selectorILb1EfEEZNS1_24adjacent_difference_implIS3_Lb1ELb0EPKfPfN6thrust23THRUST_200600_302600_NS4plusIfEEEE10hipError_tPvRmT2_T3_mT4_P12ihipStream_tbEUlT_E_NS1_11comp_targetILNS1_3genE10ELNS1_11target_archE1201ELNS1_3gpuE5ELNS1_3repE0EEENS1_30default_config_static_selectorELNS0_4arch9wavefront6targetE0EEEvT1_.kd
    .uniform_work_group_size: 1
    .uses_dynamic_stack: false
    .vgpr_count:     0
    .vgpr_spill_count: 0
    .wavefront_size: 32
    .workgroup_processor_mode: 1
  - .args:
      - .offset:         0
        .size:           56
        .value_kind:     by_value
    .group_segment_fixed_size: 0
    .kernarg_segment_align: 8
    .kernarg_segment_size: 56
    .language:       OpenCL C
    .language_version:
      - 2
      - 0
    .max_flat_workgroup_size: 256
    .name:           _ZN7rocprim17ROCPRIM_400000_NS6detail17trampoline_kernelINS0_14default_configENS1_35adjacent_difference_config_selectorILb1EfEEZNS1_24adjacent_difference_implIS3_Lb1ELb0EPKfPfN6thrust23THRUST_200600_302600_NS4plusIfEEEE10hipError_tPvRmT2_T3_mT4_P12ihipStream_tbEUlT_E_NS1_11comp_targetILNS1_3genE5ELNS1_11target_archE942ELNS1_3gpuE9ELNS1_3repE0EEENS1_30default_config_static_selectorELNS0_4arch9wavefront6targetE0EEEvT1_
    .private_segment_fixed_size: 0
    .sgpr_count:     0
    .sgpr_spill_count: 0
    .symbol:         _ZN7rocprim17ROCPRIM_400000_NS6detail17trampoline_kernelINS0_14default_configENS1_35adjacent_difference_config_selectorILb1EfEEZNS1_24adjacent_difference_implIS3_Lb1ELb0EPKfPfN6thrust23THRUST_200600_302600_NS4plusIfEEEE10hipError_tPvRmT2_T3_mT4_P12ihipStream_tbEUlT_E_NS1_11comp_targetILNS1_3genE5ELNS1_11target_archE942ELNS1_3gpuE9ELNS1_3repE0EEENS1_30default_config_static_selectorELNS0_4arch9wavefront6targetE0EEEvT1_.kd
    .uniform_work_group_size: 1
    .uses_dynamic_stack: false
    .vgpr_count:     0
    .vgpr_spill_count: 0
    .wavefront_size: 32
    .workgroup_processor_mode: 1
  - .args:
      - .offset:         0
        .size:           56
        .value_kind:     by_value
    .group_segment_fixed_size: 0
    .kernarg_segment_align: 8
    .kernarg_segment_size: 56
    .language:       OpenCL C
    .language_version:
      - 2
      - 0
    .max_flat_workgroup_size: 512
    .name:           _ZN7rocprim17ROCPRIM_400000_NS6detail17trampoline_kernelINS0_14default_configENS1_35adjacent_difference_config_selectorILb1EfEEZNS1_24adjacent_difference_implIS3_Lb1ELb0EPKfPfN6thrust23THRUST_200600_302600_NS4plusIfEEEE10hipError_tPvRmT2_T3_mT4_P12ihipStream_tbEUlT_E_NS1_11comp_targetILNS1_3genE4ELNS1_11target_archE910ELNS1_3gpuE8ELNS1_3repE0EEENS1_30default_config_static_selectorELNS0_4arch9wavefront6targetE0EEEvT1_
    .private_segment_fixed_size: 0
    .sgpr_count:     0
    .sgpr_spill_count: 0
    .symbol:         _ZN7rocprim17ROCPRIM_400000_NS6detail17trampoline_kernelINS0_14default_configENS1_35adjacent_difference_config_selectorILb1EfEEZNS1_24adjacent_difference_implIS3_Lb1ELb0EPKfPfN6thrust23THRUST_200600_302600_NS4plusIfEEEE10hipError_tPvRmT2_T3_mT4_P12ihipStream_tbEUlT_E_NS1_11comp_targetILNS1_3genE4ELNS1_11target_archE910ELNS1_3gpuE8ELNS1_3repE0EEENS1_30default_config_static_selectorELNS0_4arch9wavefront6targetE0EEEvT1_.kd
    .uniform_work_group_size: 1
    .uses_dynamic_stack: false
    .vgpr_count:     0
    .vgpr_spill_count: 0
    .wavefront_size: 32
    .workgroup_processor_mode: 1
  - .args:
      - .offset:         0
        .size:           56
        .value_kind:     by_value
    .group_segment_fixed_size: 0
    .kernarg_segment_align: 8
    .kernarg_segment_size: 56
    .language:       OpenCL C
    .language_version:
      - 2
      - 0
    .max_flat_workgroup_size: 1024
    .name:           _ZN7rocprim17ROCPRIM_400000_NS6detail17trampoline_kernelINS0_14default_configENS1_35adjacent_difference_config_selectorILb1EfEEZNS1_24adjacent_difference_implIS3_Lb1ELb0EPKfPfN6thrust23THRUST_200600_302600_NS4plusIfEEEE10hipError_tPvRmT2_T3_mT4_P12ihipStream_tbEUlT_E_NS1_11comp_targetILNS1_3genE3ELNS1_11target_archE908ELNS1_3gpuE7ELNS1_3repE0EEENS1_30default_config_static_selectorELNS0_4arch9wavefront6targetE0EEEvT1_
    .private_segment_fixed_size: 0
    .sgpr_count:     0
    .sgpr_spill_count: 0
    .symbol:         _ZN7rocprim17ROCPRIM_400000_NS6detail17trampoline_kernelINS0_14default_configENS1_35adjacent_difference_config_selectorILb1EfEEZNS1_24adjacent_difference_implIS3_Lb1ELb0EPKfPfN6thrust23THRUST_200600_302600_NS4plusIfEEEE10hipError_tPvRmT2_T3_mT4_P12ihipStream_tbEUlT_E_NS1_11comp_targetILNS1_3genE3ELNS1_11target_archE908ELNS1_3gpuE7ELNS1_3repE0EEENS1_30default_config_static_selectorELNS0_4arch9wavefront6targetE0EEEvT1_.kd
    .uniform_work_group_size: 1
    .uses_dynamic_stack: false
    .vgpr_count:     0
    .vgpr_spill_count: 0
    .wavefront_size: 32
    .workgroup_processor_mode: 1
  - .args:
      - .offset:         0
        .size:           56
        .value_kind:     by_value
    .group_segment_fixed_size: 0
    .kernarg_segment_align: 8
    .kernarg_segment_size: 56
    .language:       OpenCL C
    .language_version:
      - 2
      - 0
    .max_flat_workgroup_size: 256
    .name:           _ZN7rocprim17ROCPRIM_400000_NS6detail17trampoline_kernelINS0_14default_configENS1_35adjacent_difference_config_selectorILb1EfEEZNS1_24adjacent_difference_implIS3_Lb1ELb0EPKfPfN6thrust23THRUST_200600_302600_NS4plusIfEEEE10hipError_tPvRmT2_T3_mT4_P12ihipStream_tbEUlT_E_NS1_11comp_targetILNS1_3genE2ELNS1_11target_archE906ELNS1_3gpuE6ELNS1_3repE0EEENS1_30default_config_static_selectorELNS0_4arch9wavefront6targetE0EEEvT1_
    .private_segment_fixed_size: 0
    .sgpr_count:     0
    .sgpr_spill_count: 0
    .symbol:         _ZN7rocprim17ROCPRIM_400000_NS6detail17trampoline_kernelINS0_14default_configENS1_35adjacent_difference_config_selectorILb1EfEEZNS1_24adjacent_difference_implIS3_Lb1ELb0EPKfPfN6thrust23THRUST_200600_302600_NS4plusIfEEEE10hipError_tPvRmT2_T3_mT4_P12ihipStream_tbEUlT_E_NS1_11comp_targetILNS1_3genE2ELNS1_11target_archE906ELNS1_3gpuE6ELNS1_3repE0EEENS1_30default_config_static_selectorELNS0_4arch9wavefront6targetE0EEEvT1_.kd
    .uniform_work_group_size: 1
    .uses_dynamic_stack: false
    .vgpr_count:     0
    .vgpr_spill_count: 0
    .wavefront_size: 32
    .workgroup_processor_mode: 1
  - .args:
      - .offset:         0
        .size:           56
        .value_kind:     by_value
    .group_segment_fixed_size: 14848
    .kernarg_segment_align: 8
    .kernarg_segment_size: 56
    .language:       OpenCL C
    .language_version:
      - 2
      - 0
    .max_flat_workgroup_size: 128
    .name:           _ZN7rocprim17ROCPRIM_400000_NS6detail17trampoline_kernelINS0_14default_configENS1_35adjacent_difference_config_selectorILb1EfEEZNS1_24adjacent_difference_implIS3_Lb1ELb0EPKfPfN6thrust23THRUST_200600_302600_NS4plusIfEEEE10hipError_tPvRmT2_T3_mT4_P12ihipStream_tbEUlT_E_NS1_11comp_targetILNS1_3genE9ELNS1_11target_archE1100ELNS1_3gpuE3ELNS1_3repE0EEENS1_30default_config_static_selectorELNS0_4arch9wavefront6targetE0EEEvT1_
    .private_segment_fixed_size: 0
    .sgpr_count:     46
    .sgpr_spill_count: 0
    .symbol:         _ZN7rocprim17ROCPRIM_400000_NS6detail17trampoline_kernelINS0_14default_configENS1_35adjacent_difference_config_selectorILb1EfEEZNS1_24adjacent_difference_implIS3_Lb1ELb0EPKfPfN6thrust23THRUST_200600_302600_NS4plusIfEEEE10hipError_tPvRmT2_T3_mT4_P12ihipStream_tbEUlT_E_NS1_11comp_targetILNS1_3genE9ELNS1_11target_archE1100ELNS1_3gpuE3ELNS1_3repE0EEENS1_30default_config_static_selectorELNS0_4arch9wavefront6targetE0EEEvT1_.kd
    .uniform_work_group_size: 1
    .uses_dynamic_stack: false
    .vgpr_count:     64
    .vgpr_spill_count: 0
    .wavefront_size: 32
    .workgroup_processor_mode: 1
  - .args:
      - .offset:         0
        .size:           56
        .value_kind:     by_value
    .group_segment_fixed_size: 0
    .kernarg_segment_align: 8
    .kernarg_segment_size: 56
    .language:       OpenCL C
    .language_version:
      - 2
      - 0
    .max_flat_workgroup_size: 32
    .name:           _ZN7rocprim17ROCPRIM_400000_NS6detail17trampoline_kernelINS0_14default_configENS1_35adjacent_difference_config_selectorILb1EfEEZNS1_24adjacent_difference_implIS3_Lb1ELb0EPKfPfN6thrust23THRUST_200600_302600_NS4plusIfEEEE10hipError_tPvRmT2_T3_mT4_P12ihipStream_tbEUlT_E_NS1_11comp_targetILNS1_3genE8ELNS1_11target_archE1030ELNS1_3gpuE2ELNS1_3repE0EEENS1_30default_config_static_selectorELNS0_4arch9wavefront6targetE0EEEvT1_
    .private_segment_fixed_size: 0
    .sgpr_count:     0
    .sgpr_spill_count: 0
    .symbol:         _ZN7rocprim17ROCPRIM_400000_NS6detail17trampoline_kernelINS0_14default_configENS1_35adjacent_difference_config_selectorILb1EfEEZNS1_24adjacent_difference_implIS3_Lb1ELb0EPKfPfN6thrust23THRUST_200600_302600_NS4plusIfEEEE10hipError_tPvRmT2_T3_mT4_P12ihipStream_tbEUlT_E_NS1_11comp_targetILNS1_3genE8ELNS1_11target_archE1030ELNS1_3gpuE2ELNS1_3repE0EEENS1_30default_config_static_selectorELNS0_4arch9wavefront6targetE0EEEvT1_.kd
    .uniform_work_group_size: 1
    .uses_dynamic_stack: false
    .vgpr_count:     0
    .vgpr_spill_count: 0
    .wavefront_size: 32
    .workgroup_processor_mode: 1
  - .args:
      - .offset:         0
        .size:           56
        .value_kind:     by_value
    .group_segment_fixed_size: 0
    .kernarg_segment_align: 8
    .kernarg_segment_size: 56
    .language:       OpenCL C
    .language_version:
      - 2
      - 0
    .max_flat_workgroup_size: 128
    .name:           _ZN7rocprim17ROCPRIM_400000_NS6detail17trampoline_kernelINS0_14default_configENS1_35adjacent_difference_config_selectorILb0EyEEZNS1_24adjacent_difference_implIS3_Lb0ELb0EPKyPyN6thrust23THRUST_200600_302600_NS4plusIyEEEE10hipError_tPvRmT2_T3_mT4_P12ihipStream_tbEUlT_E_NS1_11comp_targetILNS1_3genE0ELNS1_11target_archE4294967295ELNS1_3gpuE0ELNS1_3repE0EEENS1_30default_config_static_selectorELNS0_4arch9wavefront6targetE0EEEvT1_
    .private_segment_fixed_size: 0
    .sgpr_count:     0
    .sgpr_spill_count: 0
    .symbol:         _ZN7rocprim17ROCPRIM_400000_NS6detail17trampoline_kernelINS0_14default_configENS1_35adjacent_difference_config_selectorILb0EyEEZNS1_24adjacent_difference_implIS3_Lb0ELb0EPKyPyN6thrust23THRUST_200600_302600_NS4plusIyEEEE10hipError_tPvRmT2_T3_mT4_P12ihipStream_tbEUlT_E_NS1_11comp_targetILNS1_3genE0ELNS1_11target_archE4294967295ELNS1_3gpuE0ELNS1_3repE0EEENS1_30default_config_static_selectorELNS0_4arch9wavefront6targetE0EEEvT1_.kd
    .uniform_work_group_size: 1
    .uses_dynamic_stack: false
    .vgpr_count:     0
    .vgpr_spill_count: 0
    .wavefront_size: 32
    .workgroup_processor_mode: 1
  - .args:
      - .offset:         0
        .size:           56
        .value_kind:     by_value
    .group_segment_fixed_size: 0
    .kernarg_segment_align: 8
    .kernarg_segment_size: 56
    .language:       OpenCL C
    .language_version:
      - 2
      - 0
    .max_flat_workgroup_size: 128
    .name:           _ZN7rocprim17ROCPRIM_400000_NS6detail17trampoline_kernelINS0_14default_configENS1_35adjacent_difference_config_selectorILb0EyEEZNS1_24adjacent_difference_implIS3_Lb0ELb0EPKyPyN6thrust23THRUST_200600_302600_NS4plusIyEEEE10hipError_tPvRmT2_T3_mT4_P12ihipStream_tbEUlT_E_NS1_11comp_targetILNS1_3genE10ELNS1_11target_archE1201ELNS1_3gpuE5ELNS1_3repE0EEENS1_30default_config_static_selectorELNS0_4arch9wavefront6targetE0EEEvT1_
    .private_segment_fixed_size: 0
    .sgpr_count:     0
    .sgpr_spill_count: 0
    .symbol:         _ZN7rocprim17ROCPRIM_400000_NS6detail17trampoline_kernelINS0_14default_configENS1_35adjacent_difference_config_selectorILb0EyEEZNS1_24adjacent_difference_implIS3_Lb0ELb0EPKyPyN6thrust23THRUST_200600_302600_NS4plusIyEEEE10hipError_tPvRmT2_T3_mT4_P12ihipStream_tbEUlT_E_NS1_11comp_targetILNS1_3genE10ELNS1_11target_archE1201ELNS1_3gpuE5ELNS1_3repE0EEENS1_30default_config_static_selectorELNS0_4arch9wavefront6targetE0EEEvT1_.kd
    .uniform_work_group_size: 1
    .uses_dynamic_stack: false
    .vgpr_count:     0
    .vgpr_spill_count: 0
    .wavefront_size: 32
    .workgroup_processor_mode: 1
  - .args:
      - .offset:         0
        .size:           56
        .value_kind:     by_value
    .group_segment_fixed_size: 0
    .kernarg_segment_align: 8
    .kernarg_segment_size: 56
    .language:       OpenCL C
    .language_version:
      - 2
      - 0
    .max_flat_workgroup_size: 64
    .name:           _ZN7rocprim17ROCPRIM_400000_NS6detail17trampoline_kernelINS0_14default_configENS1_35adjacent_difference_config_selectorILb0EyEEZNS1_24adjacent_difference_implIS3_Lb0ELb0EPKyPyN6thrust23THRUST_200600_302600_NS4plusIyEEEE10hipError_tPvRmT2_T3_mT4_P12ihipStream_tbEUlT_E_NS1_11comp_targetILNS1_3genE5ELNS1_11target_archE942ELNS1_3gpuE9ELNS1_3repE0EEENS1_30default_config_static_selectorELNS0_4arch9wavefront6targetE0EEEvT1_
    .private_segment_fixed_size: 0
    .sgpr_count:     0
    .sgpr_spill_count: 0
    .symbol:         _ZN7rocprim17ROCPRIM_400000_NS6detail17trampoline_kernelINS0_14default_configENS1_35adjacent_difference_config_selectorILb0EyEEZNS1_24adjacent_difference_implIS3_Lb0ELb0EPKyPyN6thrust23THRUST_200600_302600_NS4plusIyEEEE10hipError_tPvRmT2_T3_mT4_P12ihipStream_tbEUlT_E_NS1_11comp_targetILNS1_3genE5ELNS1_11target_archE942ELNS1_3gpuE9ELNS1_3repE0EEENS1_30default_config_static_selectorELNS0_4arch9wavefront6targetE0EEEvT1_.kd
    .uniform_work_group_size: 1
    .uses_dynamic_stack: false
    .vgpr_count:     0
    .vgpr_spill_count: 0
    .wavefront_size: 32
    .workgroup_processor_mode: 1
  - .args:
      - .offset:         0
        .size:           56
        .value_kind:     by_value
    .group_segment_fixed_size: 0
    .kernarg_segment_align: 8
    .kernarg_segment_size: 56
    .language:       OpenCL C
    .language_version:
      - 2
      - 0
    .max_flat_workgroup_size: 256
    .name:           _ZN7rocprim17ROCPRIM_400000_NS6detail17trampoline_kernelINS0_14default_configENS1_35adjacent_difference_config_selectorILb0EyEEZNS1_24adjacent_difference_implIS3_Lb0ELb0EPKyPyN6thrust23THRUST_200600_302600_NS4plusIyEEEE10hipError_tPvRmT2_T3_mT4_P12ihipStream_tbEUlT_E_NS1_11comp_targetILNS1_3genE4ELNS1_11target_archE910ELNS1_3gpuE8ELNS1_3repE0EEENS1_30default_config_static_selectorELNS0_4arch9wavefront6targetE0EEEvT1_
    .private_segment_fixed_size: 0
    .sgpr_count:     0
    .sgpr_spill_count: 0
    .symbol:         _ZN7rocprim17ROCPRIM_400000_NS6detail17trampoline_kernelINS0_14default_configENS1_35adjacent_difference_config_selectorILb0EyEEZNS1_24adjacent_difference_implIS3_Lb0ELb0EPKyPyN6thrust23THRUST_200600_302600_NS4plusIyEEEE10hipError_tPvRmT2_T3_mT4_P12ihipStream_tbEUlT_E_NS1_11comp_targetILNS1_3genE4ELNS1_11target_archE910ELNS1_3gpuE8ELNS1_3repE0EEENS1_30default_config_static_selectorELNS0_4arch9wavefront6targetE0EEEvT1_.kd
    .uniform_work_group_size: 1
    .uses_dynamic_stack: false
    .vgpr_count:     0
    .vgpr_spill_count: 0
    .wavefront_size: 32
    .workgroup_processor_mode: 1
  - .args:
      - .offset:         0
        .size:           56
        .value_kind:     by_value
    .group_segment_fixed_size: 0
    .kernarg_segment_align: 8
    .kernarg_segment_size: 56
    .language:       OpenCL C
    .language_version:
      - 2
      - 0
    .max_flat_workgroup_size: 128
    .name:           _ZN7rocprim17ROCPRIM_400000_NS6detail17trampoline_kernelINS0_14default_configENS1_35adjacent_difference_config_selectorILb0EyEEZNS1_24adjacent_difference_implIS3_Lb0ELb0EPKyPyN6thrust23THRUST_200600_302600_NS4plusIyEEEE10hipError_tPvRmT2_T3_mT4_P12ihipStream_tbEUlT_E_NS1_11comp_targetILNS1_3genE3ELNS1_11target_archE908ELNS1_3gpuE7ELNS1_3repE0EEENS1_30default_config_static_selectorELNS0_4arch9wavefront6targetE0EEEvT1_
    .private_segment_fixed_size: 0
    .sgpr_count:     0
    .sgpr_spill_count: 0
    .symbol:         _ZN7rocprim17ROCPRIM_400000_NS6detail17trampoline_kernelINS0_14default_configENS1_35adjacent_difference_config_selectorILb0EyEEZNS1_24adjacent_difference_implIS3_Lb0ELb0EPKyPyN6thrust23THRUST_200600_302600_NS4plusIyEEEE10hipError_tPvRmT2_T3_mT4_P12ihipStream_tbEUlT_E_NS1_11comp_targetILNS1_3genE3ELNS1_11target_archE908ELNS1_3gpuE7ELNS1_3repE0EEENS1_30default_config_static_selectorELNS0_4arch9wavefront6targetE0EEEvT1_.kd
    .uniform_work_group_size: 1
    .uses_dynamic_stack: false
    .vgpr_count:     0
    .vgpr_spill_count: 0
    .wavefront_size: 32
    .workgroup_processor_mode: 1
  - .args:
      - .offset:         0
        .size:           56
        .value_kind:     by_value
    .group_segment_fixed_size: 0
    .kernarg_segment_align: 8
    .kernarg_segment_size: 56
    .language:       OpenCL C
    .language_version:
      - 2
      - 0
    .max_flat_workgroup_size: 128
    .name:           _ZN7rocprim17ROCPRIM_400000_NS6detail17trampoline_kernelINS0_14default_configENS1_35adjacent_difference_config_selectorILb0EyEEZNS1_24adjacent_difference_implIS3_Lb0ELb0EPKyPyN6thrust23THRUST_200600_302600_NS4plusIyEEEE10hipError_tPvRmT2_T3_mT4_P12ihipStream_tbEUlT_E_NS1_11comp_targetILNS1_3genE2ELNS1_11target_archE906ELNS1_3gpuE6ELNS1_3repE0EEENS1_30default_config_static_selectorELNS0_4arch9wavefront6targetE0EEEvT1_
    .private_segment_fixed_size: 0
    .sgpr_count:     0
    .sgpr_spill_count: 0
    .symbol:         _ZN7rocprim17ROCPRIM_400000_NS6detail17trampoline_kernelINS0_14default_configENS1_35adjacent_difference_config_selectorILb0EyEEZNS1_24adjacent_difference_implIS3_Lb0ELb0EPKyPyN6thrust23THRUST_200600_302600_NS4plusIyEEEE10hipError_tPvRmT2_T3_mT4_P12ihipStream_tbEUlT_E_NS1_11comp_targetILNS1_3genE2ELNS1_11target_archE906ELNS1_3gpuE6ELNS1_3repE0EEENS1_30default_config_static_selectorELNS0_4arch9wavefront6targetE0EEEvT1_.kd
    .uniform_work_group_size: 1
    .uses_dynamic_stack: false
    .vgpr_count:     0
    .vgpr_spill_count: 0
    .wavefront_size: 32
    .workgroup_processor_mode: 1
  - .args:
      - .offset:         0
        .size:           56
        .value_kind:     by_value
    .group_segment_fixed_size: 8192
    .kernarg_segment_align: 8
    .kernarg_segment_size: 56
    .language:       OpenCL C
    .language_version:
      - 2
      - 0
    .max_flat_workgroup_size: 512
    .name:           _ZN7rocprim17ROCPRIM_400000_NS6detail17trampoline_kernelINS0_14default_configENS1_35adjacent_difference_config_selectorILb0EyEEZNS1_24adjacent_difference_implIS3_Lb0ELb0EPKyPyN6thrust23THRUST_200600_302600_NS4plusIyEEEE10hipError_tPvRmT2_T3_mT4_P12ihipStream_tbEUlT_E_NS1_11comp_targetILNS1_3genE9ELNS1_11target_archE1100ELNS1_3gpuE3ELNS1_3repE0EEENS1_30default_config_static_selectorELNS0_4arch9wavefront6targetE0EEEvT1_
    .private_segment_fixed_size: 0
    .sgpr_count:     22
    .sgpr_spill_count: 0
    .symbol:         _ZN7rocprim17ROCPRIM_400000_NS6detail17trampoline_kernelINS0_14default_configENS1_35adjacent_difference_config_selectorILb0EyEEZNS1_24adjacent_difference_implIS3_Lb0ELb0EPKyPyN6thrust23THRUST_200600_302600_NS4plusIyEEEE10hipError_tPvRmT2_T3_mT4_P12ihipStream_tbEUlT_E_NS1_11comp_targetILNS1_3genE9ELNS1_11target_archE1100ELNS1_3gpuE3ELNS1_3repE0EEENS1_30default_config_static_selectorELNS0_4arch9wavefront6targetE0EEEvT1_.kd
    .uniform_work_group_size: 1
    .uses_dynamic_stack: false
    .vgpr_count:     6
    .vgpr_spill_count: 0
    .wavefront_size: 32
    .workgroup_processor_mode: 1
  - .args:
      - .offset:         0
        .size:           56
        .value_kind:     by_value
    .group_segment_fixed_size: 0
    .kernarg_segment_align: 8
    .kernarg_segment_size: 56
    .language:       OpenCL C
    .language_version:
      - 2
      - 0
    .max_flat_workgroup_size: 1024
    .name:           _ZN7rocprim17ROCPRIM_400000_NS6detail17trampoline_kernelINS0_14default_configENS1_35adjacent_difference_config_selectorILb0EyEEZNS1_24adjacent_difference_implIS3_Lb0ELb0EPKyPyN6thrust23THRUST_200600_302600_NS4plusIyEEEE10hipError_tPvRmT2_T3_mT4_P12ihipStream_tbEUlT_E_NS1_11comp_targetILNS1_3genE8ELNS1_11target_archE1030ELNS1_3gpuE2ELNS1_3repE0EEENS1_30default_config_static_selectorELNS0_4arch9wavefront6targetE0EEEvT1_
    .private_segment_fixed_size: 0
    .sgpr_count:     0
    .sgpr_spill_count: 0
    .symbol:         _ZN7rocprim17ROCPRIM_400000_NS6detail17trampoline_kernelINS0_14default_configENS1_35adjacent_difference_config_selectorILb0EyEEZNS1_24adjacent_difference_implIS3_Lb0ELb0EPKyPyN6thrust23THRUST_200600_302600_NS4plusIyEEEE10hipError_tPvRmT2_T3_mT4_P12ihipStream_tbEUlT_E_NS1_11comp_targetILNS1_3genE8ELNS1_11target_archE1030ELNS1_3gpuE2ELNS1_3repE0EEENS1_30default_config_static_selectorELNS0_4arch9wavefront6targetE0EEEvT1_.kd
    .uniform_work_group_size: 1
    .uses_dynamic_stack: false
    .vgpr_count:     0
    .vgpr_spill_count: 0
    .wavefront_size: 32
    .workgroup_processor_mode: 1
  - .args:
      - .offset:         0
        .size:           56
        .value_kind:     by_value
    .group_segment_fixed_size: 0
    .kernarg_segment_align: 8
    .kernarg_segment_size: 56
    .language:       OpenCL C
    .language_version:
      - 2
      - 0
    .max_flat_workgroup_size: 128
    .name:           _ZN7rocprim17ROCPRIM_400000_NS6detail17trampoline_kernelINS0_14default_configENS1_25transform_config_selectorIyLb0EEEZNS1_14transform_implILb0ES3_S5_NS0_18transform_iteratorINS0_17counting_iteratorImlEEZNS1_24adjacent_difference_implIS3_Lb1ELb0EPKyPyN6thrust23THRUST_200600_302600_NS4plusIyEEEE10hipError_tPvRmT2_T3_mT4_P12ihipStream_tbEUlmE_yEESD_NS0_8identityIvEEEESI_SL_SM_mSN_SP_bEUlT_E_NS1_11comp_targetILNS1_3genE0ELNS1_11target_archE4294967295ELNS1_3gpuE0ELNS1_3repE0EEENS1_30default_config_static_selectorELNS0_4arch9wavefront6targetE0EEEvT1_
    .private_segment_fixed_size: 0
    .sgpr_count:     0
    .sgpr_spill_count: 0
    .symbol:         _ZN7rocprim17ROCPRIM_400000_NS6detail17trampoline_kernelINS0_14default_configENS1_25transform_config_selectorIyLb0EEEZNS1_14transform_implILb0ES3_S5_NS0_18transform_iteratorINS0_17counting_iteratorImlEEZNS1_24adjacent_difference_implIS3_Lb1ELb0EPKyPyN6thrust23THRUST_200600_302600_NS4plusIyEEEE10hipError_tPvRmT2_T3_mT4_P12ihipStream_tbEUlmE_yEESD_NS0_8identityIvEEEESI_SL_SM_mSN_SP_bEUlT_E_NS1_11comp_targetILNS1_3genE0ELNS1_11target_archE4294967295ELNS1_3gpuE0ELNS1_3repE0EEENS1_30default_config_static_selectorELNS0_4arch9wavefront6targetE0EEEvT1_.kd
    .uniform_work_group_size: 1
    .uses_dynamic_stack: false
    .vgpr_count:     0
    .vgpr_spill_count: 0
    .wavefront_size: 32
    .workgroup_processor_mode: 1
  - .args:
      - .offset:         0
        .size:           56
        .value_kind:     by_value
    .group_segment_fixed_size: 0
    .kernarg_segment_align: 8
    .kernarg_segment_size: 56
    .language:       OpenCL C
    .language_version:
      - 2
      - 0
    .max_flat_workgroup_size: 512
    .name:           _ZN7rocprim17ROCPRIM_400000_NS6detail17trampoline_kernelINS0_14default_configENS1_25transform_config_selectorIyLb0EEEZNS1_14transform_implILb0ES3_S5_NS0_18transform_iteratorINS0_17counting_iteratorImlEEZNS1_24adjacent_difference_implIS3_Lb1ELb0EPKyPyN6thrust23THRUST_200600_302600_NS4plusIyEEEE10hipError_tPvRmT2_T3_mT4_P12ihipStream_tbEUlmE_yEESD_NS0_8identityIvEEEESI_SL_SM_mSN_SP_bEUlT_E_NS1_11comp_targetILNS1_3genE5ELNS1_11target_archE942ELNS1_3gpuE9ELNS1_3repE0EEENS1_30default_config_static_selectorELNS0_4arch9wavefront6targetE0EEEvT1_
    .private_segment_fixed_size: 0
    .sgpr_count:     0
    .sgpr_spill_count: 0
    .symbol:         _ZN7rocprim17ROCPRIM_400000_NS6detail17trampoline_kernelINS0_14default_configENS1_25transform_config_selectorIyLb0EEEZNS1_14transform_implILb0ES3_S5_NS0_18transform_iteratorINS0_17counting_iteratorImlEEZNS1_24adjacent_difference_implIS3_Lb1ELb0EPKyPyN6thrust23THRUST_200600_302600_NS4plusIyEEEE10hipError_tPvRmT2_T3_mT4_P12ihipStream_tbEUlmE_yEESD_NS0_8identityIvEEEESI_SL_SM_mSN_SP_bEUlT_E_NS1_11comp_targetILNS1_3genE5ELNS1_11target_archE942ELNS1_3gpuE9ELNS1_3repE0EEENS1_30default_config_static_selectorELNS0_4arch9wavefront6targetE0EEEvT1_.kd
    .uniform_work_group_size: 1
    .uses_dynamic_stack: false
    .vgpr_count:     0
    .vgpr_spill_count: 0
    .wavefront_size: 32
    .workgroup_processor_mode: 1
  - .args:
      - .offset:         0
        .size:           56
        .value_kind:     by_value
    .group_segment_fixed_size: 0
    .kernarg_segment_align: 8
    .kernarg_segment_size: 56
    .language:       OpenCL C
    .language_version:
      - 2
      - 0
    .max_flat_workgroup_size: 256
    .name:           _ZN7rocprim17ROCPRIM_400000_NS6detail17trampoline_kernelINS0_14default_configENS1_25transform_config_selectorIyLb0EEEZNS1_14transform_implILb0ES3_S5_NS0_18transform_iteratorINS0_17counting_iteratorImlEEZNS1_24adjacent_difference_implIS3_Lb1ELb0EPKyPyN6thrust23THRUST_200600_302600_NS4plusIyEEEE10hipError_tPvRmT2_T3_mT4_P12ihipStream_tbEUlmE_yEESD_NS0_8identityIvEEEESI_SL_SM_mSN_SP_bEUlT_E_NS1_11comp_targetILNS1_3genE4ELNS1_11target_archE910ELNS1_3gpuE8ELNS1_3repE0EEENS1_30default_config_static_selectorELNS0_4arch9wavefront6targetE0EEEvT1_
    .private_segment_fixed_size: 0
    .sgpr_count:     0
    .sgpr_spill_count: 0
    .symbol:         _ZN7rocprim17ROCPRIM_400000_NS6detail17trampoline_kernelINS0_14default_configENS1_25transform_config_selectorIyLb0EEEZNS1_14transform_implILb0ES3_S5_NS0_18transform_iteratorINS0_17counting_iteratorImlEEZNS1_24adjacent_difference_implIS3_Lb1ELb0EPKyPyN6thrust23THRUST_200600_302600_NS4plusIyEEEE10hipError_tPvRmT2_T3_mT4_P12ihipStream_tbEUlmE_yEESD_NS0_8identityIvEEEESI_SL_SM_mSN_SP_bEUlT_E_NS1_11comp_targetILNS1_3genE4ELNS1_11target_archE910ELNS1_3gpuE8ELNS1_3repE0EEENS1_30default_config_static_selectorELNS0_4arch9wavefront6targetE0EEEvT1_.kd
    .uniform_work_group_size: 1
    .uses_dynamic_stack: false
    .vgpr_count:     0
    .vgpr_spill_count: 0
    .wavefront_size: 32
    .workgroup_processor_mode: 1
  - .args:
      - .offset:         0
        .size:           56
        .value_kind:     by_value
    .group_segment_fixed_size: 0
    .kernarg_segment_align: 8
    .kernarg_segment_size: 56
    .language:       OpenCL C
    .language_version:
      - 2
      - 0
    .max_flat_workgroup_size: 128
    .name:           _ZN7rocprim17ROCPRIM_400000_NS6detail17trampoline_kernelINS0_14default_configENS1_25transform_config_selectorIyLb0EEEZNS1_14transform_implILb0ES3_S5_NS0_18transform_iteratorINS0_17counting_iteratorImlEEZNS1_24adjacent_difference_implIS3_Lb1ELb0EPKyPyN6thrust23THRUST_200600_302600_NS4plusIyEEEE10hipError_tPvRmT2_T3_mT4_P12ihipStream_tbEUlmE_yEESD_NS0_8identityIvEEEESI_SL_SM_mSN_SP_bEUlT_E_NS1_11comp_targetILNS1_3genE3ELNS1_11target_archE908ELNS1_3gpuE7ELNS1_3repE0EEENS1_30default_config_static_selectorELNS0_4arch9wavefront6targetE0EEEvT1_
    .private_segment_fixed_size: 0
    .sgpr_count:     0
    .sgpr_spill_count: 0
    .symbol:         _ZN7rocprim17ROCPRIM_400000_NS6detail17trampoline_kernelINS0_14default_configENS1_25transform_config_selectorIyLb0EEEZNS1_14transform_implILb0ES3_S5_NS0_18transform_iteratorINS0_17counting_iteratorImlEEZNS1_24adjacent_difference_implIS3_Lb1ELb0EPKyPyN6thrust23THRUST_200600_302600_NS4plusIyEEEE10hipError_tPvRmT2_T3_mT4_P12ihipStream_tbEUlmE_yEESD_NS0_8identityIvEEEESI_SL_SM_mSN_SP_bEUlT_E_NS1_11comp_targetILNS1_3genE3ELNS1_11target_archE908ELNS1_3gpuE7ELNS1_3repE0EEENS1_30default_config_static_selectorELNS0_4arch9wavefront6targetE0EEEvT1_.kd
    .uniform_work_group_size: 1
    .uses_dynamic_stack: false
    .vgpr_count:     0
    .vgpr_spill_count: 0
    .wavefront_size: 32
    .workgroup_processor_mode: 1
  - .args:
      - .offset:         0
        .size:           56
        .value_kind:     by_value
    .group_segment_fixed_size: 0
    .kernarg_segment_align: 8
    .kernarg_segment_size: 56
    .language:       OpenCL C
    .language_version:
      - 2
      - 0
    .max_flat_workgroup_size: 512
    .name:           _ZN7rocprim17ROCPRIM_400000_NS6detail17trampoline_kernelINS0_14default_configENS1_25transform_config_selectorIyLb0EEEZNS1_14transform_implILb0ES3_S5_NS0_18transform_iteratorINS0_17counting_iteratorImlEEZNS1_24adjacent_difference_implIS3_Lb1ELb0EPKyPyN6thrust23THRUST_200600_302600_NS4plusIyEEEE10hipError_tPvRmT2_T3_mT4_P12ihipStream_tbEUlmE_yEESD_NS0_8identityIvEEEESI_SL_SM_mSN_SP_bEUlT_E_NS1_11comp_targetILNS1_3genE2ELNS1_11target_archE906ELNS1_3gpuE6ELNS1_3repE0EEENS1_30default_config_static_selectorELNS0_4arch9wavefront6targetE0EEEvT1_
    .private_segment_fixed_size: 0
    .sgpr_count:     0
    .sgpr_spill_count: 0
    .symbol:         _ZN7rocprim17ROCPRIM_400000_NS6detail17trampoline_kernelINS0_14default_configENS1_25transform_config_selectorIyLb0EEEZNS1_14transform_implILb0ES3_S5_NS0_18transform_iteratorINS0_17counting_iteratorImlEEZNS1_24adjacent_difference_implIS3_Lb1ELb0EPKyPyN6thrust23THRUST_200600_302600_NS4plusIyEEEE10hipError_tPvRmT2_T3_mT4_P12ihipStream_tbEUlmE_yEESD_NS0_8identityIvEEEESI_SL_SM_mSN_SP_bEUlT_E_NS1_11comp_targetILNS1_3genE2ELNS1_11target_archE906ELNS1_3gpuE6ELNS1_3repE0EEENS1_30default_config_static_selectorELNS0_4arch9wavefront6targetE0EEEvT1_.kd
    .uniform_work_group_size: 1
    .uses_dynamic_stack: false
    .vgpr_count:     0
    .vgpr_spill_count: 0
    .wavefront_size: 32
    .workgroup_processor_mode: 1
  - .args:
      - .offset:         0
        .size:           56
        .value_kind:     by_value
    .group_segment_fixed_size: 0
    .kernarg_segment_align: 8
    .kernarg_segment_size: 56
    .language:       OpenCL C
    .language_version:
      - 2
      - 0
    .max_flat_workgroup_size: 1024
    .name:           _ZN7rocprim17ROCPRIM_400000_NS6detail17trampoline_kernelINS0_14default_configENS1_25transform_config_selectorIyLb0EEEZNS1_14transform_implILb0ES3_S5_NS0_18transform_iteratorINS0_17counting_iteratorImlEEZNS1_24adjacent_difference_implIS3_Lb1ELb0EPKyPyN6thrust23THRUST_200600_302600_NS4plusIyEEEE10hipError_tPvRmT2_T3_mT4_P12ihipStream_tbEUlmE_yEESD_NS0_8identityIvEEEESI_SL_SM_mSN_SP_bEUlT_E_NS1_11comp_targetILNS1_3genE10ELNS1_11target_archE1201ELNS1_3gpuE5ELNS1_3repE0EEENS1_30default_config_static_selectorELNS0_4arch9wavefront6targetE0EEEvT1_
    .private_segment_fixed_size: 0
    .sgpr_count:     0
    .sgpr_spill_count: 0
    .symbol:         _ZN7rocprim17ROCPRIM_400000_NS6detail17trampoline_kernelINS0_14default_configENS1_25transform_config_selectorIyLb0EEEZNS1_14transform_implILb0ES3_S5_NS0_18transform_iteratorINS0_17counting_iteratorImlEEZNS1_24adjacent_difference_implIS3_Lb1ELb0EPKyPyN6thrust23THRUST_200600_302600_NS4plusIyEEEE10hipError_tPvRmT2_T3_mT4_P12ihipStream_tbEUlmE_yEESD_NS0_8identityIvEEEESI_SL_SM_mSN_SP_bEUlT_E_NS1_11comp_targetILNS1_3genE10ELNS1_11target_archE1201ELNS1_3gpuE5ELNS1_3repE0EEENS1_30default_config_static_selectorELNS0_4arch9wavefront6targetE0EEEvT1_.kd
    .uniform_work_group_size: 1
    .uses_dynamic_stack: false
    .vgpr_count:     0
    .vgpr_spill_count: 0
    .wavefront_size: 32
    .workgroup_processor_mode: 1
  - .args:
      - .offset:         0
        .size:           56
        .value_kind:     by_value
    .group_segment_fixed_size: 0
    .kernarg_segment_align: 8
    .kernarg_segment_size: 56
    .language:       OpenCL C
    .language_version:
      - 2
      - 0
    .max_flat_workgroup_size: 512
    .name:           _ZN7rocprim17ROCPRIM_400000_NS6detail17trampoline_kernelINS0_14default_configENS1_25transform_config_selectorIyLb0EEEZNS1_14transform_implILb0ES3_S5_NS0_18transform_iteratorINS0_17counting_iteratorImlEEZNS1_24adjacent_difference_implIS3_Lb1ELb0EPKyPyN6thrust23THRUST_200600_302600_NS4plusIyEEEE10hipError_tPvRmT2_T3_mT4_P12ihipStream_tbEUlmE_yEESD_NS0_8identityIvEEEESI_SL_SM_mSN_SP_bEUlT_E_NS1_11comp_targetILNS1_3genE10ELNS1_11target_archE1200ELNS1_3gpuE4ELNS1_3repE0EEENS1_30default_config_static_selectorELNS0_4arch9wavefront6targetE0EEEvT1_
    .private_segment_fixed_size: 0
    .sgpr_count:     0
    .sgpr_spill_count: 0
    .symbol:         _ZN7rocprim17ROCPRIM_400000_NS6detail17trampoline_kernelINS0_14default_configENS1_25transform_config_selectorIyLb0EEEZNS1_14transform_implILb0ES3_S5_NS0_18transform_iteratorINS0_17counting_iteratorImlEEZNS1_24adjacent_difference_implIS3_Lb1ELb0EPKyPyN6thrust23THRUST_200600_302600_NS4plusIyEEEE10hipError_tPvRmT2_T3_mT4_P12ihipStream_tbEUlmE_yEESD_NS0_8identityIvEEEESI_SL_SM_mSN_SP_bEUlT_E_NS1_11comp_targetILNS1_3genE10ELNS1_11target_archE1200ELNS1_3gpuE4ELNS1_3repE0EEENS1_30default_config_static_selectorELNS0_4arch9wavefront6targetE0EEEvT1_.kd
    .uniform_work_group_size: 1
    .uses_dynamic_stack: false
    .vgpr_count:     0
    .vgpr_spill_count: 0
    .wavefront_size: 32
    .workgroup_processor_mode: 1
  - .args:
      - .offset:         0
        .size:           56
        .value_kind:     by_value
      - .offset:         56
        .size:           4
        .value_kind:     hidden_block_count_x
      - .offset:         60
        .size:           4
        .value_kind:     hidden_block_count_y
      - .offset:         64
        .size:           4
        .value_kind:     hidden_block_count_z
      - .offset:         68
        .size:           2
        .value_kind:     hidden_group_size_x
      - .offset:         70
        .size:           2
        .value_kind:     hidden_group_size_y
      - .offset:         72
        .size:           2
        .value_kind:     hidden_group_size_z
      - .offset:         74
        .size:           2
        .value_kind:     hidden_remainder_x
      - .offset:         76
        .size:           2
        .value_kind:     hidden_remainder_y
      - .offset:         78
        .size:           2
        .value_kind:     hidden_remainder_z
      - .offset:         96
        .size:           8
        .value_kind:     hidden_global_offset_x
      - .offset:         104
        .size:           8
        .value_kind:     hidden_global_offset_y
      - .offset:         112
        .size:           8
        .value_kind:     hidden_global_offset_z
      - .offset:         120
        .size:           2
        .value_kind:     hidden_grid_dims
    .group_segment_fixed_size: 0
    .kernarg_segment_align: 8
    .kernarg_segment_size: 312
    .language:       OpenCL C
    .language_version:
      - 2
      - 0
    .max_flat_workgroup_size: 512
    .name:           _ZN7rocprim17ROCPRIM_400000_NS6detail17trampoline_kernelINS0_14default_configENS1_25transform_config_selectorIyLb0EEEZNS1_14transform_implILb0ES3_S5_NS0_18transform_iteratorINS0_17counting_iteratorImlEEZNS1_24adjacent_difference_implIS3_Lb1ELb0EPKyPyN6thrust23THRUST_200600_302600_NS4plusIyEEEE10hipError_tPvRmT2_T3_mT4_P12ihipStream_tbEUlmE_yEESD_NS0_8identityIvEEEESI_SL_SM_mSN_SP_bEUlT_E_NS1_11comp_targetILNS1_3genE9ELNS1_11target_archE1100ELNS1_3gpuE3ELNS1_3repE0EEENS1_30default_config_static_selectorELNS0_4arch9wavefront6targetE0EEEvT1_
    .private_segment_fixed_size: 0
    .sgpr_count:     18
    .sgpr_spill_count: 0
    .symbol:         _ZN7rocprim17ROCPRIM_400000_NS6detail17trampoline_kernelINS0_14default_configENS1_25transform_config_selectorIyLb0EEEZNS1_14transform_implILb0ES3_S5_NS0_18transform_iteratorINS0_17counting_iteratorImlEEZNS1_24adjacent_difference_implIS3_Lb1ELb0EPKyPyN6thrust23THRUST_200600_302600_NS4plusIyEEEE10hipError_tPvRmT2_T3_mT4_P12ihipStream_tbEUlmE_yEESD_NS0_8identityIvEEEESI_SL_SM_mSN_SP_bEUlT_E_NS1_11comp_targetILNS1_3genE9ELNS1_11target_archE1100ELNS1_3gpuE3ELNS1_3repE0EEENS1_30default_config_static_selectorELNS0_4arch9wavefront6targetE0EEEvT1_.kd
    .uniform_work_group_size: 1
    .uses_dynamic_stack: false
    .vgpr_count:     6
    .vgpr_spill_count: 0
    .wavefront_size: 32
    .workgroup_processor_mode: 1
  - .args:
      - .offset:         0
        .size:           56
        .value_kind:     by_value
    .group_segment_fixed_size: 0
    .kernarg_segment_align: 8
    .kernarg_segment_size: 56
    .language:       OpenCL C
    .language_version:
      - 2
      - 0
    .max_flat_workgroup_size: 512
    .name:           _ZN7rocprim17ROCPRIM_400000_NS6detail17trampoline_kernelINS0_14default_configENS1_25transform_config_selectorIyLb0EEEZNS1_14transform_implILb0ES3_S5_NS0_18transform_iteratorINS0_17counting_iteratorImlEEZNS1_24adjacent_difference_implIS3_Lb1ELb0EPKyPyN6thrust23THRUST_200600_302600_NS4plusIyEEEE10hipError_tPvRmT2_T3_mT4_P12ihipStream_tbEUlmE_yEESD_NS0_8identityIvEEEESI_SL_SM_mSN_SP_bEUlT_E_NS1_11comp_targetILNS1_3genE8ELNS1_11target_archE1030ELNS1_3gpuE2ELNS1_3repE0EEENS1_30default_config_static_selectorELNS0_4arch9wavefront6targetE0EEEvT1_
    .private_segment_fixed_size: 0
    .sgpr_count:     0
    .sgpr_spill_count: 0
    .symbol:         _ZN7rocprim17ROCPRIM_400000_NS6detail17trampoline_kernelINS0_14default_configENS1_25transform_config_selectorIyLb0EEEZNS1_14transform_implILb0ES3_S5_NS0_18transform_iteratorINS0_17counting_iteratorImlEEZNS1_24adjacent_difference_implIS3_Lb1ELb0EPKyPyN6thrust23THRUST_200600_302600_NS4plusIyEEEE10hipError_tPvRmT2_T3_mT4_P12ihipStream_tbEUlmE_yEESD_NS0_8identityIvEEEESI_SL_SM_mSN_SP_bEUlT_E_NS1_11comp_targetILNS1_3genE8ELNS1_11target_archE1030ELNS1_3gpuE2ELNS1_3repE0EEENS1_30default_config_static_selectorELNS0_4arch9wavefront6targetE0EEEvT1_.kd
    .uniform_work_group_size: 1
    .uses_dynamic_stack: false
    .vgpr_count:     0
    .vgpr_spill_count: 0
    .wavefront_size: 32
    .workgroup_processor_mode: 1
  - .args:
      - .offset:         0
        .size:           56
        .value_kind:     by_value
    .group_segment_fixed_size: 0
    .kernarg_segment_align: 8
    .kernarg_segment_size: 56
    .language:       OpenCL C
    .language_version:
      - 2
      - 0
    .max_flat_workgroup_size: 512
    .name:           _ZN7rocprim17ROCPRIM_400000_NS6detail17trampoline_kernelINS0_14default_configENS1_35adjacent_difference_config_selectorILb1EyEEZNS1_24adjacent_difference_implIS3_Lb1ELb0EPKyPyN6thrust23THRUST_200600_302600_NS4plusIyEEEE10hipError_tPvRmT2_T3_mT4_P12ihipStream_tbEUlT_E_NS1_11comp_targetILNS1_3genE0ELNS1_11target_archE4294967295ELNS1_3gpuE0ELNS1_3repE0EEENS1_30default_config_static_selectorELNS0_4arch9wavefront6targetE0EEEvT1_
    .private_segment_fixed_size: 0
    .sgpr_count:     0
    .sgpr_spill_count: 0
    .symbol:         _ZN7rocprim17ROCPRIM_400000_NS6detail17trampoline_kernelINS0_14default_configENS1_35adjacent_difference_config_selectorILb1EyEEZNS1_24adjacent_difference_implIS3_Lb1ELb0EPKyPyN6thrust23THRUST_200600_302600_NS4plusIyEEEE10hipError_tPvRmT2_T3_mT4_P12ihipStream_tbEUlT_E_NS1_11comp_targetILNS1_3genE0ELNS1_11target_archE4294967295ELNS1_3gpuE0ELNS1_3repE0EEENS1_30default_config_static_selectorELNS0_4arch9wavefront6targetE0EEEvT1_.kd
    .uniform_work_group_size: 1
    .uses_dynamic_stack: false
    .vgpr_count:     0
    .vgpr_spill_count: 0
    .wavefront_size: 32
    .workgroup_processor_mode: 1
  - .args:
      - .offset:         0
        .size:           56
        .value_kind:     by_value
    .group_segment_fixed_size: 0
    .kernarg_segment_align: 8
    .kernarg_segment_size: 56
    .language:       OpenCL C
    .language_version:
      - 2
      - 0
    .max_flat_workgroup_size: 32
    .name:           _ZN7rocprim17ROCPRIM_400000_NS6detail17trampoline_kernelINS0_14default_configENS1_35adjacent_difference_config_selectorILb1EyEEZNS1_24adjacent_difference_implIS3_Lb1ELb0EPKyPyN6thrust23THRUST_200600_302600_NS4plusIyEEEE10hipError_tPvRmT2_T3_mT4_P12ihipStream_tbEUlT_E_NS1_11comp_targetILNS1_3genE10ELNS1_11target_archE1201ELNS1_3gpuE5ELNS1_3repE0EEENS1_30default_config_static_selectorELNS0_4arch9wavefront6targetE0EEEvT1_
    .private_segment_fixed_size: 0
    .sgpr_count:     0
    .sgpr_spill_count: 0
    .symbol:         _ZN7rocprim17ROCPRIM_400000_NS6detail17trampoline_kernelINS0_14default_configENS1_35adjacent_difference_config_selectorILb1EyEEZNS1_24adjacent_difference_implIS3_Lb1ELb0EPKyPyN6thrust23THRUST_200600_302600_NS4plusIyEEEE10hipError_tPvRmT2_T3_mT4_P12ihipStream_tbEUlT_E_NS1_11comp_targetILNS1_3genE10ELNS1_11target_archE1201ELNS1_3gpuE5ELNS1_3repE0EEENS1_30default_config_static_selectorELNS0_4arch9wavefront6targetE0EEEvT1_.kd
    .uniform_work_group_size: 1
    .uses_dynamic_stack: false
    .vgpr_count:     0
    .vgpr_spill_count: 0
    .wavefront_size: 32
    .workgroup_processor_mode: 1
  - .args:
      - .offset:         0
        .size:           56
        .value_kind:     by_value
    .group_segment_fixed_size: 0
    .kernarg_segment_align: 8
    .kernarg_segment_size: 56
    .language:       OpenCL C
    .language_version:
      - 2
      - 0
    .max_flat_workgroup_size: 256
    .name:           _ZN7rocprim17ROCPRIM_400000_NS6detail17trampoline_kernelINS0_14default_configENS1_35adjacent_difference_config_selectorILb1EyEEZNS1_24adjacent_difference_implIS3_Lb1ELb0EPKyPyN6thrust23THRUST_200600_302600_NS4plusIyEEEE10hipError_tPvRmT2_T3_mT4_P12ihipStream_tbEUlT_E_NS1_11comp_targetILNS1_3genE5ELNS1_11target_archE942ELNS1_3gpuE9ELNS1_3repE0EEENS1_30default_config_static_selectorELNS0_4arch9wavefront6targetE0EEEvT1_
    .private_segment_fixed_size: 0
    .sgpr_count:     0
    .sgpr_spill_count: 0
    .symbol:         _ZN7rocprim17ROCPRIM_400000_NS6detail17trampoline_kernelINS0_14default_configENS1_35adjacent_difference_config_selectorILb1EyEEZNS1_24adjacent_difference_implIS3_Lb1ELb0EPKyPyN6thrust23THRUST_200600_302600_NS4plusIyEEEE10hipError_tPvRmT2_T3_mT4_P12ihipStream_tbEUlT_E_NS1_11comp_targetILNS1_3genE5ELNS1_11target_archE942ELNS1_3gpuE9ELNS1_3repE0EEENS1_30default_config_static_selectorELNS0_4arch9wavefront6targetE0EEEvT1_.kd
    .uniform_work_group_size: 1
    .uses_dynamic_stack: false
    .vgpr_count:     0
    .vgpr_spill_count: 0
    .wavefront_size: 32
    .workgroup_processor_mode: 1
  - .args:
      - .offset:         0
        .size:           56
        .value_kind:     by_value
    .group_segment_fixed_size: 0
    .kernarg_segment_align: 8
    .kernarg_segment_size: 56
    .language:       OpenCL C
    .language_version:
      - 2
      - 0
    .max_flat_workgroup_size: 512
    .name:           _ZN7rocprim17ROCPRIM_400000_NS6detail17trampoline_kernelINS0_14default_configENS1_35adjacent_difference_config_selectorILb1EyEEZNS1_24adjacent_difference_implIS3_Lb1ELb0EPKyPyN6thrust23THRUST_200600_302600_NS4plusIyEEEE10hipError_tPvRmT2_T3_mT4_P12ihipStream_tbEUlT_E_NS1_11comp_targetILNS1_3genE4ELNS1_11target_archE910ELNS1_3gpuE8ELNS1_3repE0EEENS1_30default_config_static_selectorELNS0_4arch9wavefront6targetE0EEEvT1_
    .private_segment_fixed_size: 0
    .sgpr_count:     0
    .sgpr_spill_count: 0
    .symbol:         _ZN7rocprim17ROCPRIM_400000_NS6detail17trampoline_kernelINS0_14default_configENS1_35adjacent_difference_config_selectorILb1EyEEZNS1_24adjacent_difference_implIS3_Lb1ELb0EPKyPyN6thrust23THRUST_200600_302600_NS4plusIyEEEE10hipError_tPvRmT2_T3_mT4_P12ihipStream_tbEUlT_E_NS1_11comp_targetILNS1_3genE4ELNS1_11target_archE910ELNS1_3gpuE8ELNS1_3repE0EEENS1_30default_config_static_selectorELNS0_4arch9wavefront6targetE0EEEvT1_.kd
    .uniform_work_group_size: 1
    .uses_dynamic_stack: false
    .vgpr_count:     0
    .vgpr_spill_count: 0
    .wavefront_size: 32
    .workgroup_processor_mode: 1
  - .args:
      - .offset:         0
        .size:           56
        .value_kind:     by_value
    .group_segment_fixed_size: 0
    .kernarg_segment_align: 8
    .kernarg_segment_size: 56
    .language:       OpenCL C
    .language_version:
      - 2
      - 0
    .max_flat_workgroup_size: 512
    .name:           _ZN7rocprim17ROCPRIM_400000_NS6detail17trampoline_kernelINS0_14default_configENS1_35adjacent_difference_config_selectorILb1EyEEZNS1_24adjacent_difference_implIS3_Lb1ELb0EPKyPyN6thrust23THRUST_200600_302600_NS4plusIyEEEE10hipError_tPvRmT2_T3_mT4_P12ihipStream_tbEUlT_E_NS1_11comp_targetILNS1_3genE3ELNS1_11target_archE908ELNS1_3gpuE7ELNS1_3repE0EEENS1_30default_config_static_selectorELNS0_4arch9wavefront6targetE0EEEvT1_
    .private_segment_fixed_size: 0
    .sgpr_count:     0
    .sgpr_spill_count: 0
    .symbol:         _ZN7rocprim17ROCPRIM_400000_NS6detail17trampoline_kernelINS0_14default_configENS1_35adjacent_difference_config_selectorILb1EyEEZNS1_24adjacent_difference_implIS3_Lb1ELb0EPKyPyN6thrust23THRUST_200600_302600_NS4plusIyEEEE10hipError_tPvRmT2_T3_mT4_P12ihipStream_tbEUlT_E_NS1_11comp_targetILNS1_3genE3ELNS1_11target_archE908ELNS1_3gpuE7ELNS1_3repE0EEENS1_30default_config_static_selectorELNS0_4arch9wavefront6targetE0EEEvT1_.kd
    .uniform_work_group_size: 1
    .uses_dynamic_stack: false
    .vgpr_count:     0
    .vgpr_spill_count: 0
    .wavefront_size: 32
    .workgroup_processor_mode: 1
  - .args:
      - .offset:         0
        .size:           56
        .value_kind:     by_value
    .group_segment_fixed_size: 0
    .kernarg_segment_align: 8
    .kernarg_segment_size: 56
    .language:       OpenCL C
    .language_version:
      - 2
      - 0
    .max_flat_workgroup_size: 128
    .name:           _ZN7rocprim17ROCPRIM_400000_NS6detail17trampoline_kernelINS0_14default_configENS1_35adjacent_difference_config_selectorILb1EyEEZNS1_24adjacent_difference_implIS3_Lb1ELb0EPKyPyN6thrust23THRUST_200600_302600_NS4plusIyEEEE10hipError_tPvRmT2_T3_mT4_P12ihipStream_tbEUlT_E_NS1_11comp_targetILNS1_3genE2ELNS1_11target_archE906ELNS1_3gpuE6ELNS1_3repE0EEENS1_30default_config_static_selectorELNS0_4arch9wavefront6targetE0EEEvT1_
    .private_segment_fixed_size: 0
    .sgpr_count:     0
    .sgpr_spill_count: 0
    .symbol:         _ZN7rocprim17ROCPRIM_400000_NS6detail17trampoline_kernelINS0_14default_configENS1_35adjacent_difference_config_selectorILb1EyEEZNS1_24adjacent_difference_implIS3_Lb1ELb0EPKyPyN6thrust23THRUST_200600_302600_NS4plusIyEEEE10hipError_tPvRmT2_T3_mT4_P12ihipStream_tbEUlT_E_NS1_11comp_targetILNS1_3genE2ELNS1_11target_archE906ELNS1_3gpuE6ELNS1_3repE0EEENS1_30default_config_static_selectorELNS0_4arch9wavefront6targetE0EEEvT1_.kd
    .uniform_work_group_size: 1
    .uses_dynamic_stack: false
    .vgpr_count:     0
    .vgpr_spill_count: 0
    .wavefront_size: 32
    .workgroup_processor_mode: 1
  - .args:
      - .offset:         0
        .size:           56
        .value_kind:     by_value
    .group_segment_fixed_size: 29696
    .kernarg_segment_align: 8
    .kernarg_segment_size: 56
    .language:       OpenCL C
    .language_version:
      - 2
      - 0
    .max_flat_workgroup_size: 128
    .name:           _ZN7rocprim17ROCPRIM_400000_NS6detail17trampoline_kernelINS0_14default_configENS1_35adjacent_difference_config_selectorILb1EyEEZNS1_24adjacent_difference_implIS3_Lb1ELb0EPKyPyN6thrust23THRUST_200600_302600_NS4plusIyEEEE10hipError_tPvRmT2_T3_mT4_P12ihipStream_tbEUlT_E_NS1_11comp_targetILNS1_3genE9ELNS1_11target_archE1100ELNS1_3gpuE3ELNS1_3repE0EEENS1_30default_config_static_selectorELNS0_4arch9wavefront6targetE0EEEvT1_
    .private_segment_fixed_size: 0
    .sgpr_count:     28
    .sgpr_spill_count: 0
    .symbol:         _ZN7rocprim17ROCPRIM_400000_NS6detail17trampoline_kernelINS0_14default_configENS1_35adjacent_difference_config_selectorILb1EyEEZNS1_24adjacent_difference_implIS3_Lb1ELb0EPKyPyN6thrust23THRUST_200600_302600_NS4plusIyEEEE10hipError_tPvRmT2_T3_mT4_P12ihipStream_tbEUlT_E_NS1_11comp_targetILNS1_3genE9ELNS1_11target_archE1100ELNS1_3gpuE3ELNS1_3repE0EEENS1_30default_config_static_selectorELNS0_4arch9wavefront6targetE0EEEvT1_.kd
    .uniform_work_group_size: 1
    .uses_dynamic_stack: false
    .vgpr_count:     122
    .vgpr_spill_count: 0
    .wavefront_size: 32
    .workgroup_processor_mode: 1
  - .args:
      - .offset:         0
        .size:           56
        .value_kind:     by_value
    .group_segment_fixed_size: 0
    .kernarg_segment_align: 8
    .kernarg_segment_size: 56
    .language:       OpenCL C
    .language_version:
      - 2
      - 0
    .max_flat_workgroup_size: 32
    .name:           _ZN7rocprim17ROCPRIM_400000_NS6detail17trampoline_kernelINS0_14default_configENS1_35adjacent_difference_config_selectorILb1EyEEZNS1_24adjacent_difference_implIS3_Lb1ELb0EPKyPyN6thrust23THRUST_200600_302600_NS4plusIyEEEE10hipError_tPvRmT2_T3_mT4_P12ihipStream_tbEUlT_E_NS1_11comp_targetILNS1_3genE8ELNS1_11target_archE1030ELNS1_3gpuE2ELNS1_3repE0EEENS1_30default_config_static_selectorELNS0_4arch9wavefront6targetE0EEEvT1_
    .private_segment_fixed_size: 0
    .sgpr_count:     0
    .sgpr_spill_count: 0
    .symbol:         _ZN7rocprim17ROCPRIM_400000_NS6detail17trampoline_kernelINS0_14default_configENS1_35adjacent_difference_config_selectorILb1EyEEZNS1_24adjacent_difference_implIS3_Lb1ELb0EPKyPyN6thrust23THRUST_200600_302600_NS4plusIyEEEE10hipError_tPvRmT2_T3_mT4_P12ihipStream_tbEUlT_E_NS1_11comp_targetILNS1_3genE8ELNS1_11target_archE1030ELNS1_3gpuE2ELNS1_3repE0EEENS1_30default_config_static_selectorELNS0_4arch9wavefront6targetE0EEEvT1_.kd
    .uniform_work_group_size: 1
    .uses_dynamic_stack: false
    .vgpr_count:     0
    .vgpr_spill_count: 0
    .wavefront_size: 32
    .workgroup_processor_mode: 1
  - .args:
      - .offset:         0
        .size:           56
        .value_kind:     by_value
    .group_segment_fixed_size: 0
    .kernarg_segment_align: 8
    .kernarg_segment_size: 56
    .language:       OpenCL C
    .language_version:
      - 2
      - 0
    .max_flat_workgroup_size: 128
    .name:           _ZN7rocprim17ROCPRIM_400000_NS6detail17trampoline_kernelINS0_14default_configENS1_35adjacent_difference_config_selectorILb0EjEEZNS1_24adjacent_difference_implIS3_Lb0ELb0EPKjPjN6thrust23THRUST_200600_302600_NS4plusIjEEEE10hipError_tPvRmT2_T3_mT4_P12ihipStream_tbEUlT_E_NS1_11comp_targetILNS1_3genE0ELNS1_11target_archE4294967295ELNS1_3gpuE0ELNS1_3repE0EEENS1_30default_config_static_selectorELNS0_4arch9wavefront6targetE0EEEvT1_
    .private_segment_fixed_size: 0
    .sgpr_count:     0
    .sgpr_spill_count: 0
    .symbol:         _ZN7rocprim17ROCPRIM_400000_NS6detail17trampoline_kernelINS0_14default_configENS1_35adjacent_difference_config_selectorILb0EjEEZNS1_24adjacent_difference_implIS3_Lb0ELb0EPKjPjN6thrust23THRUST_200600_302600_NS4plusIjEEEE10hipError_tPvRmT2_T3_mT4_P12ihipStream_tbEUlT_E_NS1_11comp_targetILNS1_3genE0ELNS1_11target_archE4294967295ELNS1_3gpuE0ELNS1_3repE0EEENS1_30default_config_static_selectorELNS0_4arch9wavefront6targetE0EEEvT1_.kd
    .uniform_work_group_size: 1
    .uses_dynamic_stack: false
    .vgpr_count:     0
    .vgpr_spill_count: 0
    .wavefront_size: 32
    .workgroup_processor_mode: 1
  - .args:
      - .offset:         0
        .size:           56
        .value_kind:     by_value
    .group_segment_fixed_size: 0
    .kernarg_segment_align: 8
    .kernarg_segment_size: 56
    .language:       OpenCL C
    .language_version:
      - 2
      - 0
    .max_flat_workgroup_size: 128
    .name:           _ZN7rocprim17ROCPRIM_400000_NS6detail17trampoline_kernelINS0_14default_configENS1_35adjacent_difference_config_selectorILb0EjEEZNS1_24adjacent_difference_implIS3_Lb0ELb0EPKjPjN6thrust23THRUST_200600_302600_NS4plusIjEEEE10hipError_tPvRmT2_T3_mT4_P12ihipStream_tbEUlT_E_NS1_11comp_targetILNS1_3genE10ELNS1_11target_archE1201ELNS1_3gpuE5ELNS1_3repE0EEENS1_30default_config_static_selectorELNS0_4arch9wavefront6targetE0EEEvT1_
    .private_segment_fixed_size: 0
    .sgpr_count:     0
    .sgpr_spill_count: 0
    .symbol:         _ZN7rocprim17ROCPRIM_400000_NS6detail17trampoline_kernelINS0_14default_configENS1_35adjacent_difference_config_selectorILb0EjEEZNS1_24adjacent_difference_implIS3_Lb0ELb0EPKjPjN6thrust23THRUST_200600_302600_NS4plusIjEEEE10hipError_tPvRmT2_T3_mT4_P12ihipStream_tbEUlT_E_NS1_11comp_targetILNS1_3genE10ELNS1_11target_archE1201ELNS1_3gpuE5ELNS1_3repE0EEENS1_30default_config_static_selectorELNS0_4arch9wavefront6targetE0EEEvT1_.kd
    .uniform_work_group_size: 1
    .uses_dynamic_stack: false
    .vgpr_count:     0
    .vgpr_spill_count: 0
    .wavefront_size: 32
    .workgroup_processor_mode: 1
  - .args:
      - .offset:         0
        .size:           56
        .value_kind:     by_value
    .group_segment_fixed_size: 0
    .kernarg_segment_align: 8
    .kernarg_segment_size: 56
    .language:       OpenCL C
    .language_version:
      - 2
      - 0
    .max_flat_workgroup_size: 64
    .name:           _ZN7rocprim17ROCPRIM_400000_NS6detail17trampoline_kernelINS0_14default_configENS1_35adjacent_difference_config_selectorILb0EjEEZNS1_24adjacent_difference_implIS3_Lb0ELb0EPKjPjN6thrust23THRUST_200600_302600_NS4plusIjEEEE10hipError_tPvRmT2_T3_mT4_P12ihipStream_tbEUlT_E_NS1_11comp_targetILNS1_3genE5ELNS1_11target_archE942ELNS1_3gpuE9ELNS1_3repE0EEENS1_30default_config_static_selectorELNS0_4arch9wavefront6targetE0EEEvT1_
    .private_segment_fixed_size: 0
    .sgpr_count:     0
    .sgpr_spill_count: 0
    .symbol:         _ZN7rocprim17ROCPRIM_400000_NS6detail17trampoline_kernelINS0_14default_configENS1_35adjacent_difference_config_selectorILb0EjEEZNS1_24adjacent_difference_implIS3_Lb0ELb0EPKjPjN6thrust23THRUST_200600_302600_NS4plusIjEEEE10hipError_tPvRmT2_T3_mT4_P12ihipStream_tbEUlT_E_NS1_11comp_targetILNS1_3genE5ELNS1_11target_archE942ELNS1_3gpuE9ELNS1_3repE0EEENS1_30default_config_static_selectorELNS0_4arch9wavefront6targetE0EEEvT1_.kd
    .uniform_work_group_size: 1
    .uses_dynamic_stack: false
    .vgpr_count:     0
    .vgpr_spill_count: 0
    .wavefront_size: 32
    .workgroup_processor_mode: 1
  - .args:
      - .offset:         0
        .size:           56
        .value_kind:     by_value
    .group_segment_fixed_size: 0
    .kernarg_segment_align: 8
    .kernarg_segment_size: 56
    .language:       OpenCL C
    .language_version:
      - 2
      - 0
    .max_flat_workgroup_size: 512
    .name:           _ZN7rocprim17ROCPRIM_400000_NS6detail17trampoline_kernelINS0_14default_configENS1_35adjacent_difference_config_selectorILb0EjEEZNS1_24adjacent_difference_implIS3_Lb0ELb0EPKjPjN6thrust23THRUST_200600_302600_NS4plusIjEEEE10hipError_tPvRmT2_T3_mT4_P12ihipStream_tbEUlT_E_NS1_11comp_targetILNS1_3genE4ELNS1_11target_archE910ELNS1_3gpuE8ELNS1_3repE0EEENS1_30default_config_static_selectorELNS0_4arch9wavefront6targetE0EEEvT1_
    .private_segment_fixed_size: 0
    .sgpr_count:     0
    .sgpr_spill_count: 0
    .symbol:         _ZN7rocprim17ROCPRIM_400000_NS6detail17trampoline_kernelINS0_14default_configENS1_35adjacent_difference_config_selectorILb0EjEEZNS1_24adjacent_difference_implIS3_Lb0ELb0EPKjPjN6thrust23THRUST_200600_302600_NS4plusIjEEEE10hipError_tPvRmT2_T3_mT4_P12ihipStream_tbEUlT_E_NS1_11comp_targetILNS1_3genE4ELNS1_11target_archE910ELNS1_3gpuE8ELNS1_3repE0EEENS1_30default_config_static_selectorELNS0_4arch9wavefront6targetE0EEEvT1_.kd
    .uniform_work_group_size: 1
    .uses_dynamic_stack: false
    .vgpr_count:     0
    .vgpr_spill_count: 0
    .wavefront_size: 32
    .workgroup_processor_mode: 1
  - .args:
      - .offset:         0
        .size:           56
        .value_kind:     by_value
    .group_segment_fixed_size: 0
    .kernarg_segment_align: 8
    .kernarg_segment_size: 56
    .language:       OpenCL C
    .language_version:
      - 2
      - 0
    .max_flat_workgroup_size: 128
    .name:           _ZN7rocprim17ROCPRIM_400000_NS6detail17trampoline_kernelINS0_14default_configENS1_35adjacent_difference_config_selectorILb0EjEEZNS1_24adjacent_difference_implIS3_Lb0ELb0EPKjPjN6thrust23THRUST_200600_302600_NS4plusIjEEEE10hipError_tPvRmT2_T3_mT4_P12ihipStream_tbEUlT_E_NS1_11comp_targetILNS1_3genE3ELNS1_11target_archE908ELNS1_3gpuE7ELNS1_3repE0EEENS1_30default_config_static_selectorELNS0_4arch9wavefront6targetE0EEEvT1_
    .private_segment_fixed_size: 0
    .sgpr_count:     0
    .sgpr_spill_count: 0
    .symbol:         _ZN7rocprim17ROCPRIM_400000_NS6detail17trampoline_kernelINS0_14default_configENS1_35adjacent_difference_config_selectorILb0EjEEZNS1_24adjacent_difference_implIS3_Lb0ELb0EPKjPjN6thrust23THRUST_200600_302600_NS4plusIjEEEE10hipError_tPvRmT2_T3_mT4_P12ihipStream_tbEUlT_E_NS1_11comp_targetILNS1_3genE3ELNS1_11target_archE908ELNS1_3gpuE7ELNS1_3repE0EEENS1_30default_config_static_selectorELNS0_4arch9wavefront6targetE0EEEvT1_.kd
    .uniform_work_group_size: 1
    .uses_dynamic_stack: false
    .vgpr_count:     0
    .vgpr_spill_count: 0
    .wavefront_size: 32
    .workgroup_processor_mode: 1
  - .args:
      - .offset:         0
        .size:           56
        .value_kind:     by_value
    .group_segment_fixed_size: 0
    .kernarg_segment_align: 8
    .kernarg_segment_size: 56
    .language:       OpenCL C
    .language_version:
      - 2
      - 0
    .max_flat_workgroup_size: 1024
    .name:           _ZN7rocprim17ROCPRIM_400000_NS6detail17trampoline_kernelINS0_14default_configENS1_35adjacent_difference_config_selectorILb0EjEEZNS1_24adjacent_difference_implIS3_Lb0ELb0EPKjPjN6thrust23THRUST_200600_302600_NS4plusIjEEEE10hipError_tPvRmT2_T3_mT4_P12ihipStream_tbEUlT_E_NS1_11comp_targetILNS1_3genE2ELNS1_11target_archE906ELNS1_3gpuE6ELNS1_3repE0EEENS1_30default_config_static_selectorELNS0_4arch9wavefront6targetE0EEEvT1_
    .private_segment_fixed_size: 0
    .sgpr_count:     0
    .sgpr_spill_count: 0
    .symbol:         _ZN7rocprim17ROCPRIM_400000_NS6detail17trampoline_kernelINS0_14default_configENS1_35adjacent_difference_config_selectorILb0EjEEZNS1_24adjacent_difference_implIS3_Lb0ELb0EPKjPjN6thrust23THRUST_200600_302600_NS4plusIjEEEE10hipError_tPvRmT2_T3_mT4_P12ihipStream_tbEUlT_E_NS1_11comp_targetILNS1_3genE2ELNS1_11target_archE906ELNS1_3gpuE6ELNS1_3repE0EEENS1_30default_config_static_selectorELNS0_4arch9wavefront6targetE0EEEvT1_.kd
    .uniform_work_group_size: 1
    .uses_dynamic_stack: false
    .vgpr_count:     0
    .vgpr_spill_count: 0
    .wavefront_size: 32
    .workgroup_processor_mode: 1
  - .args:
      - .offset:         0
        .size:           56
        .value_kind:     by_value
    .group_segment_fixed_size: 20480
    .kernarg_segment_align: 8
    .kernarg_segment_size: 56
    .language:       OpenCL C
    .language_version:
      - 2
      - 0
    .max_flat_workgroup_size: 1024
    .name:           _ZN7rocprim17ROCPRIM_400000_NS6detail17trampoline_kernelINS0_14default_configENS1_35adjacent_difference_config_selectorILb0EjEEZNS1_24adjacent_difference_implIS3_Lb0ELb0EPKjPjN6thrust23THRUST_200600_302600_NS4plusIjEEEE10hipError_tPvRmT2_T3_mT4_P12ihipStream_tbEUlT_E_NS1_11comp_targetILNS1_3genE9ELNS1_11target_archE1100ELNS1_3gpuE3ELNS1_3repE0EEENS1_30default_config_static_selectorELNS0_4arch9wavefront6targetE0EEEvT1_
    .private_segment_fixed_size: 0
    .sgpr_count:     23
    .sgpr_spill_count: 0
    .symbol:         _ZN7rocprim17ROCPRIM_400000_NS6detail17trampoline_kernelINS0_14default_configENS1_35adjacent_difference_config_selectorILb0EjEEZNS1_24adjacent_difference_implIS3_Lb0ELb0EPKjPjN6thrust23THRUST_200600_302600_NS4plusIjEEEE10hipError_tPvRmT2_T3_mT4_P12ihipStream_tbEUlT_E_NS1_11comp_targetILNS1_3genE9ELNS1_11target_archE1100ELNS1_3gpuE3ELNS1_3repE0EEENS1_30default_config_static_selectorELNS0_4arch9wavefront6targetE0EEEvT1_.kd
    .uniform_work_group_size: 1
    .uses_dynamic_stack: false
    .vgpr_count:     17
    .vgpr_spill_count: 0
    .wavefront_size: 32
    .workgroup_processor_mode: 1
  - .args:
      - .offset:         0
        .size:           56
        .value_kind:     by_value
    .group_segment_fixed_size: 0
    .kernarg_segment_align: 8
    .kernarg_segment_size: 56
    .language:       OpenCL C
    .language_version:
      - 2
      - 0
    .max_flat_workgroup_size: 1024
    .name:           _ZN7rocprim17ROCPRIM_400000_NS6detail17trampoline_kernelINS0_14default_configENS1_35adjacent_difference_config_selectorILb0EjEEZNS1_24adjacent_difference_implIS3_Lb0ELb0EPKjPjN6thrust23THRUST_200600_302600_NS4plusIjEEEE10hipError_tPvRmT2_T3_mT4_P12ihipStream_tbEUlT_E_NS1_11comp_targetILNS1_3genE8ELNS1_11target_archE1030ELNS1_3gpuE2ELNS1_3repE0EEENS1_30default_config_static_selectorELNS0_4arch9wavefront6targetE0EEEvT1_
    .private_segment_fixed_size: 0
    .sgpr_count:     0
    .sgpr_spill_count: 0
    .symbol:         _ZN7rocprim17ROCPRIM_400000_NS6detail17trampoline_kernelINS0_14default_configENS1_35adjacent_difference_config_selectorILb0EjEEZNS1_24adjacent_difference_implIS3_Lb0ELb0EPKjPjN6thrust23THRUST_200600_302600_NS4plusIjEEEE10hipError_tPvRmT2_T3_mT4_P12ihipStream_tbEUlT_E_NS1_11comp_targetILNS1_3genE8ELNS1_11target_archE1030ELNS1_3gpuE2ELNS1_3repE0EEENS1_30default_config_static_selectorELNS0_4arch9wavefront6targetE0EEEvT1_.kd
    .uniform_work_group_size: 1
    .uses_dynamic_stack: false
    .vgpr_count:     0
    .vgpr_spill_count: 0
    .wavefront_size: 32
    .workgroup_processor_mode: 1
  - .args:
      - .offset:         0
        .size:           56
        .value_kind:     by_value
    .group_segment_fixed_size: 0
    .kernarg_segment_align: 8
    .kernarg_segment_size: 56
    .language:       OpenCL C
    .language_version:
      - 2
      - 0
    .max_flat_workgroup_size: 128
    .name:           _ZN7rocprim17ROCPRIM_400000_NS6detail17trampoline_kernelINS0_14default_configENS1_25transform_config_selectorIjLb0EEEZNS1_14transform_implILb0ES3_S5_NS0_18transform_iteratorINS0_17counting_iteratorImlEEZNS1_24adjacent_difference_implIS3_Lb1ELb0EPKjPjN6thrust23THRUST_200600_302600_NS4plusIjEEEE10hipError_tPvRmT2_T3_mT4_P12ihipStream_tbEUlmE_jEESD_NS0_8identityIvEEEESI_SL_SM_mSN_SP_bEUlT_E_NS1_11comp_targetILNS1_3genE0ELNS1_11target_archE4294967295ELNS1_3gpuE0ELNS1_3repE0EEENS1_30default_config_static_selectorELNS0_4arch9wavefront6targetE0EEEvT1_
    .private_segment_fixed_size: 0
    .sgpr_count:     0
    .sgpr_spill_count: 0
    .symbol:         _ZN7rocprim17ROCPRIM_400000_NS6detail17trampoline_kernelINS0_14default_configENS1_25transform_config_selectorIjLb0EEEZNS1_14transform_implILb0ES3_S5_NS0_18transform_iteratorINS0_17counting_iteratorImlEEZNS1_24adjacent_difference_implIS3_Lb1ELb0EPKjPjN6thrust23THRUST_200600_302600_NS4plusIjEEEE10hipError_tPvRmT2_T3_mT4_P12ihipStream_tbEUlmE_jEESD_NS0_8identityIvEEEESI_SL_SM_mSN_SP_bEUlT_E_NS1_11comp_targetILNS1_3genE0ELNS1_11target_archE4294967295ELNS1_3gpuE0ELNS1_3repE0EEENS1_30default_config_static_selectorELNS0_4arch9wavefront6targetE0EEEvT1_.kd
    .uniform_work_group_size: 1
    .uses_dynamic_stack: false
    .vgpr_count:     0
    .vgpr_spill_count: 0
    .wavefront_size: 32
    .workgroup_processor_mode: 1
  - .args:
      - .offset:         0
        .size:           56
        .value_kind:     by_value
    .group_segment_fixed_size: 0
    .kernarg_segment_align: 8
    .kernarg_segment_size: 56
    .language:       OpenCL C
    .language_version:
      - 2
      - 0
    .max_flat_workgroup_size: 512
    .name:           _ZN7rocprim17ROCPRIM_400000_NS6detail17trampoline_kernelINS0_14default_configENS1_25transform_config_selectorIjLb0EEEZNS1_14transform_implILb0ES3_S5_NS0_18transform_iteratorINS0_17counting_iteratorImlEEZNS1_24adjacent_difference_implIS3_Lb1ELb0EPKjPjN6thrust23THRUST_200600_302600_NS4plusIjEEEE10hipError_tPvRmT2_T3_mT4_P12ihipStream_tbEUlmE_jEESD_NS0_8identityIvEEEESI_SL_SM_mSN_SP_bEUlT_E_NS1_11comp_targetILNS1_3genE5ELNS1_11target_archE942ELNS1_3gpuE9ELNS1_3repE0EEENS1_30default_config_static_selectorELNS0_4arch9wavefront6targetE0EEEvT1_
    .private_segment_fixed_size: 0
    .sgpr_count:     0
    .sgpr_spill_count: 0
    .symbol:         _ZN7rocprim17ROCPRIM_400000_NS6detail17trampoline_kernelINS0_14default_configENS1_25transform_config_selectorIjLb0EEEZNS1_14transform_implILb0ES3_S5_NS0_18transform_iteratorINS0_17counting_iteratorImlEEZNS1_24adjacent_difference_implIS3_Lb1ELb0EPKjPjN6thrust23THRUST_200600_302600_NS4plusIjEEEE10hipError_tPvRmT2_T3_mT4_P12ihipStream_tbEUlmE_jEESD_NS0_8identityIvEEEESI_SL_SM_mSN_SP_bEUlT_E_NS1_11comp_targetILNS1_3genE5ELNS1_11target_archE942ELNS1_3gpuE9ELNS1_3repE0EEENS1_30default_config_static_selectorELNS0_4arch9wavefront6targetE0EEEvT1_.kd
    .uniform_work_group_size: 1
    .uses_dynamic_stack: false
    .vgpr_count:     0
    .vgpr_spill_count: 0
    .wavefront_size: 32
    .workgroup_processor_mode: 1
  - .args:
      - .offset:         0
        .size:           56
        .value_kind:     by_value
    .group_segment_fixed_size: 0
    .kernarg_segment_align: 8
    .kernarg_segment_size: 56
    .language:       OpenCL C
    .language_version:
      - 2
      - 0
    .max_flat_workgroup_size: 1024
    .name:           _ZN7rocprim17ROCPRIM_400000_NS6detail17trampoline_kernelINS0_14default_configENS1_25transform_config_selectorIjLb0EEEZNS1_14transform_implILb0ES3_S5_NS0_18transform_iteratorINS0_17counting_iteratorImlEEZNS1_24adjacent_difference_implIS3_Lb1ELb0EPKjPjN6thrust23THRUST_200600_302600_NS4plusIjEEEE10hipError_tPvRmT2_T3_mT4_P12ihipStream_tbEUlmE_jEESD_NS0_8identityIvEEEESI_SL_SM_mSN_SP_bEUlT_E_NS1_11comp_targetILNS1_3genE4ELNS1_11target_archE910ELNS1_3gpuE8ELNS1_3repE0EEENS1_30default_config_static_selectorELNS0_4arch9wavefront6targetE0EEEvT1_
    .private_segment_fixed_size: 0
    .sgpr_count:     0
    .sgpr_spill_count: 0
    .symbol:         _ZN7rocprim17ROCPRIM_400000_NS6detail17trampoline_kernelINS0_14default_configENS1_25transform_config_selectorIjLb0EEEZNS1_14transform_implILb0ES3_S5_NS0_18transform_iteratorINS0_17counting_iteratorImlEEZNS1_24adjacent_difference_implIS3_Lb1ELb0EPKjPjN6thrust23THRUST_200600_302600_NS4plusIjEEEE10hipError_tPvRmT2_T3_mT4_P12ihipStream_tbEUlmE_jEESD_NS0_8identityIvEEEESI_SL_SM_mSN_SP_bEUlT_E_NS1_11comp_targetILNS1_3genE4ELNS1_11target_archE910ELNS1_3gpuE8ELNS1_3repE0EEENS1_30default_config_static_selectorELNS0_4arch9wavefront6targetE0EEEvT1_.kd
    .uniform_work_group_size: 1
    .uses_dynamic_stack: false
    .vgpr_count:     0
    .vgpr_spill_count: 0
    .wavefront_size: 32
    .workgroup_processor_mode: 1
  - .args:
      - .offset:         0
        .size:           56
        .value_kind:     by_value
    .group_segment_fixed_size: 0
    .kernarg_segment_align: 8
    .kernarg_segment_size: 56
    .language:       OpenCL C
    .language_version:
      - 2
      - 0
    .max_flat_workgroup_size: 128
    .name:           _ZN7rocprim17ROCPRIM_400000_NS6detail17trampoline_kernelINS0_14default_configENS1_25transform_config_selectorIjLb0EEEZNS1_14transform_implILb0ES3_S5_NS0_18transform_iteratorINS0_17counting_iteratorImlEEZNS1_24adjacent_difference_implIS3_Lb1ELb0EPKjPjN6thrust23THRUST_200600_302600_NS4plusIjEEEE10hipError_tPvRmT2_T3_mT4_P12ihipStream_tbEUlmE_jEESD_NS0_8identityIvEEEESI_SL_SM_mSN_SP_bEUlT_E_NS1_11comp_targetILNS1_3genE3ELNS1_11target_archE908ELNS1_3gpuE7ELNS1_3repE0EEENS1_30default_config_static_selectorELNS0_4arch9wavefront6targetE0EEEvT1_
    .private_segment_fixed_size: 0
    .sgpr_count:     0
    .sgpr_spill_count: 0
    .symbol:         _ZN7rocprim17ROCPRIM_400000_NS6detail17trampoline_kernelINS0_14default_configENS1_25transform_config_selectorIjLb0EEEZNS1_14transform_implILb0ES3_S5_NS0_18transform_iteratorINS0_17counting_iteratorImlEEZNS1_24adjacent_difference_implIS3_Lb1ELb0EPKjPjN6thrust23THRUST_200600_302600_NS4plusIjEEEE10hipError_tPvRmT2_T3_mT4_P12ihipStream_tbEUlmE_jEESD_NS0_8identityIvEEEESI_SL_SM_mSN_SP_bEUlT_E_NS1_11comp_targetILNS1_3genE3ELNS1_11target_archE908ELNS1_3gpuE7ELNS1_3repE0EEENS1_30default_config_static_selectorELNS0_4arch9wavefront6targetE0EEEvT1_.kd
    .uniform_work_group_size: 1
    .uses_dynamic_stack: false
    .vgpr_count:     0
    .vgpr_spill_count: 0
    .wavefront_size: 32
    .workgroup_processor_mode: 1
  - .args:
      - .offset:         0
        .size:           56
        .value_kind:     by_value
    .group_segment_fixed_size: 0
    .kernarg_segment_align: 8
    .kernarg_segment_size: 56
    .language:       OpenCL C
    .language_version:
      - 2
      - 0
    .max_flat_workgroup_size: 1024
    .name:           _ZN7rocprim17ROCPRIM_400000_NS6detail17trampoline_kernelINS0_14default_configENS1_25transform_config_selectorIjLb0EEEZNS1_14transform_implILb0ES3_S5_NS0_18transform_iteratorINS0_17counting_iteratorImlEEZNS1_24adjacent_difference_implIS3_Lb1ELb0EPKjPjN6thrust23THRUST_200600_302600_NS4plusIjEEEE10hipError_tPvRmT2_T3_mT4_P12ihipStream_tbEUlmE_jEESD_NS0_8identityIvEEEESI_SL_SM_mSN_SP_bEUlT_E_NS1_11comp_targetILNS1_3genE2ELNS1_11target_archE906ELNS1_3gpuE6ELNS1_3repE0EEENS1_30default_config_static_selectorELNS0_4arch9wavefront6targetE0EEEvT1_
    .private_segment_fixed_size: 0
    .sgpr_count:     0
    .sgpr_spill_count: 0
    .symbol:         _ZN7rocprim17ROCPRIM_400000_NS6detail17trampoline_kernelINS0_14default_configENS1_25transform_config_selectorIjLb0EEEZNS1_14transform_implILb0ES3_S5_NS0_18transform_iteratorINS0_17counting_iteratorImlEEZNS1_24adjacent_difference_implIS3_Lb1ELb0EPKjPjN6thrust23THRUST_200600_302600_NS4plusIjEEEE10hipError_tPvRmT2_T3_mT4_P12ihipStream_tbEUlmE_jEESD_NS0_8identityIvEEEESI_SL_SM_mSN_SP_bEUlT_E_NS1_11comp_targetILNS1_3genE2ELNS1_11target_archE906ELNS1_3gpuE6ELNS1_3repE0EEENS1_30default_config_static_selectorELNS0_4arch9wavefront6targetE0EEEvT1_.kd
    .uniform_work_group_size: 1
    .uses_dynamic_stack: false
    .vgpr_count:     0
    .vgpr_spill_count: 0
    .wavefront_size: 32
    .workgroup_processor_mode: 1
  - .args:
      - .offset:         0
        .size:           56
        .value_kind:     by_value
    .group_segment_fixed_size: 0
    .kernarg_segment_align: 8
    .kernarg_segment_size: 56
    .language:       OpenCL C
    .language_version:
      - 2
      - 0
    .max_flat_workgroup_size: 1024
    .name:           _ZN7rocprim17ROCPRIM_400000_NS6detail17trampoline_kernelINS0_14default_configENS1_25transform_config_selectorIjLb0EEEZNS1_14transform_implILb0ES3_S5_NS0_18transform_iteratorINS0_17counting_iteratorImlEEZNS1_24adjacent_difference_implIS3_Lb1ELb0EPKjPjN6thrust23THRUST_200600_302600_NS4plusIjEEEE10hipError_tPvRmT2_T3_mT4_P12ihipStream_tbEUlmE_jEESD_NS0_8identityIvEEEESI_SL_SM_mSN_SP_bEUlT_E_NS1_11comp_targetILNS1_3genE10ELNS1_11target_archE1201ELNS1_3gpuE5ELNS1_3repE0EEENS1_30default_config_static_selectorELNS0_4arch9wavefront6targetE0EEEvT1_
    .private_segment_fixed_size: 0
    .sgpr_count:     0
    .sgpr_spill_count: 0
    .symbol:         _ZN7rocprim17ROCPRIM_400000_NS6detail17trampoline_kernelINS0_14default_configENS1_25transform_config_selectorIjLb0EEEZNS1_14transform_implILb0ES3_S5_NS0_18transform_iteratorINS0_17counting_iteratorImlEEZNS1_24adjacent_difference_implIS3_Lb1ELb0EPKjPjN6thrust23THRUST_200600_302600_NS4plusIjEEEE10hipError_tPvRmT2_T3_mT4_P12ihipStream_tbEUlmE_jEESD_NS0_8identityIvEEEESI_SL_SM_mSN_SP_bEUlT_E_NS1_11comp_targetILNS1_3genE10ELNS1_11target_archE1201ELNS1_3gpuE5ELNS1_3repE0EEENS1_30default_config_static_selectorELNS0_4arch9wavefront6targetE0EEEvT1_.kd
    .uniform_work_group_size: 1
    .uses_dynamic_stack: false
    .vgpr_count:     0
    .vgpr_spill_count: 0
    .wavefront_size: 32
    .workgroup_processor_mode: 1
  - .args:
      - .offset:         0
        .size:           56
        .value_kind:     by_value
    .group_segment_fixed_size: 0
    .kernarg_segment_align: 8
    .kernarg_segment_size: 56
    .language:       OpenCL C
    .language_version:
      - 2
      - 0
    .max_flat_workgroup_size: 512
    .name:           _ZN7rocprim17ROCPRIM_400000_NS6detail17trampoline_kernelINS0_14default_configENS1_25transform_config_selectorIjLb0EEEZNS1_14transform_implILb0ES3_S5_NS0_18transform_iteratorINS0_17counting_iteratorImlEEZNS1_24adjacent_difference_implIS3_Lb1ELb0EPKjPjN6thrust23THRUST_200600_302600_NS4plusIjEEEE10hipError_tPvRmT2_T3_mT4_P12ihipStream_tbEUlmE_jEESD_NS0_8identityIvEEEESI_SL_SM_mSN_SP_bEUlT_E_NS1_11comp_targetILNS1_3genE10ELNS1_11target_archE1200ELNS1_3gpuE4ELNS1_3repE0EEENS1_30default_config_static_selectorELNS0_4arch9wavefront6targetE0EEEvT1_
    .private_segment_fixed_size: 0
    .sgpr_count:     0
    .sgpr_spill_count: 0
    .symbol:         _ZN7rocprim17ROCPRIM_400000_NS6detail17trampoline_kernelINS0_14default_configENS1_25transform_config_selectorIjLb0EEEZNS1_14transform_implILb0ES3_S5_NS0_18transform_iteratorINS0_17counting_iteratorImlEEZNS1_24adjacent_difference_implIS3_Lb1ELb0EPKjPjN6thrust23THRUST_200600_302600_NS4plusIjEEEE10hipError_tPvRmT2_T3_mT4_P12ihipStream_tbEUlmE_jEESD_NS0_8identityIvEEEESI_SL_SM_mSN_SP_bEUlT_E_NS1_11comp_targetILNS1_3genE10ELNS1_11target_archE1200ELNS1_3gpuE4ELNS1_3repE0EEENS1_30default_config_static_selectorELNS0_4arch9wavefront6targetE0EEEvT1_.kd
    .uniform_work_group_size: 1
    .uses_dynamic_stack: false
    .vgpr_count:     0
    .vgpr_spill_count: 0
    .wavefront_size: 32
    .workgroup_processor_mode: 1
  - .args:
      - .offset:         0
        .size:           56
        .value_kind:     by_value
      - .offset:         56
        .size:           4
        .value_kind:     hidden_block_count_x
      - .offset:         60
        .size:           4
        .value_kind:     hidden_block_count_y
      - .offset:         64
        .size:           4
        .value_kind:     hidden_block_count_z
      - .offset:         68
        .size:           2
        .value_kind:     hidden_group_size_x
      - .offset:         70
        .size:           2
        .value_kind:     hidden_group_size_y
      - .offset:         72
        .size:           2
        .value_kind:     hidden_group_size_z
      - .offset:         74
        .size:           2
        .value_kind:     hidden_remainder_x
      - .offset:         76
        .size:           2
        .value_kind:     hidden_remainder_y
      - .offset:         78
        .size:           2
        .value_kind:     hidden_remainder_z
      - .offset:         96
        .size:           8
        .value_kind:     hidden_global_offset_x
      - .offset:         104
        .size:           8
        .value_kind:     hidden_global_offset_y
      - .offset:         112
        .size:           8
        .value_kind:     hidden_global_offset_z
      - .offset:         120
        .size:           2
        .value_kind:     hidden_grid_dims
    .group_segment_fixed_size: 0
    .kernarg_segment_align: 8
    .kernarg_segment_size: 312
    .language:       OpenCL C
    .language_version:
      - 2
      - 0
    .max_flat_workgroup_size: 64
    .name:           _ZN7rocprim17ROCPRIM_400000_NS6detail17trampoline_kernelINS0_14default_configENS1_25transform_config_selectorIjLb0EEEZNS1_14transform_implILb0ES3_S5_NS0_18transform_iteratorINS0_17counting_iteratorImlEEZNS1_24adjacent_difference_implIS3_Lb1ELb0EPKjPjN6thrust23THRUST_200600_302600_NS4plusIjEEEE10hipError_tPvRmT2_T3_mT4_P12ihipStream_tbEUlmE_jEESD_NS0_8identityIvEEEESI_SL_SM_mSN_SP_bEUlT_E_NS1_11comp_targetILNS1_3genE9ELNS1_11target_archE1100ELNS1_3gpuE3ELNS1_3repE0EEENS1_30default_config_static_selectorELNS0_4arch9wavefront6targetE0EEEvT1_
    .private_segment_fixed_size: 0
    .sgpr_count:     18
    .sgpr_spill_count: 0
    .symbol:         _ZN7rocprim17ROCPRIM_400000_NS6detail17trampoline_kernelINS0_14default_configENS1_25transform_config_selectorIjLb0EEEZNS1_14transform_implILb0ES3_S5_NS0_18transform_iteratorINS0_17counting_iteratorImlEEZNS1_24adjacent_difference_implIS3_Lb1ELb0EPKjPjN6thrust23THRUST_200600_302600_NS4plusIjEEEE10hipError_tPvRmT2_T3_mT4_P12ihipStream_tbEUlmE_jEESD_NS0_8identityIvEEEESI_SL_SM_mSN_SP_bEUlT_E_NS1_11comp_targetILNS1_3genE9ELNS1_11target_archE1100ELNS1_3gpuE3ELNS1_3repE0EEENS1_30default_config_static_selectorELNS0_4arch9wavefront6targetE0EEEvT1_.kd
    .uniform_work_group_size: 1
    .uses_dynamic_stack: false
    .vgpr_count:     6
    .vgpr_spill_count: 0
    .wavefront_size: 32
    .workgroup_processor_mode: 1
  - .args:
      - .offset:         0
        .size:           56
        .value_kind:     by_value
    .group_segment_fixed_size: 0
    .kernarg_segment_align: 8
    .kernarg_segment_size: 56
    .language:       OpenCL C
    .language_version:
      - 2
      - 0
    .max_flat_workgroup_size: 256
    .name:           _ZN7rocprim17ROCPRIM_400000_NS6detail17trampoline_kernelINS0_14default_configENS1_25transform_config_selectorIjLb0EEEZNS1_14transform_implILb0ES3_S5_NS0_18transform_iteratorINS0_17counting_iteratorImlEEZNS1_24adjacent_difference_implIS3_Lb1ELb0EPKjPjN6thrust23THRUST_200600_302600_NS4plusIjEEEE10hipError_tPvRmT2_T3_mT4_P12ihipStream_tbEUlmE_jEESD_NS0_8identityIvEEEESI_SL_SM_mSN_SP_bEUlT_E_NS1_11comp_targetILNS1_3genE8ELNS1_11target_archE1030ELNS1_3gpuE2ELNS1_3repE0EEENS1_30default_config_static_selectorELNS0_4arch9wavefront6targetE0EEEvT1_
    .private_segment_fixed_size: 0
    .sgpr_count:     0
    .sgpr_spill_count: 0
    .symbol:         _ZN7rocprim17ROCPRIM_400000_NS6detail17trampoline_kernelINS0_14default_configENS1_25transform_config_selectorIjLb0EEEZNS1_14transform_implILb0ES3_S5_NS0_18transform_iteratorINS0_17counting_iteratorImlEEZNS1_24adjacent_difference_implIS3_Lb1ELb0EPKjPjN6thrust23THRUST_200600_302600_NS4plusIjEEEE10hipError_tPvRmT2_T3_mT4_P12ihipStream_tbEUlmE_jEESD_NS0_8identityIvEEEESI_SL_SM_mSN_SP_bEUlT_E_NS1_11comp_targetILNS1_3genE8ELNS1_11target_archE1030ELNS1_3gpuE2ELNS1_3repE0EEENS1_30default_config_static_selectorELNS0_4arch9wavefront6targetE0EEEvT1_.kd
    .uniform_work_group_size: 1
    .uses_dynamic_stack: false
    .vgpr_count:     0
    .vgpr_spill_count: 0
    .wavefront_size: 32
    .workgroup_processor_mode: 1
  - .args:
      - .offset:         0
        .size:           56
        .value_kind:     by_value
    .group_segment_fixed_size: 0
    .kernarg_segment_align: 8
    .kernarg_segment_size: 56
    .language:       OpenCL C
    .language_version:
      - 2
      - 0
    .max_flat_workgroup_size: 1024
    .name:           _ZN7rocprim17ROCPRIM_400000_NS6detail17trampoline_kernelINS0_14default_configENS1_35adjacent_difference_config_selectorILb1EjEEZNS1_24adjacent_difference_implIS3_Lb1ELb0EPKjPjN6thrust23THRUST_200600_302600_NS4plusIjEEEE10hipError_tPvRmT2_T3_mT4_P12ihipStream_tbEUlT_E_NS1_11comp_targetILNS1_3genE0ELNS1_11target_archE4294967295ELNS1_3gpuE0ELNS1_3repE0EEENS1_30default_config_static_selectorELNS0_4arch9wavefront6targetE0EEEvT1_
    .private_segment_fixed_size: 0
    .sgpr_count:     0
    .sgpr_spill_count: 0
    .symbol:         _ZN7rocprim17ROCPRIM_400000_NS6detail17trampoline_kernelINS0_14default_configENS1_35adjacent_difference_config_selectorILb1EjEEZNS1_24adjacent_difference_implIS3_Lb1ELb0EPKjPjN6thrust23THRUST_200600_302600_NS4plusIjEEEE10hipError_tPvRmT2_T3_mT4_P12ihipStream_tbEUlT_E_NS1_11comp_targetILNS1_3genE0ELNS1_11target_archE4294967295ELNS1_3gpuE0ELNS1_3repE0EEENS1_30default_config_static_selectorELNS0_4arch9wavefront6targetE0EEEvT1_.kd
    .uniform_work_group_size: 1
    .uses_dynamic_stack: false
    .vgpr_count:     0
    .vgpr_spill_count: 0
    .wavefront_size: 32
    .workgroup_processor_mode: 1
  - .args:
      - .offset:         0
        .size:           56
        .value_kind:     by_value
    .group_segment_fixed_size: 0
    .kernarg_segment_align: 8
    .kernarg_segment_size: 56
    .language:       OpenCL C
    .language_version:
      - 2
      - 0
    .max_flat_workgroup_size: 32
    .name:           _ZN7rocprim17ROCPRIM_400000_NS6detail17trampoline_kernelINS0_14default_configENS1_35adjacent_difference_config_selectorILb1EjEEZNS1_24adjacent_difference_implIS3_Lb1ELb0EPKjPjN6thrust23THRUST_200600_302600_NS4plusIjEEEE10hipError_tPvRmT2_T3_mT4_P12ihipStream_tbEUlT_E_NS1_11comp_targetILNS1_3genE10ELNS1_11target_archE1201ELNS1_3gpuE5ELNS1_3repE0EEENS1_30default_config_static_selectorELNS0_4arch9wavefront6targetE0EEEvT1_
    .private_segment_fixed_size: 0
    .sgpr_count:     0
    .sgpr_spill_count: 0
    .symbol:         _ZN7rocprim17ROCPRIM_400000_NS6detail17trampoline_kernelINS0_14default_configENS1_35adjacent_difference_config_selectorILb1EjEEZNS1_24adjacent_difference_implIS3_Lb1ELb0EPKjPjN6thrust23THRUST_200600_302600_NS4plusIjEEEE10hipError_tPvRmT2_T3_mT4_P12ihipStream_tbEUlT_E_NS1_11comp_targetILNS1_3genE10ELNS1_11target_archE1201ELNS1_3gpuE5ELNS1_3repE0EEENS1_30default_config_static_selectorELNS0_4arch9wavefront6targetE0EEEvT1_.kd
    .uniform_work_group_size: 1
    .uses_dynamic_stack: false
    .vgpr_count:     0
    .vgpr_spill_count: 0
    .wavefront_size: 32
    .workgroup_processor_mode: 1
  - .args:
      - .offset:         0
        .size:           56
        .value_kind:     by_value
    .group_segment_fixed_size: 0
    .kernarg_segment_align: 8
    .kernarg_segment_size: 56
    .language:       OpenCL C
    .language_version:
      - 2
      - 0
    .max_flat_workgroup_size: 512
    .name:           _ZN7rocprim17ROCPRIM_400000_NS6detail17trampoline_kernelINS0_14default_configENS1_35adjacent_difference_config_selectorILb1EjEEZNS1_24adjacent_difference_implIS3_Lb1ELb0EPKjPjN6thrust23THRUST_200600_302600_NS4plusIjEEEE10hipError_tPvRmT2_T3_mT4_P12ihipStream_tbEUlT_E_NS1_11comp_targetILNS1_3genE5ELNS1_11target_archE942ELNS1_3gpuE9ELNS1_3repE0EEENS1_30default_config_static_selectorELNS0_4arch9wavefront6targetE0EEEvT1_
    .private_segment_fixed_size: 0
    .sgpr_count:     0
    .sgpr_spill_count: 0
    .symbol:         _ZN7rocprim17ROCPRIM_400000_NS6detail17trampoline_kernelINS0_14default_configENS1_35adjacent_difference_config_selectorILb1EjEEZNS1_24adjacent_difference_implIS3_Lb1ELb0EPKjPjN6thrust23THRUST_200600_302600_NS4plusIjEEEE10hipError_tPvRmT2_T3_mT4_P12ihipStream_tbEUlT_E_NS1_11comp_targetILNS1_3genE5ELNS1_11target_archE942ELNS1_3gpuE9ELNS1_3repE0EEENS1_30default_config_static_selectorELNS0_4arch9wavefront6targetE0EEEvT1_.kd
    .uniform_work_group_size: 1
    .uses_dynamic_stack: false
    .vgpr_count:     0
    .vgpr_spill_count: 0
    .wavefront_size: 32
    .workgroup_processor_mode: 1
  - .args:
      - .offset:         0
        .size:           56
        .value_kind:     by_value
    .group_segment_fixed_size: 0
    .kernarg_segment_align: 8
    .kernarg_segment_size: 56
    .language:       OpenCL C
    .language_version:
      - 2
      - 0
    .max_flat_workgroup_size: 512
    .name:           _ZN7rocprim17ROCPRIM_400000_NS6detail17trampoline_kernelINS0_14default_configENS1_35adjacent_difference_config_selectorILb1EjEEZNS1_24adjacent_difference_implIS3_Lb1ELb0EPKjPjN6thrust23THRUST_200600_302600_NS4plusIjEEEE10hipError_tPvRmT2_T3_mT4_P12ihipStream_tbEUlT_E_NS1_11comp_targetILNS1_3genE4ELNS1_11target_archE910ELNS1_3gpuE8ELNS1_3repE0EEENS1_30default_config_static_selectorELNS0_4arch9wavefront6targetE0EEEvT1_
    .private_segment_fixed_size: 0
    .sgpr_count:     0
    .sgpr_spill_count: 0
    .symbol:         _ZN7rocprim17ROCPRIM_400000_NS6detail17trampoline_kernelINS0_14default_configENS1_35adjacent_difference_config_selectorILb1EjEEZNS1_24adjacent_difference_implIS3_Lb1ELb0EPKjPjN6thrust23THRUST_200600_302600_NS4plusIjEEEE10hipError_tPvRmT2_T3_mT4_P12ihipStream_tbEUlT_E_NS1_11comp_targetILNS1_3genE4ELNS1_11target_archE910ELNS1_3gpuE8ELNS1_3repE0EEENS1_30default_config_static_selectorELNS0_4arch9wavefront6targetE0EEEvT1_.kd
    .uniform_work_group_size: 1
    .uses_dynamic_stack: false
    .vgpr_count:     0
    .vgpr_spill_count: 0
    .wavefront_size: 32
    .workgroup_processor_mode: 1
  - .args:
      - .offset:         0
        .size:           56
        .value_kind:     by_value
    .group_segment_fixed_size: 0
    .kernarg_segment_align: 8
    .kernarg_segment_size: 56
    .language:       OpenCL C
    .language_version:
      - 2
      - 0
    .max_flat_workgroup_size: 1024
    .name:           _ZN7rocprim17ROCPRIM_400000_NS6detail17trampoline_kernelINS0_14default_configENS1_35adjacent_difference_config_selectorILb1EjEEZNS1_24adjacent_difference_implIS3_Lb1ELb0EPKjPjN6thrust23THRUST_200600_302600_NS4plusIjEEEE10hipError_tPvRmT2_T3_mT4_P12ihipStream_tbEUlT_E_NS1_11comp_targetILNS1_3genE3ELNS1_11target_archE908ELNS1_3gpuE7ELNS1_3repE0EEENS1_30default_config_static_selectorELNS0_4arch9wavefront6targetE0EEEvT1_
    .private_segment_fixed_size: 0
    .sgpr_count:     0
    .sgpr_spill_count: 0
    .symbol:         _ZN7rocprim17ROCPRIM_400000_NS6detail17trampoline_kernelINS0_14default_configENS1_35adjacent_difference_config_selectorILb1EjEEZNS1_24adjacent_difference_implIS3_Lb1ELb0EPKjPjN6thrust23THRUST_200600_302600_NS4plusIjEEEE10hipError_tPvRmT2_T3_mT4_P12ihipStream_tbEUlT_E_NS1_11comp_targetILNS1_3genE3ELNS1_11target_archE908ELNS1_3gpuE7ELNS1_3repE0EEENS1_30default_config_static_selectorELNS0_4arch9wavefront6targetE0EEEvT1_.kd
    .uniform_work_group_size: 1
    .uses_dynamic_stack: false
    .vgpr_count:     0
    .vgpr_spill_count: 0
    .wavefront_size: 32
    .workgroup_processor_mode: 1
  - .args:
      - .offset:         0
        .size:           56
        .value_kind:     by_value
    .group_segment_fixed_size: 0
    .kernarg_segment_align: 8
    .kernarg_segment_size: 56
    .language:       OpenCL C
    .language_version:
      - 2
      - 0
    .max_flat_workgroup_size: 256
    .name:           _ZN7rocprim17ROCPRIM_400000_NS6detail17trampoline_kernelINS0_14default_configENS1_35adjacent_difference_config_selectorILb1EjEEZNS1_24adjacent_difference_implIS3_Lb1ELb0EPKjPjN6thrust23THRUST_200600_302600_NS4plusIjEEEE10hipError_tPvRmT2_T3_mT4_P12ihipStream_tbEUlT_E_NS1_11comp_targetILNS1_3genE2ELNS1_11target_archE906ELNS1_3gpuE6ELNS1_3repE0EEENS1_30default_config_static_selectorELNS0_4arch9wavefront6targetE0EEEvT1_
    .private_segment_fixed_size: 0
    .sgpr_count:     0
    .sgpr_spill_count: 0
    .symbol:         _ZN7rocprim17ROCPRIM_400000_NS6detail17trampoline_kernelINS0_14default_configENS1_35adjacent_difference_config_selectorILb1EjEEZNS1_24adjacent_difference_implIS3_Lb1ELb0EPKjPjN6thrust23THRUST_200600_302600_NS4plusIjEEEE10hipError_tPvRmT2_T3_mT4_P12ihipStream_tbEUlT_E_NS1_11comp_targetILNS1_3genE2ELNS1_11target_archE906ELNS1_3gpuE6ELNS1_3repE0EEENS1_30default_config_static_selectorELNS0_4arch9wavefront6targetE0EEEvT1_.kd
    .uniform_work_group_size: 1
    .uses_dynamic_stack: false
    .vgpr_count:     0
    .vgpr_spill_count: 0
    .wavefront_size: 32
    .workgroup_processor_mode: 1
  - .args:
      - .offset:         0
        .size:           56
        .value_kind:     by_value
    .group_segment_fixed_size: 14848
    .kernarg_segment_align: 8
    .kernarg_segment_size: 56
    .language:       OpenCL C
    .language_version:
      - 2
      - 0
    .max_flat_workgroup_size: 128
    .name:           _ZN7rocprim17ROCPRIM_400000_NS6detail17trampoline_kernelINS0_14default_configENS1_35adjacent_difference_config_selectorILb1EjEEZNS1_24adjacent_difference_implIS3_Lb1ELb0EPKjPjN6thrust23THRUST_200600_302600_NS4plusIjEEEE10hipError_tPvRmT2_T3_mT4_P12ihipStream_tbEUlT_E_NS1_11comp_targetILNS1_3genE9ELNS1_11target_archE1100ELNS1_3gpuE3ELNS1_3repE0EEENS1_30default_config_static_selectorELNS0_4arch9wavefront6targetE0EEEvT1_
    .private_segment_fixed_size: 0
    .sgpr_count:     46
    .sgpr_spill_count: 0
    .symbol:         _ZN7rocprim17ROCPRIM_400000_NS6detail17trampoline_kernelINS0_14default_configENS1_35adjacent_difference_config_selectorILb1EjEEZNS1_24adjacent_difference_implIS3_Lb1ELb0EPKjPjN6thrust23THRUST_200600_302600_NS4plusIjEEEE10hipError_tPvRmT2_T3_mT4_P12ihipStream_tbEUlT_E_NS1_11comp_targetILNS1_3genE9ELNS1_11target_archE1100ELNS1_3gpuE3ELNS1_3repE0EEENS1_30default_config_static_selectorELNS0_4arch9wavefront6targetE0EEEvT1_.kd
    .uniform_work_group_size: 1
    .uses_dynamic_stack: false
    .vgpr_count:     64
    .vgpr_spill_count: 0
    .wavefront_size: 32
    .workgroup_processor_mode: 1
  - .args:
      - .offset:         0
        .size:           56
        .value_kind:     by_value
    .group_segment_fixed_size: 0
    .kernarg_segment_align: 8
    .kernarg_segment_size: 56
    .language:       OpenCL C
    .language_version:
      - 2
      - 0
    .max_flat_workgroup_size: 32
    .name:           _ZN7rocprim17ROCPRIM_400000_NS6detail17trampoline_kernelINS0_14default_configENS1_35adjacent_difference_config_selectorILb1EjEEZNS1_24adjacent_difference_implIS3_Lb1ELb0EPKjPjN6thrust23THRUST_200600_302600_NS4plusIjEEEE10hipError_tPvRmT2_T3_mT4_P12ihipStream_tbEUlT_E_NS1_11comp_targetILNS1_3genE8ELNS1_11target_archE1030ELNS1_3gpuE2ELNS1_3repE0EEENS1_30default_config_static_selectorELNS0_4arch9wavefront6targetE0EEEvT1_
    .private_segment_fixed_size: 0
    .sgpr_count:     0
    .sgpr_spill_count: 0
    .symbol:         _ZN7rocprim17ROCPRIM_400000_NS6detail17trampoline_kernelINS0_14default_configENS1_35adjacent_difference_config_selectorILb1EjEEZNS1_24adjacent_difference_implIS3_Lb1ELb0EPKjPjN6thrust23THRUST_200600_302600_NS4plusIjEEEE10hipError_tPvRmT2_T3_mT4_P12ihipStream_tbEUlT_E_NS1_11comp_targetILNS1_3genE8ELNS1_11target_archE1030ELNS1_3gpuE2ELNS1_3repE0EEENS1_30default_config_static_selectorELNS0_4arch9wavefront6targetE0EEEvT1_.kd
    .uniform_work_group_size: 1
    .uses_dynamic_stack: false
    .vgpr_count:     0
    .vgpr_spill_count: 0
    .wavefront_size: 32
    .workgroup_processor_mode: 1
  - .args:
      - .offset:         0
        .size:           56
        .value_kind:     by_value
    .group_segment_fixed_size: 0
    .kernarg_segment_align: 8
    .kernarg_segment_size: 56
    .language:       OpenCL C
    .language_version:
      - 2
      - 0
    .max_flat_workgroup_size: 64
    .name:           _ZN7rocprim17ROCPRIM_400000_NS6detail17trampoline_kernelINS0_14default_configENS1_35adjacent_difference_config_selectorILb0EtEEZNS1_24adjacent_difference_implIS3_Lb0ELb0EPKtPtN6thrust23THRUST_200600_302600_NS4plusItEEEE10hipError_tPvRmT2_T3_mT4_P12ihipStream_tbEUlT_E_NS1_11comp_targetILNS1_3genE0ELNS1_11target_archE4294967295ELNS1_3gpuE0ELNS1_3repE0EEENS1_30default_config_static_selectorELNS0_4arch9wavefront6targetE0EEEvT1_
    .private_segment_fixed_size: 0
    .sgpr_count:     0
    .sgpr_spill_count: 0
    .symbol:         _ZN7rocprim17ROCPRIM_400000_NS6detail17trampoline_kernelINS0_14default_configENS1_35adjacent_difference_config_selectorILb0EtEEZNS1_24adjacent_difference_implIS3_Lb0ELb0EPKtPtN6thrust23THRUST_200600_302600_NS4plusItEEEE10hipError_tPvRmT2_T3_mT4_P12ihipStream_tbEUlT_E_NS1_11comp_targetILNS1_3genE0ELNS1_11target_archE4294967295ELNS1_3gpuE0ELNS1_3repE0EEENS1_30default_config_static_selectorELNS0_4arch9wavefront6targetE0EEEvT1_.kd
    .uniform_work_group_size: 1
    .uses_dynamic_stack: false
    .vgpr_count:     0
    .vgpr_spill_count: 0
    .wavefront_size: 32
    .workgroup_processor_mode: 1
  - .args:
      - .offset:         0
        .size:           56
        .value_kind:     by_value
    .group_segment_fixed_size: 0
    .kernarg_segment_align: 8
    .kernarg_segment_size: 56
    .language:       OpenCL C
    .language_version:
      - 2
      - 0
    .max_flat_workgroup_size: 128
    .name:           _ZN7rocprim17ROCPRIM_400000_NS6detail17trampoline_kernelINS0_14default_configENS1_35adjacent_difference_config_selectorILb0EtEEZNS1_24adjacent_difference_implIS3_Lb0ELb0EPKtPtN6thrust23THRUST_200600_302600_NS4plusItEEEE10hipError_tPvRmT2_T3_mT4_P12ihipStream_tbEUlT_E_NS1_11comp_targetILNS1_3genE10ELNS1_11target_archE1201ELNS1_3gpuE5ELNS1_3repE0EEENS1_30default_config_static_selectorELNS0_4arch9wavefront6targetE0EEEvT1_
    .private_segment_fixed_size: 0
    .sgpr_count:     0
    .sgpr_spill_count: 0
    .symbol:         _ZN7rocprim17ROCPRIM_400000_NS6detail17trampoline_kernelINS0_14default_configENS1_35adjacent_difference_config_selectorILb0EtEEZNS1_24adjacent_difference_implIS3_Lb0ELb0EPKtPtN6thrust23THRUST_200600_302600_NS4plusItEEEE10hipError_tPvRmT2_T3_mT4_P12ihipStream_tbEUlT_E_NS1_11comp_targetILNS1_3genE10ELNS1_11target_archE1201ELNS1_3gpuE5ELNS1_3repE0EEENS1_30default_config_static_selectorELNS0_4arch9wavefront6targetE0EEEvT1_.kd
    .uniform_work_group_size: 1
    .uses_dynamic_stack: false
    .vgpr_count:     0
    .vgpr_spill_count: 0
    .wavefront_size: 32
    .workgroup_processor_mode: 1
  - .args:
      - .offset:         0
        .size:           56
        .value_kind:     by_value
    .group_segment_fixed_size: 0
    .kernarg_segment_align: 8
    .kernarg_segment_size: 56
    .language:       OpenCL C
    .language_version:
      - 2
      - 0
    .max_flat_workgroup_size: 256
    .name:           _ZN7rocprim17ROCPRIM_400000_NS6detail17trampoline_kernelINS0_14default_configENS1_35adjacent_difference_config_selectorILb0EtEEZNS1_24adjacent_difference_implIS3_Lb0ELb0EPKtPtN6thrust23THRUST_200600_302600_NS4plusItEEEE10hipError_tPvRmT2_T3_mT4_P12ihipStream_tbEUlT_E_NS1_11comp_targetILNS1_3genE5ELNS1_11target_archE942ELNS1_3gpuE9ELNS1_3repE0EEENS1_30default_config_static_selectorELNS0_4arch9wavefront6targetE0EEEvT1_
    .private_segment_fixed_size: 0
    .sgpr_count:     0
    .sgpr_spill_count: 0
    .symbol:         _ZN7rocprim17ROCPRIM_400000_NS6detail17trampoline_kernelINS0_14default_configENS1_35adjacent_difference_config_selectorILb0EtEEZNS1_24adjacent_difference_implIS3_Lb0ELb0EPKtPtN6thrust23THRUST_200600_302600_NS4plusItEEEE10hipError_tPvRmT2_T3_mT4_P12ihipStream_tbEUlT_E_NS1_11comp_targetILNS1_3genE5ELNS1_11target_archE942ELNS1_3gpuE9ELNS1_3repE0EEENS1_30default_config_static_selectorELNS0_4arch9wavefront6targetE0EEEvT1_.kd
    .uniform_work_group_size: 1
    .uses_dynamic_stack: false
    .vgpr_count:     0
    .vgpr_spill_count: 0
    .wavefront_size: 32
    .workgroup_processor_mode: 1
  - .args:
      - .offset:         0
        .size:           56
        .value_kind:     by_value
    .group_segment_fixed_size: 0
    .kernarg_segment_align: 8
    .kernarg_segment_size: 56
    .language:       OpenCL C
    .language_version:
      - 2
      - 0
    .max_flat_workgroup_size: 64
    .name:           _ZN7rocprim17ROCPRIM_400000_NS6detail17trampoline_kernelINS0_14default_configENS1_35adjacent_difference_config_selectorILb0EtEEZNS1_24adjacent_difference_implIS3_Lb0ELb0EPKtPtN6thrust23THRUST_200600_302600_NS4plusItEEEE10hipError_tPvRmT2_T3_mT4_P12ihipStream_tbEUlT_E_NS1_11comp_targetILNS1_3genE4ELNS1_11target_archE910ELNS1_3gpuE8ELNS1_3repE0EEENS1_30default_config_static_selectorELNS0_4arch9wavefront6targetE0EEEvT1_
    .private_segment_fixed_size: 0
    .sgpr_count:     0
    .sgpr_spill_count: 0
    .symbol:         _ZN7rocprim17ROCPRIM_400000_NS6detail17trampoline_kernelINS0_14default_configENS1_35adjacent_difference_config_selectorILb0EtEEZNS1_24adjacent_difference_implIS3_Lb0ELb0EPKtPtN6thrust23THRUST_200600_302600_NS4plusItEEEE10hipError_tPvRmT2_T3_mT4_P12ihipStream_tbEUlT_E_NS1_11comp_targetILNS1_3genE4ELNS1_11target_archE910ELNS1_3gpuE8ELNS1_3repE0EEENS1_30default_config_static_selectorELNS0_4arch9wavefront6targetE0EEEvT1_.kd
    .uniform_work_group_size: 1
    .uses_dynamic_stack: false
    .vgpr_count:     0
    .vgpr_spill_count: 0
    .wavefront_size: 32
    .workgroup_processor_mode: 1
  - .args:
      - .offset:         0
        .size:           56
        .value_kind:     by_value
    .group_segment_fixed_size: 0
    .kernarg_segment_align: 8
    .kernarg_segment_size: 56
    .language:       OpenCL C
    .language_version:
      - 2
      - 0
    .max_flat_workgroup_size: 64
    .name:           _ZN7rocprim17ROCPRIM_400000_NS6detail17trampoline_kernelINS0_14default_configENS1_35adjacent_difference_config_selectorILb0EtEEZNS1_24adjacent_difference_implIS3_Lb0ELb0EPKtPtN6thrust23THRUST_200600_302600_NS4plusItEEEE10hipError_tPvRmT2_T3_mT4_P12ihipStream_tbEUlT_E_NS1_11comp_targetILNS1_3genE3ELNS1_11target_archE908ELNS1_3gpuE7ELNS1_3repE0EEENS1_30default_config_static_selectorELNS0_4arch9wavefront6targetE0EEEvT1_
    .private_segment_fixed_size: 0
    .sgpr_count:     0
    .sgpr_spill_count: 0
    .symbol:         _ZN7rocprim17ROCPRIM_400000_NS6detail17trampoline_kernelINS0_14default_configENS1_35adjacent_difference_config_selectorILb0EtEEZNS1_24adjacent_difference_implIS3_Lb0ELb0EPKtPtN6thrust23THRUST_200600_302600_NS4plusItEEEE10hipError_tPvRmT2_T3_mT4_P12ihipStream_tbEUlT_E_NS1_11comp_targetILNS1_3genE3ELNS1_11target_archE908ELNS1_3gpuE7ELNS1_3repE0EEENS1_30default_config_static_selectorELNS0_4arch9wavefront6targetE0EEEvT1_.kd
    .uniform_work_group_size: 1
    .uses_dynamic_stack: false
    .vgpr_count:     0
    .vgpr_spill_count: 0
    .wavefront_size: 32
    .workgroup_processor_mode: 1
  - .args:
      - .offset:         0
        .size:           56
        .value_kind:     by_value
    .group_segment_fixed_size: 0
    .kernarg_segment_align: 8
    .kernarg_segment_size: 56
    .language:       OpenCL C
    .language_version:
      - 2
      - 0
    .max_flat_workgroup_size: 64
    .name:           _ZN7rocprim17ROCPRIM_400000_NS6detail17trampoline_kernelINS0_14default_configENS1_35adjacent_difference_config_selectorILb0EtEEZNS1_24adjacent_difference_implIS3_Lb0ELb0EPKtPtN6thrust23THRUST_200600_302600_NS4plusItEEEE10hipError_tPvRmT2_T3_mT4_P12ihipStream_tbEUlT_E_NS1_11comp_targetILNS1_3genE2ELNS1_11target_archE906ELNS1_3gpuE6ELNS1_3repE0EEENS1_30default_config_static_selectorELNS0_4arch9wavefront6targetE0EEEvT1_
    .private_segment_fixed_size: 0
    .sgpr_count:     0
    .sgpr_spill_count: 0
    .symbol:         _ZN7rocprim17ROCPRIM_400000_NS6detail17trampoline_kernelINS0_14default_configENS1_35adjacent_difference_config_selectorILb0EtEEZNS1_24adjacent_difference_implIS3_Lb0ELb0EPKtPtN6thrust23THRUST_200600_302600_NS4plusItEEEE10hipError_tPvRmT2_T3_mT4_P12ihipStream_tbEUlT_E_NS1_11comp_targetILNS1_3genE2ELNS1_11target_archE906ELNS1_3gpuE6ELNS1_3repE0EEENS1_30default_config_static_selectorELNS0_4arch9wavefront6targetE0EEEvT1_.kd
    .uniform_work_group_size: 1
    .uses_dynamic_stack: false
    .vgpr_count:     0
    .vgpr_spill_count: 0
    .wavefront_size: 32
    .workgroup_processor_mode: 1
  - .args:
      - .offset:         0
        .size:           56
        .value_kind:     by_value
    .group_segment_fixed_size: 896
    .kernarg_segment_align: 8
    .kernarg_segment_size: 56
    .language:       OpenCL C
    .language_version:
      - 2
      - 0
    .max_flat_workgroup_size: 64
    .name:           _ZN7rocprim17ROCPRIM_400000_NS6detail17trampoline_kernelINS0_14default_configENS1_35adjacent_difference_config_selectorILb0EtEEZNS1_24adjacent_difference_implIS3_Lb0ELb0EPKtPtN6thrust23THRUST_200600_302600_NS4plusItEEEE10hipError_tPvRmT2_T3_mT4_P12ihipStream_tbEUlT_E_NS1_11comp_targetILNS1_3genE9ELNS1_11target_archE1100ELNS1_3gpuE3ELNS1_3repE0EEENS1_30default_config_static_selectorELNS0_4arch9wavefront6targetE0EEEvT1_
    .private_segment_fixed_size: 0
    .sgpr_count:     23
    .sgpr_spill_count: 0
    .symbol:         _ZN7rocprim17ROCPRIM_400000_NS6detail17trampoline_kernelINS0_14default_configENS1_35adjacent_difference_config_selectorILb0EtEEZNS1_24adjacent_difference_implIS3_Lb0ELb0EPKtPtN6thrust23THRUST_200600_302600_NS4plusItEEEE10hipError_tPvRmT2_T3_mT4_P12ihipStream_tbEUlT_E_NS1_11comp_targetILNS1_3genE9ELNS1_11target_archE1100ELNS1_3gpuE3ELNS1_3repE0EEENS1_30default_config_static_selectorELNS0_4arch9wavefront6targetE0EEEvT1_.kd
    .uniform_work_group_size: 1
    .uses_dynamic_stack: false
    .vgpr_count:     22
    .vgpr_spill_count: 0
    .wavefront_size: 32
    .workgroup_processor_mode: 1
  - .args:
      - .offset:         0
        .size:           56
        .value_kind:     by_value
    .group_segment_fixed_size: 0
    .kernarg_segment_align: 8
    .kernarg_segment_size: 56
    .language:       OpenCL C
    .language_version:
      - 2
      - 0
    .max_flat_workgroup_size: 1024
    .name:           _ZN7rocprim17ROCPRIM_400000_NS6detail17trampoline_kernelINS0_14default_configENS1_35adjacent_difference_config_selectorILb0EtEEZNS1_24adjacent_difference_implIS3_Lb0ELb0EPKtPtN6thrust23THRUST_200600_302600_NS4plusItEEEE10hipError_tPvRmT2_T3_mT4_P12ihipStream_tbEUlT_E_NS1_11comp_targetILNS1_3genE8ELNS1_11target_archE1030ELNS1_3gpuE2ELNS1_3repE0EEENS1_30default_config_static_selectorELNS0_4arch9wavefront6targetE0EEEvT1_
    .private_segment_fixed_size: 0
    .sgpr_count:     0
    .sgpr_spill_count: 0
    .symbol:         _ZN7rocprim17ROCPRIM_400000_NS6detail17trampoline_kernelINS0_14default_configENS1_35adjacent_difference_config_selectorILb0EtEEZNS1_24adjacent_difference_implIS3_Lb0ELb0EPKtPtN6thrust23THRUST_200600_302600_NS4plusItEEEE10hipError_tPvRmT2_T3_mT4_P12ihipStream_tbEUlT_E_NS1_11comp_targetILNS1_3genE8ELNS1_11target_archE1030ELNS1_3gpuE2ELNS1_3repE0EEENS1_30default_config_static_selectorELNS0_4arch9wavefront6targetE0EEEvT1_.kd
    .uniform_work_group_size: 1
    .uses_dynamic_stack: false
    .vgpr_count:     0
    .vgpr_spill_count: 0
    .wavefront_size: 32
    .workgroup_processor_mode: 1
  - .args:
      - .offset:         0
        .size:           56
        .value_kind:     by_value
    .group_segment_fixed_size: 0
    .kernarg_segment_align: 8
    .kernarg_segment_size: 56
    .language:       OpenCL C
    .language_version:
      - 2
      - 0
    .max_flat_workgroup_size: 128
    .name:           _ZN7rocprim17ROCPRIM_400000_NS6detail17trampoline_kernelINS0_14default_configENS1_25transform_config_selectorItLb0EEEZNS1_14transform_implILb0ES3_S5_NS0_18transform_iteratorINS0_17counting_iteratorImlEEZNS1_24adjacent_difference_implIS3_Lb1ELb0EPKtPtN6thrust23THRUST_200600_302600_NS4plusItEEEE10hipError_tPvRmT2_T3_mT4_P12ihipStream_tbEUlmE_tEESD_NS0_8identityIvEEEESI_SL_SM_mSN_SP_bEUlT_E_NS1_11comp_targetILNS1_3genE0ELNS1_11target_archE4294967295ELNS1_3gpuE0ELNS1_3repE0EEENS1_30default_config_static_selectorELNS0_4arch9wavefront6targetE0EEEvT1_
    .private_segment_fixed_size: 0
    .sgpr_count:     0
    .sgpr_spill_count: 0
    .symbol:         _ZN7rocprim17ROCPRIM_400000_NS6detail17trampoline_kernelINS0_14default_configENS1_25transform_config_selectorItLb0EEEZNS1_14transform_implILb0ES3_S5_NS0_18transform_iteratorINS0_17counting_iteratorImlEEZNS1_24adjacent_difference_implIS3_Lb1ELb0EPKtPtN6thrust23THRUST_200600_302600_NS4plusItEEEE10hipError_tPvRmT2_T3_mT4_P12ihipStream_tbEUlmE_tEESD_NS0_8identityIvEEEESI_SL_SM_mSN_SP_bEUlT_E_NS1_11comp_targetILNS1_3genE0ELNS1_11target_archE4294967295ELNS1_3gpuE0ELNS1_3repE0EEENS1_30default_config_static_selectorELNS0_4arch9wavefront6targetE0EEEvT1_.kd
    .uniform_work_group_size: 1
    .uses_dynamic_stack: false
    .vgpr_count:     0
    .vgpr_spill_count: 0
    .wavefront_size: 32
    .workgroup_processor_mode: 1
  - .args:
      - .offset:         0
        .size:           56
        .value_kind:     by_value
    .group_segment_fixed_size: 0
    .kernarg_segment_align: 8
    .kernarg_segment_size: 56
    .language:       OpenCL C
    .language_version:
      - 2
      - 0
    .max_flat_workgroup_size: 256
    .name:           _ZN7rocprim17ROCPRIM_400000_NS6detail17trampoline_kernelINS0_14default_configENS1_25transform_config_selectorItLb0EEEZNS1_14transform_implILb0ES3_S5_NS0_18transform_iteratorINS0_17counting_iteratorImlEEZNS1_24adjacent_difference_implIS3_Lb1ELb0EPKtPtN6thrust23THRUST_200600_302600_NS4plusItEEEE10hipError_tPvRmT2_T3_mT4_P12ihipStream_tbEUlmE_tEESD_NS0_8identityIvEEEESI_SL_SM_mSN_SP_bEUlT_E_NS1_11comp_targetILNS1_3genE5ELNS1_11target_archE942ELNS1_3gpuE9ELNS1_3repE0EEENS1_30default_config_static_selectorELNS0_4arch9wavefront6targetE0EEEvT1_
    .private_segment_fixed_size: 0
    .sgpr_count:     0
    .sgpr_spill_count: 0
    .symbol:         _ZN7rocprim17ROCPRIM_400000_NS6detail17trampoline_kernelINS0_14default_configENS1_25transform_config_selectorItLb0EEEZNS1_14transform_implILb0ES3_S5_NS0_18transform_iteratorINS0_17counting_iteratorImlEEZNS1_24adjacent_difference_implIS3_Lb1ELb0EPKtPtN6thrust23THRUST_200600_302600_NS4plusItEEEE10hipError_tPvRmT2_T3_mT4_P12ihipStream_tbEUlmE_tEESD_NS0_8identityIvEEEESI_SL_SM_mSN_SP_bEUlT_E_NS1_11comp_targetILNS1_3genE5ELNS1_11target_archE942ELNS1_3gpuE9ELNS1_3repE0EEENS1_30default_config_static_selectorELNS0_4arch9wavefront6targetE0EEEvT1_.kd
    .uniform_work_group_size: 1
    .uses_dynamic_stack: false
    .vgpr_count:     0
    .vgpr_spill_count: 0
    .wavefront_size: 32
    .workgroup_processor_mode: 1
  - .args:
      - .offset:         0
        .size:           56
        .value_kind:     by_value
    .group_segment_fixed_size: 0
    .kernarg_segment_align: 8
    .kernarg_segment_size: 56
    .language:       OpenCL C
    .language_version:
      - 2
      - 0
    .max_flat_workgroup_size: 64
    .name:           _ZN7rocprim17ROCPRIM_400000_NS6detail17trampoline_kernelINS0_14default_configENS1_25transform_config_selectorItLb0EEEZNS1_14transform_implILb0ES3_S5_NS0_18transform_iteratorINS0_17counting_iteratorImlEEZNS1_24adjacent_difference_implIS3_Lb1ELb0EPKtPtN6thrust23THRUST_200600_302600_NS4plusItEEEE10hipError_tPvRmT2_T3_mT4_P12ihipStream_tbEUlmE_tEESD_NS0_8identityIvEEEESI_SL_SM_mSN_SP_bEUlT_E_NS1_11comp_targetILNS1_3genE4ELNS1_11target_archE910ELNS1_3gpuE8ELNS1_3repE0EEENS1_30default_config_static_selectorELNS0_4arch9wavefront6targetE0EEEvT1_
    .private_segment_fixed_size: 0
    .sgpr_count:     0
    .sgpr_spill_count: 0
    .symbol:         _ZN7rocprim17ROCPRIM_400000_NS6detail17trampoline_kernelINS0_14default_configENS1_25transform_config_selectorItLb0EEEZNS1_14transform_implILb0ES3_S5_NS0_18transform_iteratorINS0_17counting_iteratorImlEEZNS1_24adjacent_difference_implIS3_Lb1ELb0EPKtPtN6thrust23THRUST_200600_302600_NS4plusItEEEE10hipError_tPvRmT2_T3_mT4_P12ihipStream_tbEUlmE_tEESD_NS0_8identityIvEEEESI_SL_SM_mSN_SP_bEUlT_E_NS1_11comp_targetILNS1_3genE4ELNS1_11target_archE910ELNS1_3gpuE8ELNS1_3repE0EEENS1_30default_config_static_selectorELNS0_4arch9wavefront6targetE0EEEvT1_.kd
    .uniform_work_group_size: 1
    .uses_dynamic_stack: false
    .vgpr_count:     0
    .vgpr_spill_count: 0
    .wavefront_size: 32
    .workgroup_processor_mode: 1
  - .args:
      - .offset:         0
        .size:           56
        .value_kind:     by_value
    .group_segment_fixed_size: 0
    .kernarg_segment_align: 8
    .kernarg_segment_size: 56
    .language:       OpenCL C
    .language_version:
      - 2
      - 0
    .max_flat_workgroup_size: 128
    .name:           _ZN7rocprim17ROCPRIM_400000_NS6detail17trampoline_kernelINS0_14default_configENS1_25transform_config_selectorItLb0EEEZNS1_14transform_implILb0ES3_S5_NS0_18transform_iteratorINS0_17counting_iteratorImlEEZNS1_24adjacent_difference_implIS3_Lb1ELb0EPKtPtN6thrust23THRUST_200600_302600_NS4plusItEEEE10hipError_tPvRmT2_T3_mT4_P12ihipStream_tbEUlmE_tEESD_NS0_8identityIvEEEESI_SL_SM_mSN_SP_bEUlT_E_NS1_11comp_targetILNS1_3genE3ELNS1_11target_archE908ELNS1_3gpuE7ELNS1_3repE0EEENS1_30default_config_static_selectorELNS0_4arch9wavefront6targetE0EEEvT1_
    .private_segment_fixed_size: 0
    .sgpr_count:     0
    .sgpr_spill_count: 0
    .symbol:         _ZN7rocprim17ROCPRIM_400000_NS6detail17trampoline_kernelINS0_14default_configENS1_25transform_config_selectorItLb0EEEZNS1_14transform_implILb0ES3_S5_NS0_18transform_iteratorINS0_17counting_iteratorImlEEZNS1_24adjacent_difference_implIS3_Lb1ELb0EPKtPtN6thrust23THRUST_200600_302600_NS4plusItEEEE10hipError_tPvRmT2_T3_mT4_P12ihipStream_tbEUlmE_tEESD_NS0_8identityIvEEEESI_SL_SM_mSN_SP_bEUlT_E_NS1_11comp_targetILNS1_3genE3ELNS1_11target_archE908ELNS1_3gpuE7ELNS1_3repE0EEENS1_30default_config_static_selectorELNS0_4arch9wavefront6targetE0EEEvT1_.kd
    .uniform_work_group_size: 1
    .uses_dynamic_stack: false
    .vgpr_count:     0
    .vgpr_spill_count: 0
    .wavefront_size: 32
    .workgroup_processor_mode: 1
  - .args:
      - .offset:         0
        .size:           56
        .value_kind:     by_value
    .group_segment_fixed_size: 0
    .kernarg_segment_align: 8
    .kernarg_segment_size: 56
    .language:       OpenCL C
    .language_version:
      - 2
      - 0
    .max_flat_workgroup_size: 512
    .name:           _ZN7rocprim17ROCPRIM_400000_NS6detail17trampoline_kernelINS0_14default_configENS1_25transform_config_selectorItLb0EEEZNS1_14transform_implILb0ES3_S5_NS0_18transform_iteratorINS0_17counting_iteratorImlEEZNS1_24adjacent_difference_implIS3_Lb1ELb0EPKtPtN6thrust23THRUST_200600_302600_NS4plusItEEEE10hipError_tPvRmT2_T3_mT4_P12ihipStream_tbEUlmE_tEESD_NS0_8identityIvEEEESI_SL_SM_mSN_SP_bEUlT_E_NS1_11comp_targetILNS1_3genE2ELNS1_11target_archE906ELNS1_3gpuE6ELNS1_3repE0EEENS1_30default_config_static_selectorELNS0_4arch9wavefront6targetE0EEEvT1_
    .private_segment_fixed_size: 0
    .sgpr_count:     0
    .sgpr_spill_count: 0
    .symbol:         _ZN7rocprim17ROCPRIM_400000_NS6detail17trampoline_kernelINS0_14default_configENS1_25transform_config_selectorItLb0EEEZNS1_14transform_implILb0ES3_S5_NS0_18transform_iteratorINS0_17counting_iteratorImlEEZNS1_24adjacent_difference_implIS3_Lb1ELb0EPKtPtN6thrust23THRUST_200600_302600_NS4plusItEEEE10hipError_tPvRmT2_T3_mT4_P12ihipStream_tbEUlmE_tEESD_NS0_8identityIvEEEESI_SL_SM_mSN_SP_bEUlT_E_NS1_11comp_targetILNS1_3genE2ELNS1_11target_archE906ELNS1_3gpuE6ELNS1_3repE0EEENS1_30default_config_static_selectorELNS0_4arch9wavefront6targetE0EEEvT1_.kd
    .uniform_work_group_size: 1
    .uses_dynamic_stack: false
    .vgpr_count:     0
    .vgpr_spill_count: 0
    .wavefront_size: 32
    .workgroup_processor_mode: 1
  - .args:
      - .offset:         0
        .size:           56
        .value_kind:     by_value
    .group_segment_fixed_size: 0
    .kernarg_segment_align: 8
    .kernarg_segment_size: 56
    .language:       OpenCL C
    .language_version:
      - 2
      - 0
    .max_flat_workgroup_size: 1024
    .name:           _ZN7rocprim17ROCPRIM_400000_NS6detail17trampoline_kernelINS0_14default_configENS1_25transform_config_selectorItLb0EEEZNS1_14transform_implILb0ES3_S5_NS0_18transform_iteratorINS0_17counting_iteratorImlEEZNS1_24adjacent_difference_implIS3_Lb1ELb0EPKtPtN6thrust23THRUST_200600_302600_NS4plusItEEEE10hipError_tPvRmT2_T3_mT4_P12ihipStream_tbEUlmE_tEESD_NS0_8identityIvEEEESI_SL_SM_mSN_SP_bEUlT_E_NS1_11comp_targetILNS1_3genE10ELNS1_11target_archE1201ELNS1_3gpuE5ELNS1_3repE0EEENS1_30default_config_static_selectorELNS0_4arch9wavefront6targetE0EEEvT1_
    .private_segment_fixed_size: 0
    .sgpr_count:     0
    .sgpr_spill_count: 0
    .symbol:         _ZN7rocprim17ROCPRIM_400000_NS6detail17trampoline_kernelINS0_14default_configENS1_25transform_config_selectorItLb0EEEZNS1_14transform_implILb0ES3_S5_NS0_18transform_iteratorINS0_17counting_iteratorImlEEZNS1_24adjacent_difference_implIS3_Lb1ELb0EPKtPtN6thrust23THRUST_200600_302600_NS4plusItEEEE10hipError_tPvRmT2_T3_mT4_P12ihipStream_tbEUlmE_tEESD_NS0_8identityIvEEEESI_SL_SM_mSN_SP_bEUlT_E_NS1_11comp_targetILNS1_3genE10ELNS1_11target_archE1201ELNS1_3gpuE5ELNS1_3repE0EEENS1_30default_config_static_selectorELNS0_4arch9wavefront6targetE0EEEvT1_.kd
    .uniform_work_group_size: 1
    .uses_dynamic_stack: false
    .vgpr_count:     0
    .vgpr_spill_count: 0
    .wavefront_size: 32
    .workgroup_processor_mode: 1
  - .args:
      - .offset:         0
        .size:           56
        .value_kind:     by_value
    .group_segment_fixed_size: 0
    .kernarg_segment_align: 8
    .kernarg_segment_size: 56
    .language:       OpenCL C
    .language_version:
      - 2
      - 0
    .max_flat_workgroup_size: 512
    .name:           _ZN7rocprim17ROCPRIM_400000_NS6detail17trampoline_kernelINS0_14default_configENS1_25transform_config_selectorItLb0EEEZNS1_14transform_implILb0ES3_S5_NS0_18transform_iteratorINS0_17counting_iteratorImlEEZNS1_24adjacent_difference_implIS3_Lb1ELb0EPKtPtN6thrust23THRUST_200600_302600_NS4plusItEEEE10hipError_tPvRmT2_T3_mT4_P12ihipStream_tbEUlmE_tEESD_NS0_8identityIvEEEESI_SL_SM_mSN_SP_bEUlT_E_NS1_11comp_targetILNS1_3genE10ELNS1_11target_archE1200ELNS1_3gpuE4ELNS1_3repE0EEENS1_30default_config_static_selectorELNS0_4arch9wavefront6targetE0EEEvT1_
    .private_segment_fixed_size: 0
    .sgpr_count:     0
    .sgpr_spill_count: 0
    .symbol:         _ZN7rocprim17ROCPRIM_400000_NS6detail17trampoline_kernelINS0_14default_configENS1_25transform_config_selectorItLb0EEEZNS1_14transform_implILb0ES3_S5_NS0_18transform_iteratorINS0_17counting_iteratorImlEEZNS1_24adjacent_difference_implIS3_Lb1ELb0EPKtPtN6thrust23THRUST_200600_302600_NS4plusItEEEE10hipError_tPvRmT2_T3_mT4_P12ihipStream_tbEUlmE_tEESD_NS0_8identityIvEEEESI_SL_SM_mSN_SP_bEUlT_E_NS1_11comp_targetILNS1_3genE10ELNS1_11target_archE1200ELNS1_3gpuE4ELNS1_3repE0EEENS1_30default_config_static_selectorELNS0_4arch9wavefront6targetE0EEEvT1_.kd
    .uniform_work_group_size: 1
    .uses_dynamic_stack: false
    .vgpr_count:     0
    .vgpr_spill_count: 0
    .wavefront_size: 32
    .workgroup_processor_mode: 1
  - .args:
      - .offset:         0
        .size:           56
        .value_kind:     by_value
      - .offset:         56
        .size:           4
        .value_kind:     hidden_block_count_x
      - .offset:         60
        .size:           4
        .value_kind:     hidden_block_count_y
      - .offset:         64
        .size:           4
        .value_kind:     hidden_block_count_z
      - .offset:         68
        .size:           2
        .value_kind:     hidden_group_size_x
      - .offset:         70
        .size:           2
        .value_kind:     hidden_group_size_y
      - .offset:         72
        .size:           2
        .value_kind:     hidden_group_size_z
      - .offset:         74
        .size:           2
        .value_kind:     hidden_remainder_x
      - .offset:         76
        .size:           2
        .value_kind:     hidden_remainder_y
      - .offset:         78
        .size:           2
        .value_kind:     hidden_remainder_z
      - .offset:         96
        .size:           8
        .value_kind:     hidden_global_offset_x
      - .offset:         104
        .size:           8
        .value_kind:     hidden_global_offset_y
      - .offset:         112
        .size:           8
        .value_kind:     hidden_global_offset_z
      - .offset:         120
        .size:           2
        .value_kind:     hidden_grid_dims
    .group_segment_fixed_size: 0
    .kernarg_segment_align: 8
    .kernarg_segment_size: 312
    .language:       OpenCL C
    .language_version:
      - 2
      - 0
    .max_flat_workgroup_size: 1024
    .name:           _ZN7rocprim17ROCPRIM_400000_NS6detail17trampoline_kernelINS0_14default_configENS1_25transform_config_selectorItLb0EEEZNS1_14transform_implILb0ES3_S5_NS0_18transform_iteratorINS0_17counting_iteratorImlEEZNS1_24adjacent_difference_implIS3_Lb1ELb0EPKtPtN6thrust23THRUST_200600_302600_NS4plusItEEEE10hipError_tPvRmT2_T3_mT4_P12ihipStream_tbEUlmE_tEESD_NS0_8identityIvEEEESI_SL_SM_mSN_SP_bEUlT_E_NS1_11comp_targetILNS1_3genE9ELNS1_11target_archE1100ELNS1_3gpuE3ELNS1_3repE0EEENS1_30default_config_static_selectorELNS0_4arch9wavefront6targetE0EEEvT1_
    .private_segment_fixed_size: 0
    .sgpr_count:     20
    .sgpr_spill_count: 0
    .symbol:         _ZN7rocprim17ROCPRIM_400000_NS6detail17trampoline_kernelINS0_14default_configENS1_25transform_config_selectorItLb0EEEZNS1_14transform_implILb0ES3_S5_NS0_18transform_iteratorINS0_17counting_iteratorImlEEZNS1_24adjacent_difference_implIS3_Lb1ELb0EPKtPtN6thrust23THRUST_200600_302600_NS4plusItEEEE10hipError_tPvRmT2_T3_mT4_P12ihipStream_tbEUlmE_tEESD_NS0_8identityIvEEEESI_SL_SM_mSN_SP_bEUlT_E_NS1_11comp_targetILNS1_3genE9ELNS1_11target_archE1100ELNS1_3gpuE3ELNS1_3repE0EEENS1_30default_config_static_selectorELNS0_4arch9wavefront6targetE0EEEvT1_.kd
    .uniform_work_group_size: 1
    .uses_dynamic_stack: false
    .vgpr_count:     8
    .vgpr_spill_count: 0
    .wavefront_size: 32
    .workgroup_processor_mode: 1
  - .args:
      - .offset:         0
        .size:           56
        .value_kind:     by_value
    .group_segment_fixed_size: 0
    .kernarg_segment_align: 8
    .kernarg_segment_size: 56
    .language:       OpenCL C
    .language_version:
      - 2
      - 0
    .max_flat_workgroup_size: 1024
    .name:           _ZN7rocprim17ROCPRIM_400000_NS6detail17trampoline_kernelINS0_14default_configENS1_25transform_config_selectorItLb0EEEZNS1_14transform_implILb0ES3_S5_NS0_18transform_iteratorINS0_17counting_iteratorImlEEZNS1_24adjacent_difference_implIS3_Lb1ELb0EPKtPtN6thrust23THRUST_200600_302600_NS4plusItEEEE10hipError_tPvRmT2_T3_mT4_P12ihipStream_tbEUlmE_tEESD_NS0_8identityIvEEEESI_SL_SM_mSN_SP_bEUlT_E_NS1_11comp_targetILNS1_3genE8ELNS1_11target_archE1030ELNS1_3gpuE2ELNS1_3repE0EEENS1_30default_config_static_selectorELNS0_4arch9wavefront6targetE0EEEvT1_
    .private_segment_fixed_size: 0
    .sgpr_count:     0
    .sgpr_spill_count: 0
    .symbol:         _ZN7rocprim17ROCPRIM_400000_NS6detail17trampoline_kernelINS0_14default_configENS1_25transform_config_selectorItLb0EEEZNS1_14transform_implILb0ES3_S5_NS0_18transform_iteratorINS0_17counting_iteratorImlEEZNS1_24adjacent_difference_implIS3_Lb1ELb0EPKtPtN6thrust23THRUST_200600_302600_NS4plusItEEEE10hipError_tPvRmT2_T3_mT4_P12ihipStream_tbEUlmE_tEESD_NS0_8identityIvEEEESI_SL_SM_mSN_SP_bEUlT_E_NS1_11comp_targetILNS1_3genE8ELNS1_11target_archE1030ELNS1_3gpuE2ELNS1_3repE0EEENS1_30default_config_static_selectorELNS0_4arch9wavefront6targetE0EEEvT1_.kd
    .uniform_work_group_size: 1
    .uses_dynamic_stack: false
    .vgpr_count:     0
    .vgpr_spill_count: 0
    .wavefront_size: 32
    .workgroup_processor_mode: 1
  - .args:
      - .offset:         0
        .size:           56
        .value_kind:     by_value
    .group_segment_fixed_size: 0
    .kernarg_segment_align: 8
    .kernarg_segment_size: 56
    .language:       OpenCL C
    .language_version:
      - 2
      - 0
    .max_flat_workgroup_size: 32
    .name:           _ZN7rocprim17ROCPRIM_400000_NS6detail17trampoline_kernelINS0_14default_configENS1_35adjacent_difference_config_selectorILb1EtEEZNS1_24adjacent_difference_implIS3_Lb1ELb0EPKtPtN6thrust23THRUST_200600_302600_NS4plusItEEEE10hipError_tPvRmT2_T3_mT4_P12ihipStream_tbEUlT_E_NS1_11comp_targetILNS1_3genE0ELNS1_11target_archE4294967295ELNS1_3gpuE0ELNS1_3repE0EEENS1_30default_config_static_selectorELNS0_4arch9wavefront6targetE0EEEvT1_
    .private_segment_fixed_size: 0
    .sgpr_count:     0
    .sgpr_spill_count: 0
    .symbol:         _ZN7rocprim17ROCPRIM_400000_NS6detail17trampoline_kernelINS0_14default_configENS1_35adjacent_difference_config_selectorILb1EtEEZNS1_24adjacent_difference_implIS3_Lb1ELb0EPKtPtN6thrust23THRUST_200600_302600_NS4plusItEEEE10hipError_tPvRmT2_T3_mT4_P12ihipStream_tbEUlT_E_NS1_11comp_targetILNS1_3genE0ELNS1_11target_archE4294967295ELNS1_3gpuE0ELNS1_3repE0EEENS1_30default_config_static_selectorELNS0_4arch9wavefront6targetE0EEEvT1_.kd
    .uniform_work_group_size: 1
    .uses_dynamic_stack: false
    .vgpr_count:     0
    .vgpr_spill_count: 0
    .wavefront_size: 32
    .workgroup_processor_mode: 1
  - .args:
      - .offset:         0
        .size:           56
        .value_kind:     by_value
    .group_segment_fixed_size: 0
    .kernarg_segment_align: 8
    .kernarg_segment_size: 56
    .language:       OpenCL C
    .language_version:
      - 2
      - 0
    .max_flat_workgroup_size: 512
    .name:           _ZN7rocprim17ROCPRIM_400000_NS6detail17trampoline_kernelINS0_14default_configENS1_35adjacent_difference_config_selectorILb1EtEEZNS1_24adjacent_difference_implIS3_Lb1ELb0EPKtPtN6thrust23THRUST_200600_302600_NS4plusItEEEE10hipError_tPvRmT2_T3_mT4_P12ihipStream_tbEUlT_E_NS1_11comp_targetILNS1_3genE10ELNS1_11target_archE1201ELNS1_3gpuE5ELNS1_3repE0EEENS1_30default_config_static_selectorELNS0_4arch9wavefront6targetE0EEEvT1_
    .private_segment_fixed_size: 0
    .sgpr_count:     0
    .sgpr_spill_count: 0
    .symbol:         _ZN7rocprim17ROCPRIM_400000_NS6detail17trampoline_kernelINS0_14default_configENS1_35adjacent_difference_config_selectorILb1EtEEZNS1_24adjacent_difference_implIS3_Lb1ELb0EPKtPtN6thrust23THRUST_200600_302600_NS4plusItEEEE10hipError_tPvRmT2_T3_mT4_P12ihipStream_tbEUlT_E_NS1_11comp_targetILNS1_3genE10ELNS1_11target_archE1201ELNS1_3gpuE5ELNS1_3repE0EEENS1_30default_config_static_selectorELNS0_4arch9wavefront6targetE0EEEvT1_.kd
    .uniform_work_group_size: 1
    .uses_dynamic_stack: false
    .vgpr_count:     0
    .vgpr_spill_count: 0
    .wavefront_size: 32
    .workgroup_processor_mode: 1
  - .args:
      - .offset:         0
        .size:           56
        .value_kind:     by_value
    .group_segment_fixed_size: 0
    .kernarg_segment_align: 8
    .kernarg_segment_size: 56
    .language:       OpenCL C
    .language_version:
      - 2
      - 0
    .max_flat_workgroup_size: 64
    .name:           _ZN7rocprim17ROCPRIM_400000_NS6detail17trampoline_kernelINS0_14default_configENS1_35adjacent_difference_config_selectorILb1EtEEZNS1_24adjacent_difference_implIS3_Lb1ELb0EPKtPtN6thrust23THRUST_200600_302600_NS4plusItEEEE10hipError_tPvRmT2_T3_mT4_P12ihipStream_tbEUlT_E_NS1_11comp_targetILNS1_3genE5ELNS1_11target_archE942ELNS1_3gpuE9ELNS1_3repE0EEENS1_30default_config_static_selectorELNS0_4arch9wavefront6targetE0EEEvT1_
    .private_segment_fixed_size: 0
    .sgpr_count:     0
    .sgpr_spill_count: 0
    .symbol:         _ZN7rocprim17ROCPRIM_400000_NS6detail17trampoline_kernelINS0_14default_configENS1_35adjacent_difference_config_selectorILb1EtEEZNS1_24adjacent_difference_implIS3_Lb1ELb0EPKtPtN6thrust23THRUST_200600_302600_NS4plusItEEEE10hipError_tPvRmT2_T3_mT4_P12ihipStream_tbEUlT_E_NS1_11comp_targetILNS1_3genE5ELNS1_11target_archE942ELNS1_3gpuE9ELNS1_3repE0EEENS1_30default_config_static_selectorELNS0_4arch9wavefront6targetE0EEEvT1_.kd
    .uniform_work_group_size: 1
    .uses_dynamic_stack: false
    .vgpr_count:     0
    .vgpr_spill_count: 0
    .wavefront_size: 32
    .workgroup_processor_mode: 1
  - .args:
      - .offset:         0
        .size:           56
        .value_kind:     by_value
    .group_segment_fixed_size: 0
    .kernarg_segment_align: 8
    .kernarg_segment_size: 56
    .language:       OpenCL C
    .language_version:
      - 2
      - 0
    .max_flat_workgroup_size: 64
    .name:           _ZN7rocprim17ROCPRIM_400000_NS6detail17trampoline_kernelINS0_14default_configENS1_35adjacent_difference_config_selectorILb1EtEEZNS1_24adjacent_difference_implIS3_Lb1ELb0EPKtPtN6thrust23THRUST_200600_302600_NS4plusItEEEE10hipError_tPvRmT2_T3_mT4_P12ihipStream_tbEUlT_E_NS1_11comp_targetILNS1_3genE4ELNS1_11target_archE910ELNS1_3gpuE8ELNS1_3repE0EEENS1_30default_config_static_selectorELNS0_4arch9wavefront6targetE0EEEvT1_
    .private_segment_fixed_size: 0
    .sgpr_count:     0
    .sgpr_spill_count: 0
    .symbol:         _ZN7rocprim17ROCPRIM_400000_NS6detail17trampoline_kernelINS0_14default_configENS1_35adjacent_difference_config_selectorILb1EtEEZNS1_24adjacent_difference_implIS3_Lb1ELb0EPKtPtN6thrust23THRUST_200600_302600_NS4plusItEEEE10hipError_tPvRmT2_T3_mT4_P12ihipStream_tbEUlT_E_NS1_11comp_targetILNS1_3genE4ELNS1_11target_archE910ELNS1_3gpuE8ELNS1_3repE0EEENS1_30default_config_static_selectorELNS0_4arch9wavefront6targetE0EEEvT1_.kd
    .uniform_work_group_size: 1
    .uses_dynamic_stack: false
    .vgpr_count:     0
    .vgpr_spill_count: 0
    .wavefront_size: 32
    .workgroup_processor_mode: 1
  - .args:
      - .offset:         0
        .size:           56
        .value_kind:     by_value
    .group_segment_fixed_size: 0
    .kernarg_segment_align: 8
    .kernarg_segment_size: 56
    .language:       OpenCL C
    .language_version:
      - 2
      - 0
    .max_flat_workgroup_size: 32
    .name:           _ZN7rocprim17ROCPRIM_400000_NS6detail17trampoline_kernelINS0_14default_configENS1_35adjacent_difference_config_selectorILb1EtEEZNS1_24adjacent_difference_implIS3_Lb1ELb0EPKtPtN6thrust23THRUST_200600_302600_NS4plusItEEEE10hipError_tPvRmT2_T3_mT4_P12ihipStream_tbEUlT_E_NS1_11comp_targetILNS1_3genE3ELNS1_11target_archE908ELNS1_3gpuE7ELNS1_3repE0EEENS1_30default_config_static_selectorELNS0_4arch9wavefront6targetE0EEEvT1_
    .private_segment_fixed_size: 0
    .sgpr_count:     0
    .sgpr_spill_count: 0
    .symbol:         _ZN7rocprim17ROCPRIM_400000_NS6detail17trampoline_kernelINS0_14default_configENS1_35adjacent_difference_config_selectorILb1EtEEZNS1_24adjacent_difference_implIS3_Lb1ELb0EPKtPtN6thrust23THRUST_200600_302600_NS4plusItEEEE10hipError_tPvRmT2_T3_mT4_P12ihipStream_tbEUlT_E_NS1_11comp_targetILNS1_3genE3ELNS1_11target_archE908ELNS1_3gpuE7ELNS1_3repE0EEENS1_30default_config_static_selectorELNS0_4arch9wavefront6targetE0EEEvT1_.kd
    .uniform_work_group_size: 1
    .uses_dynamic_stack: false
    .vgpr_count:     0
    .vgpr_spill_count: 0
    .wavefront_size: 32
    .workgroup_processor_mode: 1
  - .args:
      - .offset:         0
        .size:           56
        .value_kind:     by_value
    .group_segment_fixed_size: 0
    .kernarg_segment_align: 8
    .kernarg_segment_size: 56
    .language:       OpenCL C
    .language_version:
      - 2
      - 0
    .max_flat_workgroup_size: 64
    .name:           _ZN7rocprim17ROCPRIM_400000_NS6detail17trampoline_kernelINS0_14default_configENS1_35adjacent_difference_config_selectorILb1EtEEZNS1_24adjacent_difference_implIS3_Lb1ELb0EPKtPtN6thrust23THRUST_200600_302600_NS4plusItEEEE10hipError_tPvRmT2_T3_mT4_P12ihipStream_tbEUlT_E_NS1_11comp_targetILNS1_3genE2ELNS1_11target_archE906ELNS1_3gpuE6ELNS1_3repE0EEENS1_30default_config_static_selectorELNS0_4arch9wavefront6targetE0EEEvT1_
    .private_segment_fixed_size: 0
    .sgpr_count:     0
    .sgpr_spill_count: 0
    .symbol:         _ZN7rocprim17ROCPRIM_400000_NS6detail17trampoline_kernelINS0_14default_configENS1_35adjacent_difference_config_selectorILb1EtEEZNS1_24adjacent_difference_implIS3_Lb1ELb0EPKtPtN6thrust23THRUST_200600_302600_NS4plusItEEEE10hipError_tPvRmT2_T3_mT4_P12ihipStream_tbEUlT_E_NS1_11comp_targetILNS1_3genE2ELNS1_11target_archE906ELNS1_3gpuE6ELNS1_3repE0EEENS1_30default_config_static_selectorELNS0_4arch9wavefront6targetE0EEEvT1_.kd
    .uniform_work_group_size: 1
    .uses_dynamic_stack: false
    .vgpr_count:     0
    .vgpr_spill_count: 0
    .wavefront_size: 32
    .workgroup_processor_mode: 1
  - .args:
      - .offset:         0
        .size:           56
        .value_kind:     by_value
    .group_segment_fixed_size: 5888
    .kernarg_segment_align: 8
    .kernarg_segment_size: 56
    .language:       OpenCL C
    .language_version:
      - 2
      - 0
    .max_flat_workgroup_size: 128
    .name:           _ZN7rocprim17ROCPRIM_400000_NS6detail17trampoline_kernelINS0_14default_configENS1_35adjacent_difference_config_selectorILb1EtEEZNS1_24adjacent_difference_implIS3_Lb1ELb0EPKtPtN6thrust23THRUST_200600_302600_NS4plusItEEEE10hipError_tPvRmT2_T3_mT4_P12ihipStream_tbEUlT_E_NS1_11comp_targetILNS1_3genE9ELNS1_11target_archE1100ELNS1_3gpuE3ELNS1_3repE0EEENS1_30default_config_static_selectorELNS0_4arch9wavefront6targetE0EEEvT1_
    .private_segment_fixed_size: 0
    .sgpr_count:     28
    .sgpr_spill_count: 0
    .symbol:         _ZN7rocprim17ROCPRIM_400000_NS6detail17trampoline_kernelINS0_14default_configENS1_35adjacent_difference_config_selectorILb1EtEEZNS1_24adjacent_difference_implIS3_Lb1ELb0EPKtPtN6thrust23THRUST_200600_302600_NS4plusItEEEE10hipError_tPvRmT2_T3_mT4_P12ihipStream_tbEUlT_E_NS1_11comp_targetILNS1_3genE9ELNS1_11target_archE1100ELNS1_3gpuE3ELNS1_3repE0EEENS1_30default_config_static_selectorELNS0_4arch9wavefront6targetE0EEEvT1_.kd
    .uniform_work_group_size: 1
    .uses_dynamic_stack: false
    .vgpr_count:     41
    .vgpr_spill_count: 0
    .wavefront_size: 32
    .workgroup_processor_mode: 1
  - .args:
      - .offset:         0
        .size:           56
        .value_kind:     by_value
    .group_segment_fixed_size: 0
    .kernarg_segment_align: 8
    .kernarg_segment_size: 56
    .language:       OpenCL C
    .language_version:
      - 2
      - 0
    .max_flat_workgroup_size: 512
    .name:           _ZN7rocprim17ROCPRIM_400000_NS6detail17trampoline_kernelINS0_14default_configENS1_35adjacent_difference_config_selectorILb1EtEEZNS1_24adjacent_difference_implIS3_Lb1ELb0EPKtPtN6thrust23THRUST_200600_302600_NS4plusItEEEE10hipError_tPvRmT2_T3_mT4_P12ihipStream_tbEUlT_E_NS1_11comp_targetILNS1_3genE8ELNS1_11target_archE1030ELNS1_3gpuE2ELNS1_3repE0EEENS1_30default_config_static_selectorELNS0_4arch9wavefront6targetE0EEEvT1_
    .private_segment_fixed_size: 0
    .sgpr_count:     0
    .sgpr_spill_count: 0
    .symbol:         _ZN7rocprim17ROCPRIM_400000_NS6detail17trampoline_kernelINS0_14default_configENS1_35adjacent_difference_config_selectorILb1EtEEZNS1_24adjacent_difference_implIS3_Lb1ELb0EPKtPtN6thrust23THRUST_200600_302600_NS4plusItEEEE10hipError_tPvRmT2_T3_mT4_P12ihipStream_tbEUlT_E_NS1_11comp_targetILNS1_3genE8ELNS1_11target_archE1030ELNS1_3gpuE2ELNS1_3repE0EEENS1_30default_config_static_selectorELNS0_4arch9wavefront6targetE0EEEvT1_.kd
    .uniform_work_group_size: 1
    .uses_dynamic_stack: false
    .vgpr_count:     0
    .vgpr_spill_count: 0
    .wavefront_size: 32
    .workgroup_processor_mode: 1
  - .args:
      - .offset:         0
        .size:           56
        .value_kind:     by_value
    .group_segment_fixed_size: 0
    .kernarg_segment_align: 8
    .kernarg_segment_size: 56
    .language:       OpenCL C
    .language_version:
      - 2
      - 0
    .max_flat_workgroup_size: 128
    .name:           _ZN7rocprim17ROCPRIM_400000_NS6detail17trampoline_kernelINS0_14default_configENS1_35adjacent_difference_config_selectorILb0ExEEZNS1_24adjacent_difference_implIS3_Lb0ELb0EPKxPxN6thrust23THRUST_200600_302600_NS4plusIxEEEE10hipError_tPvRmT2_T3_mT4_P12ihipStream_tbEUlT_E_NS1_11comp_targetILNS1_3genE0ELNS1_11target_archE4294967295ELNS1_3gpuE0ELNS1_3repE0EEENS1_30default_config_static_selectorELNS0_4arch9wavefront6targetE0EEEvT1_
    .private_segment_fixed_size: 0
    .sgpr_count:     0
    .sgpr_spill_count: 0
    .symbol:         _ZN7rocprim17ROCPRIM_400000_NS6detail17trampoline_kernelINS0_14default_configENS1_35adjacent_difference_config_selectorILb0ExEEZNS1_24adjacent_difference_implIS3_Lb0ELb0EPKxPxN6thrust23THRUST_200600_302600_NS4plusIxEEEE10hipError_tPvRmT2_T3_mT4_P12ihipStream_tbEUlT_E_NS1_11comp_targetILNS1_3genE0ELNS1_11target_archE4294967295ELNS1_3gpuE0ELNS1_3repE0EEENS1_30default_config_static_selectorELNS0_4arch9wavefront6targetE0EEEvT1_.kd
    .uniform_work_group_size: 1
    .uses_dynamic_stack: false
    .vgpr_count:     0
    .vgpr_spill_count: 0
    .wavefront_size: 32
    .workgroup_processor_mode: 1
  - .args:
      - .offset:         0
        .size:           56
        .value_kind:     by_value
    .group_segment_fixed_size: 0
    .kernarg_segment_align: 8
    .kernarg_segment_size: 56
    .language:       OpenCL C
    .language_version:
      - 2
      - 0
    .max_flat_workgroup_size: 128
    .name:           _ZN7rocprim17ROCPRIM_400000_NS6detail17trampoline_kernelINS0_14default_configENS1_35adjacent_difference_config_selectorILb0ExEEZNS1_24adjacent_difference_implIS3_Lb0ELb0EPKxPxN6thrust23THRUST_200600_302600_NS4plusIxEEEE10hipError_tPvRmT2_T3_mT4_P12ihipStream_tbEUlT_E_NS1_11comp_targetILNS1_3genE10ELNS1_11target_archE1201ELNS1_3gpuE5ELNS1_3repE0EEENS1_30default_config_static_selectorELNS0_4arch9wavefront6targetE0EEEvT1_
    .private_segment_fixed_size: 0
    .sgpr_count:     0
    .sgpr_spill_count: 0
    .symbol:         _ZN7rocprim17ROCPRIM_400000_NS6detail17trampoline_kernelINS0_14default_configENS1_35adjacent_difference_config_selectorILb0ExEEZNS1_24adjacent_difference_implIS3_Lb0ELb0EPKxPxN6thrust23THRUST_200600_302600_NS4plusIxEEEE10hipError_tPvRmT2_T3_mT4_P12ihipStream_tbEUlT_E_NS1_11comp_targetILNS1_3genE10ELNS1_11target_archE1201ELNS1_3gpuE5ELNS1_3repE0EEENS1_30default_config_static_selectorELNS0_4arch9wavefront6targetE0EEEvT1_.kd
    .uniform_work_group_size: 1
    .uses_dynamic_stack: false
    .vgpr_count:     0
    .vgpr_spill_count: 0
    .wavefront_size: 32
    .workgroup_processor_mode: 1
  - .args:
      - .offset:         0
        .size:           56
        .value_kind:     by_value
    .group_segment_fixed_size: 0
    .kernarg_segment_align: 8
    .kernarg_segment_size: 56
    .language:       OpenCL C
    .language_version:
      - 2
      - 0
    .max_flat_workgroup_size: 64
    .name:           _ZN7rocprim17ROCPRIM_400000_NS6detail17trampoline_kernelINS0_14default_configENS1_35adjacent_difference_config_selectorILb0ExEEZNS1_24adjacent_difference_implIS3_Lb0ELb0EPKxPxN6thrust23THRUST_200600_302600_NS4plusIxEEEE10hipError_tPvRmT2_T3_mT4_P12ihipStream_tbEUlT_E_NS1_11comp_targetILNS1_3genE5ELNS1_11target_archE942ELNS1_3gpuE9ELNS1_3repE0EEENS1_30default_config_static_selectorELNS0_4arch9wavefront6targetE0EEEvT1_
    .private_segment_fixed_size: 0
    .sgpr_count:     0
    .sgpr_spill_count: 0
    .symbol:         _ZN7rocprim17ROCPRIM_400000_NS6detail17trampoline_kernelINS0_14default_configENS1_35adjacent_difference_config_selectorILb0ExEEZNS1_24adjacent_difference_implIS3_Lb0ELb0EPKxPxN6thrust23THRUST_200600_302600_NS4plusIxEEEE10hipError_tPvRmT2_T3_mT4_P12ihipStream_tbEUlT_E_NS1_11comp_targetILNS1_3genE5ELNS1_11target_archE942ELNS1_3gpuE9ELNS1_3repE0EEENS1_30default_config_static_selectorELNS0_4arch9wavefront6targetE0EEEvT1_.kd
    .uniform_work_group_size: 1
    .uses_dynamic_stack: false
    .vgpr_count:     0
    .vgpr_spill_count: 0
    .wavefront_size: 32
    .workgroup_processor_mode: 1
  - .args:
      - .offset:         0
        .size:           56
        .value_kind:     by_value
    .group_segment_fixed_size: 0
    .kernarg_segment_align: 8
    .kernarg_segment_size: 56
    .language:       OpenCL C
    .language_version:
      - 2
      - 0
    .max_flat_workgroup_size: 256
    .name:           _ZN7rocprim17ROCPRIM_400000_NS6detail17trampoline_kernelINS0_14default_configENS1_35adjacent_difference_config_selectorILb0ExEEZNS1_24adjacent_difference_implIS3_Lb0ELb0EPKxPxN6thrust23THRUST_200600_302600_NS4plusIxEEEE10hipError_tPvRmT2_T3_mT4_P12ihipStream_tbEUlT_E_NS1_11comp_targetILNS1_3genE4ELNS1_11target_archE910ELNS1_3gpuE8ELNS1_3repE0EEENS1_30default_config_static_selectorELNS0_4arch9wavefront6targetE0EEEvT1_
    .private_segment_fixed_size: 0
    .sgpr_count:     0
    .sgpr_spill_count: 0
    .symbol:         _ZN7rocprim17ROCPRIM_400000_NS6detail17trampoline_kernelINS0_14default_configENS1_35adjacent_difference_config_selectorILb0ExEEZNS1_24adjacent_difference_implIS3_Lb0ELb0EPKxPxN6thrust23THRUST_200600_302600_NS4plusIxEEEE10hipError_tPvRmT2_T3_mT4_P12ihipStream_tbEUlT_E_NS1_11comp_targetILNS1_3genE4ELNS1_11target_archE910ELNS1_3gpuE8ELNS1_3repE0EEENS1_30default_config_static_selectorELNS0_4arch9wavefront6targetE0EEEvT1_.kd
    .uniform_work_group_size: 1
    .uses_dynamic_stack: false
    .vgpr_count:     0
    .vgpr_spill_count: 0
    .wavefront_size: 32
    .workgroup_processor_mode: 1
  - .args:
      - .offset:         0
        .size:           56
        .value_kind:     by_value
    .group_segment_fixed_size: 0
    .kernarg_segment_align: 8
    .kernarg_segment_size: 56
    .language:       OpenCL C
    .language_version:
      - 2
      - 0
    .max_flat_workgroup_size: 128
    .name:           _ZN7rocprim17ROCPRIM_400000_NS6detail17trampoline_kernelINS0_14default_configENS1_35adjacent_difference_config_selectorILb0ExEEZNS1_24adjacent_difference_implIS3_Lb0ELb0EPKxPxN6thrust23THRUST_200600_302600_NS4plusIxEEEE10hipError_tPvRmT2_T3_mT4_P12ihipStream_tbEUlT_E_NS1_11comp_targetILNS1_3genE3ELNS1_11target_archE908ELNS1_3gpuE7ELNS1_3repE0EEENS1_30default_config_static_selectorELNS0_4arch9wavefront6targetE0EEEvT1_
    .private_segment_fixed_size: 0
    .sgpr_count:     0
    .sgpr_spill_count: 0
    .symbol:         _ZN7rocprim17ROCPRIM_400000_NS6detail17trampoline_kernelINS0_14default_configENS1_35adjacent_difference_config_selectorILb0ExEEZNS1_24adjacent_difference_implIS3_Lb0ELb0EPKxPxN6thrust23THRUST_200600_302600_NS4plusIxEEEE10hipError_tPvRmT2_T3_mT4_P12ihipStream_tbEUlT_E_NS1_11comp_targetILNS1_3genE3ELNS1_11target_archE908ELNS1_3gpuE7ELNS1_3repE0EEENS1_30default_config_static_selectorELNS0_4arch9wavefront6targetE0EEEvT1_.kd
    .uniform_work_group_size: 1
    .uses_dynamic_stack: false
    .vgpr_count:     0
    .vgpr_spill_count: 0
    .wavefront_size: 32
    .workgroup_processor_mode: 1
  - .args:
      - .offset:         0
        .size:           56
        .value_kind:     by_value
    .group_segment_fixed_size: 0
    .kernarg_segment_align: 8
    .kernarg_segment_size: 56
    .language:       OpenCL C
    .language_version:
      - 2
      - 0
    .max_flat_workgroup_size: 128
    .name:           _ZN7rocprim17ROCPRIM_400000_NS6detail17trampoline_kernelINS0_14default_configENS1_35adjacent_difference_config_selectorILb0ExEEZNS1_24adjacent_difference_implIS3_Lb0ELb0EPKxPxN6thrust23THRUST_200600_302600_NS4plusIxEEEE10hipError_tPvRmT2_T3_mT4_P12ihipStream_tbEUlT_E_NS1_11comp_targetILNS1_3genE2ELNS1_11target_archE906ELNS1_3gpuE6ELNS1_3repE0EEENS1_30default_config_static_selectorELNS0_4arch9wavefront6targetE0EEEvT1_
    .private_segment_fixed_size: 0
    .sgpr_count:     0
    .sgpr_spill_count: 0
    .symbol:         _ZN7rocprim17ROCPRIM_400000_NS6detail17trampoline_kernelINS0_14default_configENS1_35adjacent_difference_config_selectorILb0ExEEZNS1_24adjacent_difference_implIS3_Lb0ELb0EPKxPxN6thrust23THRUST_200600_302600_NS4plusIxEEEE10hipError_tPvRmT2_T3_mT4_P12ihipStream_tbEUlT_E_NS1_11comp_targetILNS1_3genE2ELNS1_11target_archE906ELNS1_3gpuE6ELNS1_3repE0EEENS1_30default_config_static_selectorELNS0_4arch9wavefront6targetE0EEEvT1_.kd
    .uniform_work_group_size: 1
    .uses_dynamic_stack: false
    .vgpr_count:     0
    .vgpr_spill_count: 0
    .wavefront_size: 32
    .workgroup_processor_mode: 1
  - .args:
      - .offset:         0
        .size:           56
        .value_kind:     by_value
    .group_segment_fixed_size: 8192
    .kernarg_segment_align: 8
    .kernarg_segment_size: 56
    .language:       OpenCL C
    .language_version:
      - 2
      - 0
    .max_flat_workgroup_size: 512
    .name:           _ZN7rocprim17ROCPRIM_400000_NS6detail17trampoline_kernelINS0_14default_configENS1_35adjacent_difference_config_selectorILb0ExEEZNS1_24adjacent_difference_implIS3_Lb0ELb0EPKxPxN6thrust23THRUST_200600_302600_NS4plusIxEEEE10hipError_tPvRmT2_T3_mT4_P12ihipStream_tbEUlT_E_NS1_11comp_targetILNS1_3genE9ELNS1_11target_archE1100ELNS1_3gpuE3ELNS1_3repE0EEENS1_30default_config_static_selectorELNS0_4arch9wavefront6targetE0EEEvT1_
    .private_segment_fixed_size: 0
    .sgpr_count:     22
    .sgpr_spill_count: 0
    .symbol:         _ZN7rocprim17ROCPRIM_400000_NS6detail17trampoline_kernelINS0_14default_configENS1_35adjacent_difference_config_selectorILb0ExEEZNS1_24adjacent_difference_implIS3_Lb0ELb0EPKxPxN6thrust23THRUST_200600_302600_NS4plusIxEEEE10hipError_tPvRmT2_T3_mT4_P12ihipStream_tbEUlT_E_NS1_11comp_targetILNS1_3genE9ELNS1_11target_archE1100ELNS1_3gpuE3ELNS1_3repE0EEENS1_30default_config_static_selectorELNS0_4arch9wavefront6targetE0EEEvT1_.kd
    .uniform_work_group_size: 1
    .uses_dynamic_stack: false
    .vgpr_count:     6
    .vgpr_spill_count: 0
    .wavefront_size: 32
    .workgroup_processor_mode: 1
  - .args:
      - .offset:         0
        .size:           56
        .value_kind:     by_value
    .group_segment_fixed_size: 0
    .kernarg_segment_align: 8
    .kernarg_segment_size: 56
    .language:       OpenCL C
    .language_version:
      - 2
      - 0
    .max_flat_workgroup_size: 1024
    .name:           _ZN7rocprim17ROCPRIM_400000_NS6detail17trampoline_kernelINS0_14default_configENS1_35adjacent_difference_config_selectorILb0ExEEZNS1_24adjacent_difference_implIS3_Lb0ELb0EPKxPxN6thrust23THRUST_200600_302600_NS4plusIxEEEE10hipError_tPvRmT2_T3_mT4_P12ihipStream_tbEUlT_E_NS1_11comp_targetILNS1_3genE8ELNS1_11target_archE1030ELNS1_3gpuE2ELNS1_3repE0EEENS1_30default_config_static_selectorELNS0_4arch9wavefront6targetE0EEEvT1_
    .private_segment_fixed_size: 0
    .sgpr_count:     0
    .sgpr_spill_count: 0
    .symbol:         _ZN7rocprim17ROCPRIM_400000_NS6detail17trampoline_kernelINS0_14default_configENS1_35adjacent_difference_config_selectorILb0ExEEZNS1_24adjacent_difference_implIS3_Lb0ELb0EPKxPxN6thrust23THRUST_200600_302600_NS4plusIxEEEE10hipError_tPvRmT2_T3_mT4_P12ihipStream_tbEUlT_E_NS1_11comp_targetILNS1_3genE8ELNS1_11target_archE1030ELNS1_3gpuE2ELNS1_3repE0EEENS1_30default_config_static_selectorELNS0_4arch9wavefront6targetE0EEEvT1_.kd
    .uniform_work_group_size: 1
    .uses_dynamic_stack: false
    .vgpr_count:     0
    .vgpr_spill_count: 0
    .wavefront_size: 32
    .workgroup_processor_mode: 1
  - .args:
      - .offset:         0
        .size:           56
        .value_kind:     by_value
    .group_segment_fixed_size: 0
    .kernarg_segment_align: 8
    .kernarg_segment_size: 56
    .language:       OpenCL C
    .language_version:
      - 2
      - 0
    .max_flat_workgroup_size: 128
    .name:           _ZN7rocprim17ROCPRIM_400000_NS6detail17trampoline_kernelINS0_14default_configENS1_25transform_config_selectorIxLb0EEEZNS1_14transform_implILb0ES3_S5_NS0_18transform_iteratorINS0_17counting_iteratorImlEEZNS1_24adjacent_difference_implIS3_Lb1ELb0EPKxPxN6thrust23THRUST_200600_302600_NS4plusIxEEEE10hipError_tPvRmT2_T3_mT4_P12ihipStream_tbEUlmE_xEESD_NS0_8identityIvEEEESI_SL_SM_mSN_SP_bEUlT_E_NS1_11comp_targetILNS1_3genE0ELNS1_11target_archE4294967295ELNS1_3gpuE0ELNS1_3repE0EEENS1_30default_config_static_selectorELNS0_4arch9wavefront6targetE0EEEvT1_
    .private_segment_fixed_size: 0
    .sgpr_count:     0
    .sgpr_spill_count: 0
    .symbol:         _ZN7rocprim17ROCPRIM_400000_NS6detail17trampoline_kernelINS0_14default_configENS1_25transform_config_selectorIxLb0EEEZNS1_14transform_implILb0ES3_S5_NS0_18transform_iteratorINS0_17counting_iteratorImlEEZNS1_24adjacent_difference_implIS3_Lb1ELb0EPKxPxN6thrust23THRUST_200600_302600_NS4plusIxEEEE10hipError_tPvRmT2_T3_mT4_P12ihipStream_tbEUlmE_xEESD_NS0_8identityIvEEEESI_SL_SM_mSN_SP_bEUlT_E_NS1_11comp_targetILNS1_3genE0ELNS1_11target_archE4294967295ELNS1_3gpuE0ELNS1_3repE0EEENS1_30default_config_static_selectorELNS0_4arch9wavefront6targetE0EEEvT1_.kd
    .uniform_work_group_size: 1
    .uses_dynamic_stack: false
    .vgpr_count:     0
    .vgpr_spill_count: 0
    .wavefront_size: 32
    .workgroup_processor_mode: 1
  - .args:
      - .offset:         0
        .size:           56
        .value_kind:     by_value
    .group_segment_fixed_size: 0
    .kernarg_segment_align: 8
    .kernarg_segment_size: 56
    .language:       OpenCL C
    .language_version:
      - 2
      - 0
    .max_flat_workgroup_size: 512
    .name:           _ZN7rocprim17ROCPRIM_400000_NS6detail17trampoline_kernelINS0_14default_configENS1_25transform_config_selectorIxLb0EEEZNS1_14transform_implILb0ES3_S5_NS0_18transform_iteratorINS0_17counting_iteratorImlEEZNS1_24adjacent_difference_implIS3_Lb1ELb0EPKxPxN6thrust23THRUST_200600_302600_NS4plusIxEEEE10hipError_tPvRmT2_T3_mT4_P12ihipStream_tbEUlmE_xEESD_NS0_8identityIvEEEESI_SL_SM_mSN_SP_bEUlT_E_NS1_11comp_targetILNS1_3genE5ELNS1_11target_archE942ELNS1_3gpuE9ELNS1_3repE0EEENS1_30default_config_static_selectorELNS0_4arch9wavefront6targetE0EEEvT1_
    .private_segment_fixed_size: 0
    .sgpr_count:     0
    .sgpr_spill_count: 0
    .symbol:         _ZN7rocprim17ROCPRIM_400000_NS6detail17trampoline_kernelINS0_14default_configENS1_25transform_config_selectorIxLb0EEEZNS1_14transform_implILb0ES3_S5_NS0_18transform_iteratorINS0_17counting_iteratorImlEEZNS1_24adjacent_difference_implIS3_Lb1ELb0EPKxPxN6thrust23THRUST_200600_302600_NS4plusIxEEEE10hipError_tPvRmT2_T3_mT4_P12ihipStream_tbEUlmE_xEESD_NS0_8identityIvEEEESI_SL_SM_mSN_SP_bEUlT_E_NS1_11comp_targetILNS1_3genE5ELNS1_11target_archE942ELNS1_3gpuE9ELNS1_3repE0EEENS1_30default_config_static_selectorELNS0_4arch9wavefront6targetE0EEEvT1_.kd
    .uniform_work_group_size: 1
    .uses_dynamic_stack: false
    .vgpr_count:     0
    .vgpr_spill_count: 0
    .wavefront_size: 32
    .workgroup_processor_mode: 1
  - .args:
      - .offset:         0
        .size:           56
        .value_kind:     by_value
    .group_segment_fixed_size: 0
    .kernarg_segment_align: 8
    .kernarg_segment_size: 56
    .language:       OpenCL C
    .language_version:
      - 2
      - 0
    .max_flat_workgroup_size: 256
    .name:           _ZN7rocprim17ROCPRIM_400000_NS6detail17trampoline_kernelINS0_14default_configENS1_25transform_config_selectorIxLb0EEEZNS1_14transform_implILb0ES3_S5_NS0_18transform_iteratorINS0_17counting_iteratorImlEEZNS1_24adjacent_difference_implIS3_Lb1ELb0EPKxPxN6thrust23THRUST_200600_302600_NS4plusIxEEEE10hipError_tPvRmT2_T3_mT4_P12ihipStream_tbEUlmE_xEESD_NS0_8identityIvEEEESI_SL_SM_mSN_SP_bEUlT_E_NS1_11comp_targetILNS1_3genE4ELNS1_11target_archE910ELNS1_3gpuE8ELNS1_3repE0EEENS1_30default_config_static_selectorELNS0_4arch9wavefront6targetE0EEEvT1_
    .private_segment_fixed_size: 0
    .sgpr_count:     0
    .sgpr_spill_count: 0
    .symbol:         _ZN7rocprim17ROCPRIM_400000_NS6detail17trampoline_kernelINS0_14default_configENS1_25transform_config_selectorIxLb0EEEZNS1_14transform_implILb0ES3_S5_NS0_18transform_iteratorINS0_17counting_iteratorImlEEZNS1_24adjacent_difference_implIS3_Lb1ELb0EPKxPxN6thrust23THRUST_200600_302600_NS4plusIxEEEE10hipError_tPvRmT2_T3_mT4_P12ihipStream_tbEUlmE_xEESD_NS0_8identityIvEEEESI_SL_SM_mSN_SP_bEUlT_E_NS1_11comp_targetILNS1_3genE4ELNS1_11target_archE910ELNS1_3gpuE8ELNS1_3repE0EEENS1_30default_config_static_selectorELNS0_4arch9wavefront6targetE0EEEvT1_.kd
    .uniform_work_group_size: 1
    .uses_dynamic_stack: false
    .vgpr_count:     0
    .vgpr_spill_count: 0
    .wavefront_size: 32
    .workgroup_processor_mode: 1
  - .args:
      - .offset:         0
        .size:           56
        .value_kind:     by_value
    .group_segment_fixed_size: 0
    .kernarg_segment_align: 8
    .kernarg_segment_size: 56
    .language:       OpenCL C
    .language_version:
      - 2
      - 0
    .max_flat_workgroup_size: 128
    .name:           _ZN7rocprim17ROCPRIM_400000_NS6detail17trampoline_kernelINS0_14default_configENS1_25transform_config_selectorIxLb0EEEZNS1_14transform_implILb0ES3_S5_NS0_18transform_iteratorINS0_17counting_iteratorImlEEZNS1_24adjacent_difference_implIS3_Lb1ELb0EPKxPxN6thrust23THRUST_200600_302600_NS4plusIxEEEE10hipError_tPvRmT2_T3_mT4_P12ihipStream_tbEUlmE_xEESD_NS0_8identityIvEEEESI_SL_SM_mSN_SP_bEUlT_E_NS1_11comp_targetILNS1_3genE3ELNS1_11target_archE908ELNS1_3gpuE7ELNS1_3repE0EEENS1_30default_config_static_selectorELNS0_4arch9wavefront6targetE0EEEvT1_
    .private_segment_fixed_size: 0
    .sgpr_count:     0
    .sgpr_spill_count: 0
    .symbol:         _ZN7rocprim17ROCPRIM_400000_NS6detail17trampoline_kernelINS0_14default_configENS1_25transform_config_selectorIxLb0EEEZNS1_14transform_implILb0ES3_S5_NS0_18transform_iteratorINS0_17counting_iteratorImlEEZNS1_24adjacent_difference_implIS3_Lb1ELb0EPKxPxN6thrust23THRUST_200600_302600_NS4plusIxEEEE10hipError_tPvRmT2_T3_mT4_P12ihipStream_tbEUlmE_xEESD_NS0_8identityIvEEEESI_SL_SM_mSN_SP_bEUlT_E_NS1_11comp_targetILNS1_3genE3ELNS1_11target_archE908ELNS1_3gpuE7ELNS1_3repE0EEENS1_30default_config_static_selectorELNS0_4arch9wavefront6targetE0EEEvT1_.kd
    .uniform_work_group_size: 1
    .uses_dynamic_stack: false
    .vgpr_count:     0
    .vgpr_spill_count: 0
    .wavefront_size: 32
    .workgroup_processor_mode: 1
  - .args:
      - .offset:         0
        .size:           56
        .value_kind:     by_value
    .group_segment_fixed_size: 0
    .kernarg_segment_align: 8
    .kernarg_segment_size: 56
    .language:       OpenCL C
    .language_version:
      - 2
      - 0
    .max_flat_workgroup_size: 512
    .name:           _ZN7rocprim17ROCPRIM_400000_NS6detail17trampoline_kernelINS0_14default_configENS1_25transform_config_selectorIxLb0EEEZNS1_14transform_implILb0ES3_S5_NS0_18transform_iteratorINS0_17counting_iteratorImlEEZNS1_24adjacent_difference_implIS3_Lb1ELb0EPKxPxN6thrust23THRUST_200600_302600_NS4plusIxEEEE10hipError_tPvRmT2_T3_mT4_P12ihipStream_tbEUlmE_xEESD_NS0_8identityIvEEEESI_SL_SM_mSN_SP_bEUlT_E_NS1_11comp_targetILNS1_3genE2ELNS1_11target_archE906ELNS1_3gpuE6ELNS1_3repE0EEENS1_30default_config_static_selectorELNS0_4arch9wavefront6targetE0EEEvT1_
    .private_segment_fixed_size: 0
    .sgpr_count:     0
    .sgpr_spill_count: 0
    .symbol:         _ZN7rocprim17ROCPRIM_400000_NS6detail17trampoline_kernelINS0_14default_configENS1_25transform_config_selectorIxLb0EEEZNS1_14transform_implILb0ES3_S5_NS0_18transform_iteratorINS0_17counting_iteratorImlEEZNS1_24adjacent_difference_implIS3_Lb1ELb0EPKxPxN6thrust23THRUST_200600_302600_NS4plusIxEEEE10hipError_tPvRmT2_T3_mT4_P12ihipStream_tbEUlmE_xEESD_NS0_8identityIvEEEESI_SL_SM_mSN_SP_bEUlT_E_NS1_11comp_targetILNS1_3genE2ELNS1_11target_archE906ELNS1_3gpuE6ELNS1_3repE0EEENS1_30default_config_static_selectorELNS0_4arch9wavefront6targetE0EEEvT1_.kd
    .uniform_work_group_size: 1
    .uses_dynamic_stack: false
    .vgpr_count:     0
    .vgpr_spill_count: 0
    .wavefront_size: 32
    .workgroup_processor_mode: 1
  - .args:
      - .offset:         0
        .size:           56
        .value_kind:     by_value
    .group_segment_fixed_size: 0
    .kernarg_segment_align: 8
    .kernarg_segment_size: 56
    .language:       OpenCL C
    .language_version:
      - 2
      - 0
    .max_flat_workgroup_size: 1024
    .name:           _ZN7rocprim17ROCPRIM_400000_NS6detail17trampoline_kernelINS0_14default_configENS1_25transform_config_selectorIxLb0EEEZNS1_14transform_implILb0ES3_S5_NS0_18transform_iteratorINS0_17counting_iteratorImlEEZNS1_24adjacent_difference_implIS3_Lb1ELb0EPKxPxN6thrust23THRUST_200600_302600_NS4plusIxEEEE10hipError_tPvRmT2_T3_mT4_P12ihipStream_tbEUlmE_xEESD_NS0_8identityIvEEEESI_SL_SM_mSN_SP_bEUlT_E_NS1_11comp_targetILNS1_3genE10ELNS1_11target_archE1201ELNS1_3gpuE5ELNS1_3repE0EEENS1_30default_config_static_selectorELNS0_4arch9wavefront6targetE0EEEvT1_
    .private_segment_fixed_size: 0
    .sgpr_count:     0
    .sgpr_spill_count: 0
    .symbol:         _ZN7rocprim17ROCPRIM_400000_NS6detail17trampoline_kernelINS0_14default_configENS1_25transform_config_selectorIxLb0EEEZNS1_14transform_implILb0ES3_S5_NS0_18transform_iteratorINS0_17counting_iteratorImlEEZNS1_24adjacent_difference_implIS3_Lb1ELb0EPKxPxN6thrust23THRUST_200600_302600_NS4plusIxEEEE10hipError_tPvRmT2_T3_mT4_P12ihipStream_tbEUlmE_xEESD_NS0_8identityIvEEEESI_SL_SM_mSN_SP_bEUlT_E_NS1_11comp_targetILNS1_3genE10ELNS1_11target_archE1201ELNS1_3gpuE5ELNS1_3repE0EEENS1_30default_config_static_selectorELNS0_4arch9wavefront6targetE0EEEvT1_.kd
    .uniform_work_group_size: 1
    .uses_dynamic_stack: false
    .vgpr_count:     0
    .vgpr_spill_count: 0
    .wavefront_size: 32
    .workgroup_processor_mode: 1
  - .args:
      - .offset:         0
        .size:           56
        .value_kind:     by_value
    .group_segment_fixed_size: 0
    .kernarg_segment_align: 8
    .kernarg_segment_size: 56
    .language:       OpenCL C
    .language_version:
      - 2
      - 0
    .max_flat_workgroup_size: 512
    .name:           _ZN7rocprim17ROCPRIM_400000_NS6detail17trampoline_kernelINS0_14default_configENS1_25transform_config_selectorIxLb0EEEZNS1_14transform_implILb0ES3_S5_NS0_18transform_iteratorINS0_17counting_iteratorImlEEZNS1_24adjacent_difference_implIS3_Lb1ELb0EPKxPxN6thrust23THRUST_200600_302600_NS4plusIxEEEE10hipError_tPvRmT2_T3_mT4_P12ihipStream_tbEUlmE_xEESD_NS0_8identityIvEEEESI_SL_SM_mSN_SP_bEUlT_E_NS1_11comp_targetILNS1_3genE10ELNS1_11target_archE1200ELNS1_3gpuE4ELNS1_3repE0EEENS1_30default_config_static_selectorELNS0_4arch9wavefront6targetE0EEEvT1_
    .private_segment_fixed_size: 0
    .sgpr_count:     0
    .sgpr_spill_count: 0
    .symbol:         _ZN7rocprim17ROCPRIM_400000_NS6detail17trampoline_kernelINS0_14default_configENS1_25transform_config_selectorIxLb0EEEZNS1_14transform_implILb0ES3_S5_NS0_18transform_iteratorINS0_17counting_iteratorImlEEZNS1_24adjacent_difference_implIS3_Lb1ELb0EPKxPxN6thrust23THRUST_200600_302600_NS4plusIxEEEE10hipError_tPvRmT2_T3_mT4_P12ihipStream_tbEUlmE_xEESD_NS0_8identityIvEEEESI_SL_SM_mSN_SP_bEUlT_E_NS1_11comp_targetILNS1_3genE10ELNS1_11target_archE1200ELNS1_3gpuE4ELNS1_3repE0EEENS1_30default_config_static_selectorELNS0_4arch9wavefront6targetE0EEEvT1_.kd
    .uniform_work_group_size: 1
    .uses_dynamic_stack: false
    .vgpr_count:     0
    .vgpr_spill_count: 0
    .wavefront_size: 32
    .workgroup_processor_mode: 1
  - .args:
      - .offset:         0
        .size:           56
        .value_kind:     by_value
      - .offset:         56
        .size:           4
        .value_kind:     hidden_block_count_x
      - .offset:         60
        .size:           4
        .value_kind:     hidden_block_count_y
      - .offset:         64
        .size:           4
        .value_kind:     hidden_block_count_z
      - .offset:         68
        .size:           2
        .value_kind:     hidden_group_size_x
      - .offset:         70
        .size:           2
        .value_kind:     hidden_group_size_y
      - .offset:         72
        .size:           2
        .value_kind:     hidden_group_size_z
      - .offset:         74
        .size:           2
        .value_kind:     hidden_remainder_x
      - .offset:         76
        .size:           2
        .value_kind:     hidden_remainder_y
      - .offset:         78
        .size:           2
        .value_kind:     hidden_remainder_z
      - .offset:         96
        .size:           8
        .value_kind:     hidden_global_offset_x
      - .offset:         104
        .size:           8
        .value_kind:     hidden_global_offset_y
      - .offset:         112
        .size:           8
        .value_kind:     hidden_global_offset_z
      - .offset:         120
        .size:           2
        .value_kind:     hidden_grid_dims
    .group_segment_fixed_size: 0
    .kernarg_segment_align: 8
    .kernarg_segment_size: 312
    .language:       OpenCL C
    .language_version:
      - 2
      - 0
    .max_flat_workgroup_size: 512
    .name:           _ZN7rocprim17ROCPRIM_400000_NS6detail17trampoline_kernelINS0_14default_configENS1_25transform_config_selectorIxLb0EEEZNS1_14transform_implILb0ES3_S5_NS0_18transform_iteratorINS0_17counting_iteratorImlEEZNS1_24adjacent_difference_implIS3_Lb1ELb0EPKxPxN6thrust23THRUST_200600_302600_NS4plusIxEEEE10hipError_tPvRmT2_T3_mT4_P12ihipStream_tbEUlmE_xEESD_NS0_8identityIvEEEESI_SL_SM_mSN_SP_bEUlT_E_NS1_11comp_targetILNS1_3genE9ELNS1_11target_archE1100ELNS1_3gpuE3ELNS1_3repE0EEENS1_30default_config_static_selectorELNS0_4arch9wavefront6targetE0EEEvT1_
    .private_segment_fixed_size: 0
    .sgpr_count:     18
    .sgpr_spill_count: 0
    .symbol:         _ZN7rocprim17ROCPRIM_400000_NS6detail17trampoline_kernelINS0_14default_configENS1_25transform_config_selectorIxLb0EEEZNS1_14transform_implILb0ES3_S5_NS0_18transform_iteratorINS0_17counting_iteratorImlEEZNS1_24adjacent_difference_implIS3_Lb1ELb0EPKxPxN6thrust23THRUST_200600_302600_NS4plusIxEEEE10hipError_tPvRmT2_T3_mT4_P12ihipStream_tbEUlmE_xEESD_NS0_8identityIvEEEESI_SL_SM_mSN_SP_bEUlT_E_NS1_11comp_targetILNS1_3genE9ELNS1_11target_archE1100ELNS1_3gpuE3ELNS1_3repE0EEENS1_30default_config_static_selectorELNS0_4arch9wavefront6targetE0EEEvT1_.kd
    .uniform_work_group_size: 1
    .uses_dynamic_stack: false
    .vgpr_count:     6
    .vgpr_spill_count: 0
    .wavefront_size: 32
    .workgroup_processor_mode: 1
  - .args:
      - .offset:         0
        .size:           56
        .value_kind:     by_value
    .group_segment_fixed_size: 0
    .kernarg_segment_align: 8
    .kernarg_segment_size: 56
    .language:       OpenCL C
    .language_version:
      - 2
      - 0
    .max_flat_workgroup_size: 512
    .name:           _ZN7rocprim17ROCPRIM_400000_NS6detail17trampoline_kernelINS0_14default_configENS1_25transform_config_selectorIxLb0EEEZNS1_14transform_implILb0ES3_S5_NS0_18transform_iteratorINS0_17counting_iteratorImlEEZNS1_24adjacent_difference_implIS3_Lb1ELb0EPKxPxN6thrust23THRUST_200600_302600_NS4plusIxEEEE10hipError_tPvRmT2_T3_mT4_P12ihipStream_tbEUlmE_xEESD_NS0_8identityIvEEEESI_SL_SM_mSN_SP_bEUlT_E_NS1_11comp_targetILNS1_3genE8ELNS1_11target_archE1030ELNS1_3gpuE2ELNS1_3repE0EEENS1_30default_config_static_selectorELNS0_4arch9wavefront6targetE0EEEvT1_
    .private_segment_fixed_size: 0
    .sgpr_count:     0
    .sgpr_spill_count: 0
    .symbol:         _ZN7rocprim17ROCPRIM_400000_NS6detail17trampoline_kernelINS0_14default_configENS1_25transform_config_selectorIxLb0EEEZNS1_14transform_implILb0ES3_S5_NS0_18transform_iteratorINS0_17counting_iteratorImlEEZNS1_24adjacent_difference_implIS3_Lb1ELb0EPKxPxN6thrust23THRUST_200600_302600_NS4plusIxEEEE10hipError_tPvRmT2_T3_mT4_P12ihipStream_tbEUlmE_xEESD_NS0_8identityIvEEEESI_SL_SM_mSN_SP_bEUlT_E_NS1_11comp_targetILNS1_3genE8ELNS1_11target_archE1030ELNS1_3gpuE2ELNS1_3repE0EEENS1_30default_config_static_selectorELNS0_4arch9wavefront6targetE0EEEvT1_.kd
    .uniform_work_group_size: 1
    .uses_dynamic_stack: false
    .vgpr_count:     0
    .vgpr_spill_count: 0
    .wavefront_size: 32
    .workgroup_processor_mode: 1
  - .args:
      - .offset:         0
        .size:           56
        .value_kind:     by_value
    .group_segment_fixed_size: 0
    .kernarg_segment_align: 8
    .kernarg_segment_size: 56
    .language:       OpenCL C
    .language_version:
      - 2
      - 0
    .max_flat_workgroup_size: 512
    .name:           _ZN7rocprim17ROCPRIM_400000_NS6detail17trampoline_kernelINS0_14default_configENS1_35adjacent_difference_config_selectorILb1ExEEZNS1_24adjacent_difference_implIS3_Lb1ELb0EPKxPxN6thrust23THRUST_200600_302600_NS4plusIxEEEE10hipError_tPvRmT2_T3_mT4_P12ihipStream_tbEUlT_E_NS1_11comp_targetILNS1_3genE0ELNS1_11target_archE4294967295ELNS1_3gpuE0ELNS1_3repE0EEENS1_30default_config_static_selectorELNS0_4arch9wavefront6targetE0EEEvT1_
    .private_segment_fixed_size: 0
    .sgpr_count:     0
    .sgpr_spill_count: 0
    .symbol:         _ZN7rocprim17ROCPRIM_400000_NS6detail17trampoline_kernelINS0_14default_configENS1_35adjacent_difference_config_selectorILb1ExEEZNS1_24adjacent_difference_implIS3_Lb1ELb0EPKxPxN6thrust23THRUST_200600_302600_NS4plusIxEEEE10hipError_tPvRmT2_T3_mT4_P12ihipStream_tbEUlT_E_NS1_11comp_targetILNS1_3genE0ELNS1_11target_archE4294967295ELNS1_3gpuE0ELNS1_3repE0EEENS1_30default_config_static_selectorELNS0_4arch9wavefront6targetE0EEEvT1_.kd
    .uniform_work_group_size: 1
    .uses_dynamic_stack: false
    .vgpr_count:     0
    .vgpr_spill_count: 0
    .wavefront_size: 32
    .workgroup_processor_mode: 1
  - .args:
      - .offset:         0
        .size:           56
        .value_kind:     by_value
    .group_segment_fixed_size: 0
    .kernarg_segment_align: 8
    .kernarg_segment_size: 56
    .language:       OpenCL C
    .language_version:
      - 2
      - 0
    .max_flat_workgroup_size: 32
    .name:           _ZN7rocprim17ROCPRIM_400000_NS6detail17trampoline_kernelINS0_14default_configENS1_35adjacent_difference_config_selectorILb1ExEEZNS1_24adjacent_difference_implIS3_Lb1ELb0EPKxPxN6thrust23THRUST_200600_302600_NS4plusIxEEEE10hipError_tPvRmT2_T3_mT4_P12ihipStream_tbEUlT_E_NS1_11comp_targetILNS1_3genE10ELNS1_11target_archE1201ELNS1_3gpuE5ELNS1_3repE0EEENS1_30default_config_static_selectorELNS0_4arch9wavefront6targetE0EEEvT1_
    .private_segment_fixed_size: 0
    .sgpr_count:     0
    .sgpr_spill_count: 0
    .symbol:         _ZN7rocprim17ROCPRIM_400000_NS6detail17trampoline_kernelINS0_14default_configENS1_35adjacent_difference_config_selectorILb1ExEEZNS1_24adjacent_difference_implIS3_Lb1ELb0EPKxPxN6thrust23THRUST_200600_302600_NS4plusIxEEEE10hipError_tPvRmT2_T3_mT4_P12ihipStream_tbEUlT_E_NS1_11comp_targetILNS1_3genE10ELNS1_11target_archE1201ELNS1_3gpuE5ELNS1_3repE0EEENS1_30default_config_static_selectorELNS0_4arch9wavefront6targetE0EEEvT1_.kd
    .uniform_work_group_size: 1
    .uses_dynamic_stack: false
    .vgpr_count:     0
    .vgpr_spill_count: 0
    .wavefront_size: 32
    .workgroup_processor_mode: 1
  - .args:
      - .offset:         0
        .size:           56
        .value_kind:     by_value
    .group_segment_fixed_size: 0
    .kernarg_segment_align: 8
    .kernarg_segment_size: 56
    .language:       OpenCL C
    .language_version:
      - 2
      - 0
    .max_flat_workgroup_size: 256
    .name:           _ZN7rocprim17ROCPRIM_400000_NS6detail17trampoline_kernelINS0_14default_configENS1_35adjacent_difference_config_selectorILb1ExEEZNS1_24adjacent_difference_implIS3_Lb1ELb0EPKxPxN6thrust23THRUST_200600_302600_NS4plusIxEEEE10hipError_tPvRmT2_T3_mT4_P12ihipStream_tbEUlT_E_NS1_11comp_targetILNS1_3genE5ELNS1_11target_archE942ELNS1_3gpuE9ELNS1_3repE0EEENS1_30default_config_static_selectorELNS0_4arch9wavefront6targetE0EEEvT1_
    .private_segment_fixed_size: 0
    .sgpr_count:     0
    .sgpr_spill_count: 0
    .symbol:         _ZN7rocprim17ROCPRIM_400000_NS6detail17trampoline_kernelINS0_14default_configENS1_35adjacent_difference_config_selectorILb1ExEEZNS1_24adjacent_difference_implIS3_Lb1ELb0EPKxPxN6thrust23THRUST_200600_302600_NS4plusIxEEEE10hipError_tPvRmT2_T3_mT4_P12ihipStream_tbEUlT_E_NS1_11comp_targetILNS1_3genE5ELNS1_11target_archE942ELNS1_3gpuE9ELNS1_3repE0EEENS1_30default_config_static_selectorELNS0_4arch9wavefront6targetE0EEEvT1_.kd
    .uniform_work_group_size: 1
    .uses_dynamic_stack: false
    .vgpr_count:     0
    .vgpr_spill_count: 0
    .wavefront_size: 32
    .workgroup_processor_mode: 1
  - .args:
      - .offset:         0
        .size:           56
        .value_kind:     by_value
    .group_segment_fixed_size: 0
    .kernarg_segment_align: 8
    .kernarg_segment_size: 56
    .language:       OpenCL C
    .language_version:
      - 2
      - 0
    .max_flat_workgroup_size: 512
    .name:           _ZN7rocprim17ROCPRIM_400000_NS6detail17trampoline_kernelINS0_14default_configENS1_35adjacent_difference_config_selectorILb1ExEEZNS1_24adjacent_difference_implIS3_Lb1ELb0EPKxPxN6thrust23THRUST_200600_302600_NS4plusIxEEEE10hipError_tPvRmT2_T3_mT4_P12ihipStream_tbEUlT_E_NS1_11comp_targetILNS1_3genE4ELNS1_11target_archE910ELNS1_3gpuE8ELNS1_3repE0EEENS1_30default_config_static_selectorELNS0_4arch9wavefront6targetE0EEEvT1_
    .private_segment_fixed_size: 0
    .sgpr_count:     0
    .sgpr_spill_count: 0
    .symbol:         _ZN7rocprim17ROCPRIM_400000_NS6detail17trampoline_kernelINS0_14default_configENS1_35adjacent_difference_config_selectorILb1ExEEZNS1_24adjacent_difference_implIS3_Lb1ELb0EPKxPxN6thrust23THRUST_200600_302600_NS4plusIxEEEE10hipError_tPvRmT2_T3_mT4_P12ihipStream_tbEUlT_E_NS1_11comp_targetILNS1_3genE4ELNS1_11target_archE910ELNS1_3gpuE8ELNS1_3repE0EEENS1_30default_config_static_selectorELNS0_4arch9wavefront6targetE0EEEvT1_.kd
    .uniform_work_group_size: 1
    .uses_dynamic_stack: false
    .vgpr_count:     0
    .vgpr_spill_count: 0
    .wavefront_size: 32
    .workgroup_processor_mode: 1
  - .args:
      - .offset:         0
        .size:           56
        .value_kind:     by_value
    .group_segment_fixed_size: 0
    .kernarg_segment_align: 8
    .kernarg_segment_size: 56
    .language:       OpenCL C
    .language_version:
      - 2
      - 0
    .max_flat_workgroup_size: 512
    .name:           _ZN7rocprim17ROCPRIM_400000_NS6detail17trampoline_kernelINS0_14default_configENS1_35adjacent_difference_config_selectorILb1ExEEZNS1_24adjacent_difference_implIS3_Lb1ELb0EPKxPxN6thrust23THRUST_200600_302600_NS4plusIxEEEE10hipError_tPvRmT2_T3_mT4_P12ihipStream_tbEUlT_E_NS1_11comp_targetILNS1_3genE3ELNS1_11target_archE908ELNS1_3gpuE7ELNS1_3repE0EEENS1_30default_config_static_selectorELNS0_4arch9wavefront6targetE0EEEvT1_
    .private_segment_fixed_size: 0
    .sgpr_count:     0
    .sgpr_spill_count: 0
    .symbol:         _ZN7rocprim17ROCPRIM_400000_NS6detail17trampoline_kernelINS0_14default_configENS1_35adjacent_difference_config_selectorILb1ExEEZNS1_24adjacent_difference_implIS3_Lb1ELb0EPKxPxN6thrust23THRUST_200600_302600_NS4plusIxEEEE10hipError_tPvRmT2_T3_mT4_P12ihipStream_tbEUlT_E_NS1_11comp_targetILNS1_3genE3ELNS1_11target_archE908ELNS1_3gpuE7ELNS1_3repE0EEENS1_30default_config_static_selectorELNS0_4arch9wavefront6targetE0EEEvT1_.kd
    .uniform_work_group_size: 1
    .uses_dynamic_stack: false
    .vgpr_count:     0
    .vgpr_spill_count: 0
    .wavefront_size: 32
    .workgroup_processor_mode: 1
  - .args:
      - .offset:         0
        .size:           56
        .value_kind:     by_value
    .group_segment_fixed_size: 0
    .kernarg_segment_align: 8
    .kernarg_segment_size: 56
    .language:       OpenCL C
    .language_version:
      - 2
      - 0
    .max_flat_workgroup_size: 128
    .name:           _ZN7rocprim17ROCPRIM_400000_NS6detail17trampoline_kernelINS0_14default_configENS1_35adjacent_difference_config_selectorILb1ExEEZNS1_24adjacent_difference_implIS3_Lb1ELb0EPKxPxN6thrust23THRUST_200600_302600_NS4plusIxEEEE10hipError_tPvRmT2_T3_mT4_P12ihipStream_tbEUlT_E_NS1_11comp_targetILNS1_3genE2ELNS1_11target_archE906ELNS1_3gpuE6ELNS1_3repE0EEENS1_30default_config_static_selectorELNS0_4arch9wavefront6targetE0EEEvT1_
    .private_segment_fixed_size: 0
    .sgpr_count:     0
    .sgpr_spill_count: 0
    .symbol:         _ZN7rocprim17ROCPRIM_400000_NS6detail17trampoline_kernelINS0_14default_configENS1_35adjacent_difference_config_selectorILb1ExEEZNS1_24adjacent_difference_implIS3_Lb1ELb0EPKxPxN6thrust23THRUST_200600_302600_NS4plusIxEEEE10hipError_tPvRmT2_T3_mT4_P12ihipStream_tbEUlT_E_NS1_11comp_targetILNS1_3genE2ELNS1_11target_archE906ELNS1_3gpuE6ELNS1_3repE0EEENS1_30default_config_static_selectorELNS0_4arch9wavefront6targetE0EEEvT1_.kd
    .uniform_work_group_size: 1
    .uses_dynamic_stack: false
    .vgpr_count:     0
    .vgpr_spill_count: 0
    .wavefront_size: 32
    .workgroup_processor_mode: 1
  - .args:
      - .offset:         0
        .size:           56
        .value_kind:     by_value
    .group_segment_fixed_size: 29696
    .kernarg_segment_align: 8
    .kernarg_segment_size: 56
    .language:       OpenCL C
    .language_version:
      - 2
      - 0
    .max_flat_workgroup_size: 128
    .name:           _ZN7rocprim17ROCPRIM_400000_NS6detail17trampoline_kernelINS0_14default_configENS1_35adjacent_difference_config_selectorILb1ExEEZNS1_24adjacent_difference_implIS3_Lb1ELb0EPKxPxN6thrust23THRUST_200600_302600_NS4plusIxEEEE10hipError_tPvRmT2_T3_mT4_P12ihipStream_tbEUlT_E_NS1_11comp_targetILNS1_3genE9ELNS1_11target_archE1100ELNS1_3gpuE3ELNS1_3repE0EEENS1_30default_config_static_selectorELNS0_4arch9wavefront6targetE0EEEvT1_
    .private_segment_fixed_size: 0
    .sgpr_count:     28
    .sgpr_spill_count: 0
    .symbol:         _ZN7rocprim17ROCPRIM_400000_NS6detail17trampoline_kernelINS0_14default_configENS1_35adjacent_difference_config_selectorILb1ExEEZNS1_24adjacent_difference_implIS3_Lb1ELb0EPKxPxN6thrust23THRUST_200600_302600_NS4plusIxEEEE10hipError_tPvRmT2_T3_mT4_P12ihipStream_tbEUlT_E_NS1_11comp_targetILNS1_3genE9ELNS1_11target_archE1100ELNS1_3gpuE3ELNS1_3repE0EEENS1_30default_config_static_selectorELNS0_4arch9wavefront6targetE0EEEvT1_.kd
    .uniform_work_group_size: 1
    .uses_dynamic_stack: false
    .vgpr_count:     122
    .vgpr_spill_count: 0
    .wavefront_size: 32
    .workgroup_processor_mode: 1
  - .args:
      - .offset:         0
        .size:           56
        .value_kind:     by_value
    .group_segment_fixed_size: 0
    .kernarg_segment_align: 8
    .kernarg_segment_size: 56
    .language:       OpenCL C
    .language_version:
      - 2
      - 0
    .max_flat_workgroup_size: 32
    .name:           _ZN7rocprim17ROCPRIM_400000_NS6detail17trampoline_kernelINS0_14default_configENS1_35adjacent_difference_config_selectorILb1ExEEZNS1_24adjacent_difference_implIS3_Lb1ELb0EPKxPxN6thrust23THRUST_200600_302600_NS4plusIxEEEE10hipError_tPvRmT2_T3_mT4_P12ihipStream_tbEUlT_E_NS1_11comp_targetILNS1_3genE8ELNS1_11target_archE1030ELNS1_3gpuE2ELNS1_3repE0EEENS1_30default_config_static_selectorELNS0_4arch9wavefront6targetE0EEEvT1_
    .private_segment_fixed_size: 0
    .sgpr_count:     0
    .sgpr_spill_count: 0
    .symbol:         _ZN7rocprim17ROCPRIM_400000_NS6detail17trampoline_kernelINS0_14default_configENS1_35adjacent_difference_config_selectorILb1ExEEZNS1_24adjacent_difference_implIS3_Lb1ELb0EPKxPxN6thrust23THRUST_200600_302600_NS4plusIxEEEE10hipError_tPvRmT2_T3_mT4_P12ihipStream_tbEUlT_E_NS1_11comp_targetILNS1_3genE8ELNS1_11target_archE1030ELNS1_3gpuE2ELNS1_3repE0EEENS1_30default_config_static_selectorELNS0_4arch9wavefront6targetE0EEEvT1_.kd
    .uniform_work_group_size: 1
    .uses_dynamic_stack: false
    .vgpr_count:     0
    .vgpr_spill_count: 0
    .wavefront_size: 32
    .workgroup_processor_mode: 1
  - .args:
      - .offset:         0
        .size:           56
        .value_kind:     by_value
    .group_segment_fixed_size: 0
    .kernarg_segment_align: 8
    .kernarg_segment_size: 56
    .language:       OpenCL C
    .language_version:
      - 2
      - 0
    .max_flat_workgroup_size: 128
    .name:           _ZN7rocprim17ROCPRIM_400000_NS6detail17trampoline_kernelINS0_14default_configENS1_35adjacent_difference_config_selectorILb0EiEEZNS1_24adjacent_difference_implIS3_Lb0ELb0EPKiPiN6thrust23THRUST_200600_302600_NS4plusIiEEEE10hipError_tPvRmT2_T3_mT4_P12ihipStream_tbEUlT_E_NS1_11comp_targetILNS1_3genE0ELNS1_11target_archE4294967295ELNS1_3gpuE0ELNS1_3repE0EEENS1_30default_config_static_selectorELNS0_4arch9wavefront6targetE0EEEvT1_
    .private_segment_fixed_size: 0
    .sgpr_count:     0
    .sgpr_spill_count: 0
    .symbol:         _ZN7rocprim17ROCPRIM_400000_NS6detail17trampoline_kernelINS0_14default_configENS1_35adjacent_difference_config_selectorILb0EiEEZNS1_24adjacent_difference_implIS3_Lb0ELb0EPKiPiN6thrust23THRUST_200600_302600_NS4plusIiEEEE10hipError_tPvRmT2_T3_mT4_P12ihipStream_tbEUlT_E_NS1_11comp_targetILNS1_3genE0ELNS1_11target_archE4294967295ELNS1_3gpuE0ELNS1_3repE0EEENS1_30default_config_static_selectorELNS0_4arch9wavefront6targetE0EEEvT1_.kd
    .uniform_work_group_size: 1
    .uses_dynamic_stack: false
    .vgpr_count:     0
    .vgpr_spill_count: 0
    .wavefront_size: 32
    .workgroup_processor_mode: 1
  - .args:
      - .offset:         0
        .size:           56
        .value_kind:     by_value
    .group_segment_fixed_size: 0
    .kernarg_segment_align: 8
    .kernarg_segment_size: 56
    .language:       OpenCL C
    .language_version:
      - 2
      - 0
    .max_flat_workgroup_size: 128
    .name:           _ZN7rocprim17ROCPRIM_400000_NS6detail17trampoline_kernelINS0_14default_configENS1_35adjacent_difference_config_selectorILb0EiEEZNS1_24adjacent_difference_implIS3_Lb0ELb0EPKiPiN6thrust23THRUST_200600_302600_NS4plusIiEEEE10hipError_tPvRmT2_T3_mT4_P12ihipStream_tbEUlT_E_NS1_11comp_targetILNS1_3genE10ELNS1_11target_archE1201ELNS1_3gpuE5ELNS1_3repE0EEENS1_30default_config_static_selectorELNS0_4arch9wavefront6targetE0EEEvT1_
    .private_segment_fixed_size: 0
    .sgpr_count:     0
    .sgpr_spill_count: 0
    .symbol:         _ZN7rocprim17ROCPRIM_400000_NS6detail17trampoline_kernelINS0_14default_configENS1_35adjacent_difference_config_selectorILb0EiEEZNS1_24adjacent_difference_implIS3_Lb0ELb0EPKiPiN6thrust23THRUST_200600_302600_NS4plusIiEEEE10hipError_tPvRmT2_T3_mT4_P12ihipStream_tbEUlT_E_NS1_11comp_targetILNS1_3genE10ELNS1_11target_archE1201ELNS1_3gpuE5ELNS1_3repE0EEENS1_30default_config_static_selectorELNS0_4arch9wavefront6targetE0EEEvT1_.kd
    .uniform_work_group_size: 1
    .uses_dynamic_stack: false
    .vgpr_count:     0
    .vgpr_spill_count: 0
    .wavefront_size: 32
    .workgroup_processor_mode: 1
  - .args:
      - .offset:         0
        .size:           56
        .value_kind:     by_value
    .group_segment_fixed_size: 0
    .kernarg_segment_align: 8
    .kernarg_segment_size: 56
    .language:       OpenCL C
    .language_version:
      - 2
      - 0
    .max_flat_workgroup_size: 64
    .name:           _ZN7rocprim17ROCPRIM_400000_NS6detail17trampoline_kernelINS0_14default_configENS1_35adjacent_difference_config_selectorILb0EiEEZNS1_24adjacent_difference_implIS3_Lb0ELb0EPKiPiN6thrust23THRUST_200600_302600_NS4plusIiEEEE10hipError_tPvRmT2_T3_mT4_P12ihipStream_tbEUlT_E_NS1_11comp_targetILNS1_3genE5ELNS1_11target_archE942ELNS1_3gpuE9ELNS1_3repE0EEENS1_30default_config_static_selectorELNS0_4arch9wavefront6targetE0EEEvT1_
    .private_segment_fixed_size: 0
    .sgpr_count:     0
    .sgpr_spill_count: 0
    .symbol:         _ZN7rocprim17ROCPRIM_400000_NS6detail17trampoline_kernelINS0_14default_configENS1_35adjacent_difference_config_selectorILb0EiEEZNS1_24adjacent_difference_implIS3_Lb0ELb0EPKiPiN6thrust23THRUST_200600_302600_NS4plusIiEEEE10hipError_tPvRmT2_T3_mT4_P12ihipStream_tbEUlT_E_NS1_11comp_targetILNS1_3genE5ELNS1_11target_archE942ELNS1_3gpuE9ELNS1_3repE0EEENS1_30default_config_static_selectorELNS0_4arch9wavefront6targetE0EEEvT1_.kd
    .uniform_work_group_size: 1
    .uses_dynamic_stack: false
    .vgpr_count:     0
    .vgpr_spill_count: 0
    .wavefront_size: 32
    .workgroup_processor_mode: 1
  - .args:
      - .offset:         0
        .size:           56
        .value_kind:     by_value
    .group_segment_fixed_size: 0
    .kernarg_segment_align: 8
    .kernarg_segment_size: 56
    .language:       OpenCL C
    .language_version:
      - 2
      - 0
    .max_flat_workgroup_size: 512
    .name:           _ZN7rocprim17ROCPRIM_400000_NS6detail17trampoline_kernelINS0_14default_configENS1_35adjacent_difference_config_selectorILb0EiEEZNS1_24adjacent_difference_implIS3_Lb0ELb0EPKiPiN6thrust23THRUST_200600_302600_NS4plusIiEEEE10hipError_tPvRmT2_T3_mT4_P12ihipStream_tbEUlT_E_NS1_11comp_targetILNS1_3genE4ELNS1_11target_archE910ELNS1_3gpuE8ELNS1_3repE0EEENS1_30default_config_static_selectorELNS0_4arch9wavefront6targetE0EEEvT1_
    .private_segment_fixed_size: 0
    .sgpr_count:     0
    .sgpr_spill_count: 0
    .symbol:         _ZN7rocprim17ROCPRIM_400000_NS6detail17trampoline_kernelINS0_14default_configENS1_35adjacent_difference_config_selectorILb0EiEEZNS1_24adjacent_difference_implIS3_Lb0ELb0EPKiPiN6thrust23THRUST_200600_302600_NS4plusIiEEEE10hipError_tPvRmT2_T3_mT4_P12ihipStream_tbEUlT_E_NS1_11comp_targetILNS1_3genE4ELNS1_11target_archE910ELNS1_3gpuE8ELNS1_3repE0EEENS1_30default_config_static_selectorELNS0_4arch9wavefront6targetE0EEEvT1_.kd
    .uniform_work_group_size: 1
    .uses_dynamic_stack: false
    .vgpr_count:     0
    .vgpr_spill_count: 0
    .wavefront_size: 32
    .workgroup_processor_mode: 1
  - .args:
      - .offset:         0
        .size:           56
        .value_kind:     by_value
    .group_segment_fixed_size: 0
    .kernarg_segment_align: 8
    .kernarg_segment_size: 56
    .language:       OpenCL C
    .language_version:
      - 2
      - 0
    .max_flat_workgroup_size: 128
    .name:           _ZN7rocprim17ROCPRIM_400000_NS6detail17trampoline_kernelINS0_14default_configENS1_35adjacent_difference_config_selectorILb0EiEEZNS1_24adjacent_difference_implIS3_Lb0ELb0EPKiPiN6thrust23THRUST_200600_302600_NS4plusIiEEEE10hipError_tPvRmT2_T3_mT4_P12ihipStream_tbEUlT_E_NS1_11comp_targetILNS1_3genE3ELNS1_11target_archE908ELNS1_3gpuE7ELNS1_3repE0EEENS1_30default_config_static_selectorELNS0_4arch9wavefront6targetE0EEEvT1_
    .private_segment_fixed_size: 0
    .sgpr_count:     0
    .sgpr_spill_count: 0
    .symbol:         _ZN7rocprim17ROCPRIM_400000_NS6detail17trampoline_kernelINS0_14default_configENS1_35adjacent_difference_config_selectorILb0EiEEZNS1_24adjacent_difference_implIS3_Lb0ELb0EPKiPiN6thrust23THRUST_200600_302600_NS4plusIiEEEE10hipError_tPvRmT2_T3_mT4_P12ihipStream_tbEUlT_E_NS1_11comp_targetILNS1_3genE3ELNS1_11target_archE908ELNS1_3gpuE7ELNS1_3repE0EEENS1_30default_config_static_selectorELNS0_4arch9wavefront6targetE0EEEvT1_.kd
    .uniform_work_group_size: 1
    .uses_dynamic_stack: false
    .vgpr_count:     0
    .vgpr_spill_count: 0
    .wavefront_size: 32
    .workgroup_processor_mode: 1
  - .args:
      - .offset:         0
        .size:           56
        .value_kind:     by_value
    .group_segment_fixed_size: 0
    .kernarg_segment_align: 8
    .kernarg_segment_size: 56
    .language:       OpenCL C
    .language_version:
      - 2
      - 0
    .max_flat_workgroup_size: 1024
    .name:           _ZN7rocprim17ROCPRIM_400000_NS6detail17trampoline_kernelINS0_14default_configENS1_35adjacent_difference_config_selectorILb0EiEEZNS1_24adjacent_difference_implIS3_Lb0ELb0EPKiPiN6thrust23THRUST_200600_302600_NS4plusIiEEEE10hipError_tPvRmT2_T3_mT4_P12ihipStream_tbEUlT_E_NS1_11comp_targetILNS1_3genE2ELNS1_11target_archE906ELNS1_3gpuE6ELNS1_3repE0EEENS1_30default_config_static_selectorELNS0_4arch9wavefront6targetE0EEEvT1_
    .private_segment_fixed_size: 0
    .sgpr_count:     0
    .sgpr_spill_count: 0
    .symbol:         _ZN7rocprim17ROCPRIM_400000_NS6detail17trampoline_kernelINS0_14default_configENS1_35adjacent_difference_config_selectorILb0EiEEZNS1_24adjacent_difference_implIS3_Lb0ELb0EPKiPiN6thrust23THRUST_200600_302600_NS4plusIiEEEE10hipError_tPvRmT2_T3_mT4_P12ihipStream_tbEUlT_E_NS1_11comp_targetILNS1_3genE2ELNS1_11target_archE906ELNS1_3gpuE6ELNS1_3repE0EEENS1_30default_config_static_selectorELNS0_4arch9wavefront6targetE0EEEvT1_.kd
    .uniform_work_group_size: 1
    .uses_dynamic_stack: false
    .vgpr_count:     0
    .vgpr_spill_count: 0
    .wavefront_size: 32
    .workgroup_processor_mode: 1
  - .args:
      - .offset:         0
        .size:           56
        .value_kind:     by_value
    .group_segment_fixed_size: 20480
    .kernarg_segment_align: 8
    .kernarg_segment_size: 56
    .language:       OpenCL C
    .language_version:
      - 2
      - 0
    .max_flat_workgroup_size: 1024
    .name:           _ZN7rocprim17ROCPRIM_400000_NS6detail17trampoline_kernelINS0_14default_configENS1_35adjacent_difference_config_selectorILb0EiEEZNS1_24adjacent_difference_implIS3_Lb0ELb0EPKiPiN6thrust23THRUST_200600_302600_NS4plusIiEEEE10hipError_tPvRmT2_T3_mT4_P12ihipStream_tbEUlT_E_NS1_11comp_targetILNS1_3genE9ELNS1_11target_archE1100ELNS1_3gpuE3ELNS1_3repE0EEENS1_30default_config_static_selectorELNS0_4arch9wavefront6targetE0EEEvT1_
    .private_segment_fixed_size: 0
    .sgpr_count:     23
    .sgpr_spill_count: 0
    .symbol:         _ZN7rocprim17ROCPRIM_400000_NS6detail17trampoline_kernelINS0_14default_configENS1_35adjacent_difference_config_selectorILb0EiEEZNS1_24adjacent_difference_implIS3_Lb0ELb0EPKiPiN6thrust23THRUST_200600_302600_NS4plusIiEEEE10hipError_tPvRmT2_T3_mT4_P12ihipStream_tbEUlT_E_NS1_11comp_targetILNS1_3genE9ELNS1_11target_archE1100ELNS1_3gpuE3ELNS1_3repE0EEENS1_30default_config_static_selectorELNS0_4arch9wavefront6targetE0EEEvT1_.kd
    .uniform_work_group_size: 1
    .uses_dynamic_stack: false
    .vgpr_count:     17
    .vgpr_spill_count: 0
    .wavefront_size: 32
    .workgroup_processor_mode: 1
  - .args:
      - .offset:         0
        .size:           56
        .value_kind:     by_value
    .group_segment_fixed_size: 0
    .kernarg_segment_align: 8
    .kernarg_segment_size: 56
    .language:       OpenCL C
    .language_version:
      - 2
      - 0
    .max_flat_workgroup_size: 1024
    .name:           _ZN7rocprim17ROCPRIM_400000_NS6detail17trampoline_kernelINS0_14default_configENS1_35adjacent_difference_config_selectorILb0EiEEZNS1_24adjacent_difference_implIS3_Lb0ELb0EPKiPiN6thrust23THRUST_200600_302600_NS4plusIiEEEE10hipError_tPvRmT2_T3_mT4_P12ihipStream_tbEUlT_E_NS1_11comp_targetILNS1_3genE8ELNS1_11target_archE1030ELNS1_3gpuE2ELNS1_3repE0EEENS1_30default_config_static_selectorELNS0_4arch9wavefront6targetE0EEEvT1_
    .private_segment_fixed_size: 0
    .sgpr_count:     0
    .sgpr_spill_count: 0
    .symbol:         _ZN7rocprim17ROCPRIM_400000_NS6detail17trampoline_kernelINS0_14default_configENS1_35adjacent_difference_config_selectorILb0EiEEZNS1_24adjacent_difference_implIS3_Lb0ELb0EPKiPiN6thrust23THRUST_200600_302600_NS4plusIiEEEE10hipError_tPvRmT2_T3_mT4_P12ihipStream_tbEUlT_E_NS1_11comp_targetILNS1_3genE8ELNS1_11target_archE1030ELNS1_3gpuE2ELNS1_3repE0EEENS1_30default_config_static_selectorELNS0_4arch9wavefront6targetE0EEEvT1_.kd
    .uniform_work_group_size: 1
    .uses_dynamic_stack: false
    .vgpr_count:     0
    .vgpr_spill_count: 0
    .wavefront_size: 32
    .workgroup_processor_mode: 1
  - .args:
      - .offset:         0
        .size:           56
        .value_kind:     by_value
    .group_segment_fixed_size: 0
    .kernarg_segment_align: 8
    .kernarg_segment_size: 56
    .language:       OpenCL C
    .language_version:
      - 2
      - 0
    .max_flat_workgroup_size: 128
    .name:           _ZN7rocprim17ROCPRIM_400000_NS6detail17trampoline_kernelINS0_14default_configENS1_25transform_config_selectorIiLb0EEEZNS1_14transform_implILb0ES3_S5_NS0_18transform_iteratorINS0_17counting_iteratorImlEEZNS1_24adjacent_difference_implIS3_Lb1ELb0EPKiPiN6thrust23THRUST_200600_302600_NS4plusIiEEEE10hipError_tPvRmT2_T3_mT4_P12ihipStream_tbEUlmE_iEESD_NS0_8identityIvEEEESI_SL_SM_mSN_SP_bEUlT_E_NS1_11comp_targetILNS1_3genE0ELNS1_11target_archE4294967295ELNS1_3gpuE0ELNS1_3repE0EEENS1_30default_config_static_selectorELNS0_4arch9wavefront6targetE0EEEvT1_
    .private_segment_fixed_size: 0
    .sgpr_count:     0
    .sgpr_spill_count: 0
    .symbol:         _ZN7rocprim17ROCPRIM_400000_NS6detail17trampoline_kernelINS0_14default_configENS1_25transform_config_selectorIiLb0EEEZNS1_14transform_implILb0ES3_S5_NS0_18transform_iteratorINS0_17counting_iteratorImlEEZNS1_24adjacent_difference_implIS3_Lb1ELb0EPKiPiN6thrust23THRUST_200600_302600_NS4plusIiEEEE10hipError_tPvRmT2_T3_mT4_P12ihipStream_tbEUlmE_iEESD_NS0_8identityIvEEEESI_SL_SM_mSN_SP_bEUlT_E_NS1_11comp_targetILNS1_3genE0ELNS1_11target_archE4294967295ELNS1_3gpuE0ELNS1_3repE0EEENS1_30default_config_static_selectorELNS0_4arch9wavefront6targetE0EEEvT1_.kd
    .uniform_work_group_size: 1
    .uses_dynamic_stack: false
    .vgpr_count:     0
    .vgpr_spill_count: 0
    .wavefront_size: 32
    .workgroup_processor_mode: 1
  - .args:
      - .offset:         0
        .size:           56
        .value_kind:     by_value
    .group_segment_fixed_size: 0
    .kernarg_segment_align: 8
    .kernarg_segment_size: 56
    .language:       OpenCL C
    .language_version:
      - 2
      - 0
    .max_flat_workgroup_size: 512
    .name:           _ZN7rocprim17ROCPRIM_400000_NS6detail17trampoline_kernelINS0_14default_configENS1_25transform_config_selectorIiLb0EEEZNS1_14transform_implILb0ES3_S5_NS0_18transform_iteratorINS0_17counting_iteratorImlEEZNS1_24adjacent_difference_implIS3_Lb1ELb0EPKiPiN6thrust23THRUST_200600_302600_NS4plusIiEEEE10hipError_tPvRmT2_T3_mT4_P12ihipStream_tbEUlmE_iEESD_NS0_8identityIvEEEESI_SL_SM_mSN_SP_bEUlT_E_NS1_11comp_targetILNS1_3genE5ELNS1_11target_archE942ELNS1_3gpuE9ELNS1_3repE0EEENS1_30default_config_static_selectorELNS0_4arch9wavefront6targetE0EEEvT1_
    .private_segment_fixed_size: 0
    .sgpr_count:     0
    .sgpr_spill_count: 0
    .symbol:         _ZN7rocprim17ROCPRIM_400000_NS6detail17trampoline_kernelINS0_14default_configENS1_25transform_config_selectorIiLb0EEEZNS1_14transform_implILb0ES3_S5_NS0_18transform_iteratorINS0_17counting_iteratorImlEEZNS1_24adjacent_difference_implIS3_Lb1ELb0EPKiPiN6thrust23THRUST_200600_302600_NS4plusIiEEEE10hipError_tPvRmT2_T3_mT4_P12ihipStream_tbEUlmE_iEESD_NS0_8identityIvEEEESI_SL_SM_mSN_SP_bEUlT_E_NS1_11comp_targetILNS1_3genE5ELNS1_11target_archE942ELNS1_3gpuE9ELNS1_3repE0EEENS1_30default_config_static_selectorELNS0_4arch9wavefront6targetE0EEEvT1_.kd
    .uniform_work_group_size: 1
    .uses_dynamic_stack: false
    .vgpr_count:     0
    .vgpr_spill_count: 0
    .wavefront_size: 32
    .workgroup_processor_mode: 1
  - .args:
      - .offset:         0
        .size:           56
        .value_kind:     by_value
    .group_segment_fixed_size: 0
    .kernarg_segment_align: 8
    .kernarg_segment_size: 56
    .language:       OpenCL C
    .language_version:
      - 2
      - 0
    .max_flat_workgroup_size: 1024
    .name:           _ZN7rocprim17ROCPRIM_400000_NS6detail17trampoline_kernelINS0_14default_configENS1_25transform_config_selectorIiLb0EEEZNS1_14transform_implILb0ES3_S5_NS0_18transform_iteratorINS0_17counting_iteratorImlEEZNS1_24adjacent_difference_implIS3_Lb1ELb0EPKiPiN6thrust23THRUST_200600_302600_NS4plusIiEEEE10hipError_tPvRmT2_T3_mT4_P12ihipStream_tbEUlmE_iEESD_NS0_8identityIvEEEESI_SL_SM_mSN_SP_bEUlT_E_NS1_11comp_targetILNS1_3genE4ELNS1_11target_archE910ELNS1_3gpuE8ELNS1_3repE0EEENS1_30default_config_static_selectorELNS0_4arch9wavefront6targetE0EEEvT1_
    .private_segment_fixed_size: 0
    .sgpr_count:     0
    .sgpr_spill_count: 0
    .symbol:         _ZN7rocprim17ROCPRIM_400000_NS6detail17trampoline_kernelINS0_14default_configENS1_25transform_config_selectorIiLb0EEEZNS1_14transform_implILb0ES3_S5_NS0_18transform_iteratorINS0_17counting_iteratorImlEEZNS1_24adjacent_difference_implIS3_Lb1ELb0EPKiPiN6thrust23THRUST_200600_302600_NS4plusIiEEEE10hipError_tPvRmT2_T3_mT4_P12ihipStream_tbEUlmE_iEESD_NS0_8identityIvEEEESI_SL_SM_mSN_SP_bEUlT_E_NS1_11comp_targetILNS1_3genE4ELNS1_11target_archE910ELNS1_3gpuE8ELNS1_3repE0EEENS1_30default_config_static_selectorELNS0_4arch9wavefront6targetE0EEEvT1_.kd
    .uniform_work_group_size: 1
    .uses_dynamic_stack: false
    .vgpr_count:     0
    .vgpr_spill_count: 0
    .wavefront_size: 32
    .workgroup_processor_mode: 1
  - .args:
      - .offset:         0
        .size:           56
        .value_kind:     by_value
    .group_segment_fixed_size: 0
    .kernarg_segment_align: 8
    .kernarg_segment_size: 56
    .language:       OpenCL C
    .language_version:
      - 2
      - 0
    .max_flat_workgroup_size: 128
    .name:           _ZN7rocprim17ROCPRIM_400000_NS6detail17trampoline_kernelINS0_14default_configENS1_25transform_config_selectorIiLb0EEEZNS1_14transform_implILb0ES3_S5_NS0_18transform_iteratorINS0_17counting_iteratorImlEEZNS1_24adjacent_difference_implIS3_Lb1ELb0EPKiPiN6thrust23THRUST_200600_302600_NS4plusIiEEEE10hipError_tPvRmT2_T3_mT4_P12ihipStream_tbEUlmE_iEESD_NS0_8identityIvEEEESI_SL_SM_mSN_SP_bEUlT_E_NS1_11comp_targetILNS1_3genE3ELNS1_11target_archE908ELNS1_3gpuE7ELNS1_3repE0EEENS1_30default_config_static_selectorELNS0_4arch9wavefront6targetE0EEEvT1_
    .private_segment_fixed_size: 0
    .sgpr_count:     0
    .sgpr_spill_count: 0
    .symbol:         _ZN7rocprim17ROCPRIM_400000_NS6detail17trampoline_kernelINS0_14default_configENS1_25transform_config_selectorIiLb0EEEZNS1_14transform_implILb0ES3_S5_NS0_18transform_iteratorINS0_17counting_iteratorImlEEZNS1_24adjacent_difference_implIS3_Lb1ELb0EPKiPiN6thrust23THRUST_200600_302600_NS4plusIiEEEE10hipError_tPvRmT2_T3_mT4_P12ihipStream_tbEUlmE_iEESD_NS0_8identityIvEEEESI_SL_SM_mSN_SP_bEUlT_E_NS1_11comp_targetILNS1_3genE3ELNS1_11target_archE908ELNS1_3gpuE7ELNS1_3repE0EEENS1_30default_config_static_selectorELNS0_4arch9wavefront6targetE0EEEvT1_.kd
    .uniform_work_group_size: 1
    .uses_dynamic_stack: false
    .vgpr_count:     0
    .vgpr_spill_count: 0
    .wavefront_size: 32
    .workgroup_processor_mode: 1
  - .args:
      - .offset:         0
        .size:           56
        .value_kind:     by_value
    .group_segment_fixed_size: 0
    .kernarg_segment_align: 8
    .kernarg_segment_size: 56
    .language:       OpenCL C
    .language_version:
      - 2
      - 0
    .max_flat_workgroup_size: 1024
    .name:           _ZN7rocprim17ROCPRIM_400000_NS6detail17trampoline_kernelINS0_14default_configENS1_25transform_config_selectorIiLb0EEEZNS1_14transform_implILb0ES3_S5_NS0_18transform_iteratorINS0_17counting_iteratorImlEEZNS1_24adjacent_difference_implIS3_Lb1ELb0EPKiPiN6thrust23THRUST_200600_302600_NS4plusIiEEEE10hipError_tPvRmT2_T3_mT4_P12ihipStream_tbEUlmE_iEESD_NS0_8identityIvEEEESI_SL_SM_mSN_SP_bEUlT_E_NS1_11comp_targetILNS1_3genE2ELNS1_11target_archE906ELNS1_3gpuE6ELNS1_3repE0EEENS1_30default_config_static_selectorELNS0_4arch9wavefront6targetE0EEEvT1_
    .private_segment_fixed_size: 0
    .sgpr_count:     0
    .sgpr_spill_count: 0
    .symbol:         _ZN7rocprim17ROCPRIM_400000_NS6detail17trampoline_kernelINS0_14default_configENS1_25transform_config_selectorIiLb0EEEZNS1_14transform_implILb0ES3_S5_NS0_18transform_iteratorINS0_17counting_iteratorImlEEZNS1_24adjacent_difference_implIS3_Lb1ELb0EPKiPiN6thrust23THRUST_200600_302600_NS4plusIiEEEE10hipError_tPvRmT2_T3_mT4_P12ihipStream_tbEUlmE_iEESD_NS0_8identityIvEEEESI_SL_SM_mSN_SP_bEUlT_E_NS1_11comp_targetILNS1_3genE2ELNS1_11target_archE906ELNS1_3gpuE6ELNS1_3repE0EEENS1_30default_config_static_selectorELNS0_4arch9wavefront6targetE0EEEvT1_.kd
    .uniform_work_group_size: 1
    .uses_dynamic_stack: false
    .vgpr_count:     0
    .vgpr_spill_count: 0
    .wavefront_size: 32
    .workgroup_processor_mode: 1
  - .args:
      - .offset:         0
        .size:           56
        .value_kind:     by_value
    .group_segment_fixed_size: 0
    .kernarg_segment_align: 8
    .kernarg_segment_size: 56
    .language:       OpenCL C
    .language_version:
      - 2
      - 0
    .max_flat_workgroup_size: 1024
    .name:           _ZN7rocprim17ROCPRIM_400000_NS6detail17trampoline_kernelINS0_14default_configENS1_25transform_config_selectorIiLb0EEEZNS1_14transform_implILb0ES3_S5_NS0_18transform_iteratorINS0_17counting_iteratorImlEEZNS1_24adjacent_difference_implIS3_Lb1ELb0EPKiPiN6thrust23THRUST_200600_302600_NS4plusIiEEEE10hipError_tPvRmT2_T3_mT4_P12ihipStream_tbEUlmE_iEESD_NS0_8identityIvEEEESI_SL_SM_mSN_SP_bEUlT_E_NS1_11comp_targetILNS1_3genE10ELNS1_11target_archE1201ELNS1_3gpuE5ELNS1_3repE0EEENS1_30default_config_static_selectorELNS0_4arch9wavefront6targetE0EEEvT1_
    .private_segment_fixed_size: 0
    .sgpr_count:     0
    .sgpr_spill_count: 0
    .symbol:         _ZN7rocprim17ROCPRIM_400000_NS6detail17trampoline_kernelINS0_14default_configENS1_25transform_config_selectorIiLb0EEEZNS1_14transform_implILb0ES3_S5_NS0_18transform_iteratorINS0_17counting_iteratorImlEEZNS1_24adjacent_difference_implIS3_Lb1ELb0EPKiPiN6thrust23THRUST_200600_302600_NS4plusIiEEEE10hipError_tPvRmT2_T3_mT4_P12ihipStream_tbEUlmE_iEESD_NS0_8identityIvEEEESI_SL_SM_mSN_SP_bEUlT_E_NS1_11comp_targetILNS1_3genE10ELNS1_11target_archE1201ELNS1_3gpuE5ELNS1_3repE0EEENS1_30default_config_static_selectorELNS0_4arch9wavefront6targetE0EEEvT1_.kd
    .uniform_work_group_size: 1
    .uses_dynamic_stack: false
    .vgpr_count:     0
    .vgpr_spill_count: 0
    .wavefront_size: 32
    .workgroup_processor_mode: 1
  - .args:
      - .offset:         0
        .size:           56
        .value_kind:     by_value
    .group_segment_fixed_size: 0
    .kernarg_segment_align: 8
    .kernarg_segment_size: 56
    .language:       OpenCL C
    .language_version:
      - 2
      - 0
    .max_flat_workgroup_size: 512
    .name:           _ZN7rocprim17ROCPRIM_400000_NS6detail17trampoline_kernelINS0_14default_configENS1_25transform_config_selectorIiLb0EEEZNS1_14transform_implILb0ES3_S5_NS0_18transform_iteratorINS0_17counting_iteratorImlEEZNS1_24adjacent_difference_implIS3_Lb1ELb0EPKiPiN6thrust23THRUST_200600_302600_NS4plusIiEEEE10hipError_tPvRmT2_T3_mT4_P12ihipStream_tbEUlmE_iEESD_NS0_8identityIvEEEESI_SL_SM_mSN_SP_bEUlT_E_NS1_11comp_targetILNS1_3genE10ELNS1_11target_archE1200ELNS1_3gpuE4ELNS1_3repE0EEENS1_30default_config_static_selectorELNS0_4arch9wavefront6targetE0EEEvT1_
    .private_segment_fixed_size: 0
    .sgpr_count:     0
    .sgpr_spill_count: 0
    .symbol:         _ZN7rocprim17ROCPRIM_400000_NS6detail17trampoline_kernelINS0_14default_configENS1_25transform_config_selectorIiLb0EEEZNS1_14transform_implILb0ES3_S5_NS0_18transform_iteratorINS0_17counting_iteratorImlEEZNS1_24adjacent_difference_implIS3_Lb1ELb0EPKiPiN6thrust23THRUST_200600_302600_NS4plusIiEEEE10hipError_tPvRmT2_T3_mT4_P12ihipStream_tbEUlmE_iEESD_NS0_8identityIvEEEESI_SL_SM_mSN_SP_bEUlT_E_NS1_11comp_targetILNS1_3genE10ELNS1_11target_archE1200ELNS1_3gpuE4ELNS1_3repE0EEENS1_30default_config_static_selectorELNS0_4arch9wavefront6targetE0EEEvT1_.kd
    .uniform_work_group_size: 1
    .uses_dynamic_stack: false
    .vgpr_count:     0
    .vgpr_spill_count: 0
    .wavefront_size: 32
    .workgroup_processor_mode: 1
  - .args:
      - .offset:         0
        .size:           56
        .value_kind:     by_value
      - .offset:         56
        .size:           4
        .value_kind:     hidden_block_count_x
      - .offset:         60
        .size:           4
        .value_kind:     hidden_block_count_y
      - .offset:         64
        .size:           4
        .value_kind:     hidden_block_count_z
      - .offset:         68
        .size:           2
        .value_kind:     hidden_group_size_x
      - .offset:         70
        .size:           2
        .value_kind:     hidden_group_size_y
      - .offset:         72
        .size:           2
        .value_kind:     hidden_group_size_z
      - .offset:         74
        .size:           2
        .value_kind:     hidden_remainder_x
      - .offset:         76
        .size:           2
        .value_kind:     hidden_remainder_y
      - .offset:         78
        .size:           2
        .value_kind:     hidden_remainder_z
      - .offset:         96
        .size:           8
        .value_kind:     hidden_global_offset_x
      - .offset:         104
        .size:           8
        .value_kind:     hidden_global_offset_y
      - .offset:         112
        .size:           8
        .value_kind:     hidden_global_offset_z
      - .offset:         120
        .size:           2
        .value_kind:     hidden_grid_dims
    .group_segment_fixed_size: 0
    .kernarg_segment_align: 8
    .kernarg_segment_size: 312
    .language:       OpenCL C
    .language_version:
      - 2
      - 0
    .max_flat_workgroup_size: 64
    .name:           _ZN7rocprim17ROCPRIM_400000_NS6detail17trampoline_kernelINS0_14default_configENS1_25transform_config_selectorIiLb0EEEZNS1_14transform_implILb0ES3_S5_NS0_18transform_iteratorINS0_17counting_iteratorImlEEZNS1_24adjacent_difference_implIS3_Lb1ELb0EPKiPiN6thrust23THRUST_200600_302600_NS4plusIiEEEE10hipError_tPvRmT2_T3_mT4_P12ihipStream_tbEUlmE_iEESD_NS0_8identityIvEEEESI_SL_SM_mSN_SP_bEUlT_E_NS1_11comp_targetILNS1_3genE9ELNS1_11target_archE1100ELNS1_3gpuE3ELNS1_3repE0EEENS1_30default_config_static_selectorELNS0_4arch9wavefront6targetE0EEEvT1_
    .private_segment_fixed_size: 0
    .sgpr_count:     18
    .sgpr_spill_count: 0
    .symbol:         _ZN7rocprim17ROCPRIM_400000_NS6detail17trampoline_kernelINS0_14default_configENS1_25transform_config_selectorIiLb0EEEZNS1_14transform_implILb0ES3_S5_NS0_18transform_iteratorINS0_17counting_iteratorImlEEZNS1_24adjacent_difference_implIS3_Lb1ELb0EPKiPiN6thrust23THRUST_200600_302600_NS4plusIiEEEE10hipError_tPvRmT2_T3_mT4_P12ihipStream_tbEUlmE_iEESD_NS0_8identityIvEEEESI_SL_SM_mSN_SP_bEUlT_E_NS1_11comp_targetILNS1_3genE9ELNS1_11target_archE1100ELNS1_3gpuE3ELNS1_3repE0EEENS1_30default_config_static_selectorELNS0_4arch9wavefront6targetE0EEEvT1_.kd
    .uniform_work_group_size: 1
    .uses_dynamic_stack: false
    .vgpr_count:     6
    .vgpr_spill_count: 0
    .wavefront_size: 32
    .workgroup_processor_mode: 1
  - .args:
      - .offset:         0
        .size:           56
        .value_kind:     by_value
    .group_segment_fixed_size: 0
    .kernarg_segment_align: 8
    .kernarg_segment_size: 56
    .language:       OpenCL C
    .language_version:
      - 2
      - 0
    .max_flat_workgroup_size: 256
    .name:           _ZN7rocprim17ROCPRIM_400000_NS6detail17trampoline_kernelINS0_14default_configENS1_25transform_config_selectorIiLb0EEEZNS1_14transform_implILb0ES3_S5_NS0_18transform_iteratorINS0_17counting_iteratorImlEEZNS1_24adjacent_difference_implIS3_Lb1ELb0EPKiPiN6thrust23THRUST_200600_302600_NS4plusIiEEEE10hipError_tPvRmT2_T3_mT4_P12ihipStream_tbEUlmE_iEESD_NS0_8identityIvEEEESI_SL_SM_mSN_SP_bEUlT_E_NS1_11comp_targetILNS1_3genE8ELNS1_11target_archE1030ELNS1_3gpuE2ELNS1_3repE0EEENS1_30default_config_static_selectorELNS0_4arch9wavefront6targetE0EEEvT1_
    .private_segment_fixed_size: 0
    .sgpr_count:     0
    .sgpr_spill_count: 0
    .symbol:         _ZN7rocprim17ROCPRIM_400000_NS6detail17trampoline_kernelINS0_14default_configENS1_25transform_config_selectorIiLb0EEEZNS1_14transform_implILb0ES3_S5_NS0_18transform_iteratorINS0_17counting_iteratorImlEEZNS1_24adjacent_difference_implIS3_Lb1ELb0EPKiPiN6thrust23THRUST_200600_302600_NS4plusIiEEEE10hipError_tPvRmT2_T3_mT4_P12ihipStream_tbEUlmE_iEESD_NS0_8identityIvEEEESI_SL_SM_mSN_SP_bEUlT_E_NS1_11comp_targetILNS1_3genE8ELNS1_11target_archE1030ELNS1_3gpuE2ELNS1_3repE0EEENS1_30default_config_static_selectorELNS0_4arch9wavefront6targetE0EEEvT1_.kd
    .uniform_work_group_size: 1
    .uses_dynamic_stack: false
    .vgpr_count:     0
    .vgpr_spill_count: 0
    .wavefront_size: 32
    .workgroup_processor_mode: 1
  - .args:
      - .offset:         0
        .size:           56
        .value_kind:     by_value
    .group_segment_fixed_size: 0
    .kernarg_segment_align: 8
    .kernarg_segment_size: 56
    .language:       OpenCL C
    .language_version:
      - 2
      - 0
    .max_flat_workgroup_size: 1024
    .name:           _ZN7rocprim17ROCPRIM_400000_NS6detail17trampoline_kernelINS0_14default_configENS1_35adjacent_difference_config_selectorILb1EiEEZNS1_24adjacent_difference_implIS3_Lb1ELb0EPKiPiN6thrust23THRUST_200600_302600_NS4plusIiEEEE10hipError_tPvRmT2_T3_mT4_P12ihipStream_tbEUlT_E_NS1_11comp_targetILNS1_3genE0ELNS1_11target_archE4294967295ELNS1_3gpuE0ELNS1_3repE0EEENS1_30default_config_static_selectorELNS0_4arch9wavefront6targetE0EEEvT1_
    .private_segment_fixed_size: 0
    .sgpr_count:     0
    .sgpr_spill_count: 0
    .symbol:         _ZN7rocprim17ROCPRIM_400000_NS6detail17trampoline_kernelINS0_14default_configENS1_35adjacent_difference_config_selectorILb1EiEEZNS1_24adjacent_difference_implIS3_Lb1ELb0EPKiPiN6thrust23THRUST_200600_302600_NS4plusIiEEEE10hipError_tPvRmT2_T3_mT4_P12ihipStream_tbEUlT_E_NS1_11comp_targetILNS1_3genE0ELNS1_11target_archE4294967295ELNS1_3gpuE0ELNS1_3repE0EEENS1_30default_config_static_selectorELNS0_4arch9wavefront6targetE0EEEvT1_.kd
    .uniform_work_group_size: 1
    .uses_dynamic_stack: false
    .vgpr_count:     0
    .vgpr_spill_count: 0
    .wavefront_size: 32
    .workgroup_processor_mode: 1
  - .args:
      - .offset:         0
        .size:           56
        .value_kind:     by_value
    .group_segment_fixed_size: 0
    .kernarg_segment_align: 8
    .kernarg_segment_size: 56
    .language:       OpenCL C
    .language_version:
      - 2
      - 0
    .max_flat_workgroup_size: 32
    .name:           _ZN7rocprim17ROCPRIM_400000_NS6detail17trampoline_kernelINS0_14default_configENS1_35adjacent_difference_config_selectorILb1EiEEZNS1_24adjacent_difference_implIS3_Lb1ELb0EPKiPiN6thrust23THRUST_200600_302600_NS4plusIiEEEE10hipError_tPvRmT2_T3_mT4_P12ihipStream_tbEUlT_E_NS1_11comp_targetILNS1_3genE10ELNS1_11target_archE1201ELNS1_3gpuE5ELNS1_3repE0EEENS1_30default_config_static_selectorELNS0_4arch9wavefront6targetE0EEEvT1_
    .private_segment_fixed_size: 0
    .sgpr_count:     0
    .sgpr_spill_count: 0
    .symbol:         _ZN7rocprim17ROCPRIM_400000_NS6detail17trampoline_kernelINS0_14default_configENS1_35adjacent_difference_config_selectorILb1EiEEZNS1_24adjacent_difference_implIS3_Lb1ELb0EPKiPiN6thrust23THRUST_200600_302600_NS4plusIiEEEE10hipError_tPvRmT2_T3_mT4_P12ihipStream_tbEUlT_E_NS1_11comp_targetILNS1_3genE10ELNS1_11target_archE1201ELNS1_3gpuE5ELNS1_3repE0EEENS1_30default_config_static_selectorELNS0_4arch9wavefront6targetE0EEEvT1_.kd
    .uniform_work_group_size: 1
    .uses_dynamic_stack: false
    .vgpr_count:     0
    .vgpr_spill_count: 0
    .wavefront_size: 32
    .workgroup_processor_mode: 1
  - .args:
      - .offset:         0
        .size:           56
        .value_kind:     by_value
    .group_segment_fixed_size: 0
    .kernarg_segment_align: 8
    .kernarg_segment_size: 56
    .language:       OpenCL C
    .language_version:
      - 2
      - 0
    .max_flat_workgroup_size: 512
    .name:           _ZN7rocprim17ROCPRIM_400000_NS6detail17trampoline_kernelINS0_14default_configENS1_35adjacent_difference_config_selectorILb1EiEEZNS1_24adjacent_difference_implIS3_Lb1ELb0EPKiPiN6thrust23THRUST_200600_302600_NS4plusIiEEEE10hipError_tPvRmT2_T3_mT4_P12ihipStream_tbEUlT_E_NS1_11comp_targetILNS1_3genE5ELNS1_11target_archE942ELNS1_3gpuE9ELNS1_3repE0EEENS1_30default_config_static_selectorELNS0_4arch9wavefront6targetE0EEEvT1_
    .private_segment_fixed_size: 0
    .sgpr_count:     0
    .sgpr_spill_count: 0
    .symbol:         _ZN7rocprim17ROCPRIM_400000_NS6detail17trampoline_kernelINS0_14default_configENS1_35adjacent_difference_config_selectorILb1EiEEZNS1_24adjacent_difference_implIS3_Lb1ELb0EPKiPiN6thrust23THRUST_200600_302600_NS4plusIiEEEE10hipError_tPvRmT2_T3_mT4_P12ihipStream_tbEUlT_E_NS1_11comp_targetILNS1_3genE5ELNS1_11target_archE942ELNS1_3gpuE9ELNS1_3repE0EEENS1_30default_config_static_selectorELNS0_4arch9wavefront6targetE0EEEvT1_.kd
    .uniform_work_group_size: 1
    .uses_dynamic_stack: false
    .vgpr_count:     0
    .vgpr_spill_count: 0
    .wavefront_size: 32
    .workgroup_processor_mode: 1
  - .args:
      - .offset:         0
        .size:           56
        .value_kind:     by_value
    .group_segment_fixed_size: 0
    .kernarg_segment_align: 8
    .kernarg_segment_size: 56
    .language:       OpenCL C
    .language_version:
      - 2
      - 0
    .max_flat_workgroup_size: 512
    .name:           _ZN7rocprim17ROCPRIM_400000_NS6detail17trampoline_kernelINS0_14default_configENS1_35adjacent_difference_config_selectorILb1EiEEZNS1_24adjacent_difference_implIS3_Lb1ELb0EPKiPiN6thrust23THRUST_200600_302600_NS4plusIiEEEE10hipError_tPvRmT2_T3_mT4_P12ihipStream_tbEUlT_E_NS1_11comp_targetILNS1_3genE4ELNS1_11target_archE910ELNS1_3gpuE8ELNS1_3repE0EEENS1_30default_config_static_selectorELNS0_4arch9wavefront6targetE0EEEvT1_
    .private_segment_fixed_size: 0
    .sgpr_count:     0
    .sgpr_spill_count: 0
    .symbol:         _ZN7rocprim17ROCPRIM_400000_NS6detail17trampoline_kernelINS0_14default_configENS1_35adjacent_difference_config_selectorILb1EiEEZNS1_24adjacent_difference_implIS3_Lb1ELb0EPKiPiN6thrust23THRUST_200600_302600_NS4plusIiEEEE10hipError_tPvRmT2_T3_mT4_P12ihipStream_tbEUlT_E_NS1_11comp_targetILNS1_3genE4ELNS1_11target_archE910ELNS1_3gpuE8ELNS1_3repE0EEENS1_30default_config_static_selectorELNS0_4arch9wavefront6targetE0EEEvT1_.kd
    .uniform_work_group_size: 1
    .uses_dynamic_stack: false
    .vgpr_count:     0
    .vgpr_spill_count: 0
    .wavefront_size: 32
    .workgroup_processor_mode: 1
  - .args:
      - .offset:         0
        .size:           56
        .value_kind:     by_value
    .group_segment_fixed_size: 0
    .kernarg_segment_align: 8
    .kernarg_segment_size: 56
    .language:       OpenCL C
    .language_version:
      - 2
      - 0
    .max_flat_workgroup_size: 1024
    .name:           _ZN7rocprim17ROCPRIM_400000_NS6detail17trampoline_kernelINS0_14default_configENS1_35adjacent_difference_config_selectorILb1EiEEZNS1_24adjacent_difference_implIS3_Lb1ELb0EPKiPiN6thrust23THRUST_200600_302600_NS4plusIiEEEE10hipError_tPvRmT2_T3_mT4_P12ihipStream_tbEUlT_E_NS1_11comp_targetILNS1_3genE3ELNS1_11target_archE908ELNS1_3gpuE7ELNS1_3repE0EEENS1_30default_config_static_selectorELNS0_4arch9wavefront6targetE0EEEvT1_
    .private_segment_fixed_size: 0
    .sgpr_count:     0
    .sgpr_spill_count: 0
    .symbol:         _ZN7rocprim17ROCPRIM_400000_NS6detail17trampoline_kernelINS0_14default_configENS1_35adjacent_difference_config_selectorILb1EiEEZNS1_24adjacent_difference_implIS3_Lb1ELb0EPKiPiN6thrust23THRUST_200600_302600_NS4plusIiEEEE10hipError_tPvRmT2_T3_mT4_P12ihipStream_tbEUlT_E_NS1_11comp_targetILNS1_3genE3ELNS1_11target_archE908ELNS1_3gpuE7ELNS1_3repE0EEENS1_30default_config_static_selectorELNS0_4arch9wavefront6targetE0EEEvT1_.kd
    .uniform_work_group_size: 1
    .uses_dynamic_stack: false
    .vgpr_count:     0
    .vgpr_spill_count: 0
    .wavefront_size: 32
    .workgroup_processor_mode: 1
  - .args:
      - .offset:         0
        .size:           56
        .value_kind:     by_value
    .group_segment_fixed_size: 0
    .kernarg_segment_align: 8
    .kernarg_segment_size: 56
    .language:       OpenCL C
    .language_version:
      - 2
      - 0
    .max_flat_workgroup_size: 256
    .name:           _ZN7rocprim17ROCPRIM_400000_NS6detail17trampoline_kernelINS0_14default_configENS1_35adjacent_difference_config_selectorILb1EiEEZNS1_24adjacent_difference_implIS3_Lb1ELb0EPKiPiN6thrust23THRUST_200600_302600_NS4plusIiEEEE10hipError_tPvRmT2_T3_mT4_P12ihipStream_tbEUlT_E_NS1_11comp_targetILNS1_3genE2ELNS1_11target_archE906ELNS1_3gpuE6ELNS1_3repE0EEENS1_30default_config_static_selectorELNS0_4arch9wavefront6targetE0EEEvT1_
    .private_segment_fixed_size: 0
    .sgpr_count:     0
    .sgpr_spill_count: 0
    .symbol:         _ZN7rocprim17ROCPRIM_400000_NS6detail17trampoline_kernelINS0_14default_configENS1_35adjacent_difference_config_selectorILb1EiEEZNS1_24adjacent_difference_implIS3_Lb1ELb0EPKiPiN6thrust23THRUST_200600_302600_NS4plusIiEEEE10hipError_tPvRmT2_T3_mT4_P12ihipStream_tbEUlT_E_NS1_11comp_targetILNS1_3genE2ELNS1_11target_archE906ELNS1_3gpuE6ELNS1_3repE0EEENS1_30default_config_static_selectorELNS0_4arch9wavefront6targetE0EEEvT1_.kd
    .uniform_work_group_size: 1
    .uses_dynamic_stack: false
    .vgpr_count:     0
    .vgpr_spill_count: 0
    .wavefront_size: 32
    .workgroup_processor_mode: 1
  - .args:
      - .offset:         0
        .size:           56
        .value_kind:     by_value
    .group_segment_fixed_size: 14848
    .kernarg_segment_align: 8
    .kernarg_segment_size: 56
    .language:       OpenCL C
    .language_version:
      - 2
      - 0
    .max_flat_workgroup_size: 128
    .name:           _ZN7rocprim17ROCPRIM_400000_NS6detail17trampoline_kernelINS0_14default_configENS1_35adjacent_difference_config_selectorILb1EiEEZNS1_24adjacent_difference_implIS3_Lb1ELb0EPKiPiN6thrust23THRUST_200600_302600_NS4plusIiEEEE10hipError_tPvRmT2_T3_mT4_P12ihipStream_tbEUlT_E_NS1_11comp_targetILNS1_3genE9ELNS1_11target_archE1100ELNS1_3gpuE3ELNS1_3repE0EEENS1_30default_config_static_selectorELNS0_4arch9wavefront6targetE0EEEvT1_
    .private_segment_fixed_size: 0
    .sgpr_count:     46
    .sgpr_spill_count: 0
    .symbol:         _ZN7rocprim17ROCPRIM_400000_NS6detail17trampoline_kernelINS0_14default_configENS1_35adjacent_difference_config_selectorILb1EiEEZNS1_24adjacent_difference_implIS3_Lb1ELb0EPKiPiN6thrust23THRUST_200600_302600_NS4plusIiEEEE10hipError_tPvRmT2_T3_mT4_P12ihipStream_tbEUlT_E_NS1_11comp_targetILNS1_3genE9ELNS1_11target_archE1100ELNS1_3gpuE3ELNS1_3repE0EEENS1_30default_config_static_selectorELNS0_4arch9wavefront6targetE0EEEvT1_.kd
    .uniform_work_group_size: 1
    .uses_dynamic_stack: false
    .vgpr_count:     64
    .vgpr_spill_count: 0
    .wavefront_size: 32
    .workgroup_processor_mode: 1
  - .args:
      - .offset:         0
        .size:           56
        .value_kind:     by_value
    .group_segment_fixed_size: 0
    .kernarg_segment_align: 8
    .kernarg_segment_size: 56
    .language:       OpenCL C
    .language_version:
      - 2
      - 0
    .max_flat_workgroup_size: 32
    .name:           _ZN7rocprim17ROCPRIM_400000_NS6detail17trampoline_kernelINS0_14default_configENS1_35adjacent_difference_config_selectorILb1EiEEZNS1_24adjacent_difference_implIS3_Lb1ELb0EPKiPiN6thrust23THRUST_200600_302600_NS4plusIiEEEE10hipError_tPvRmT2_T3_mT4_P12ihipStream_tbEUlT_E_NS1_11comp_targetILNS1_3genE8ELNS1_11target_archE1030ELNS1_3gpuE2ELNS1_3repE0EEENS1_30default_config_static_selectorELNS0_4arch9wavefront6targetE0EEEvT1_
    .private_segment_fixed_size: 0
    .sgpr_count:     0
    .sgpr_spill_count: 0
    .symbol:         _ZN7rocprim17ROCPRIM_400000_NS6detail17trampoline_kernelINS0_14default_configENS1_35adjacent_difference_config_selectorILb1EiEEZNS1_24adjacent_difference_implIS3_Lb1ELb0EPKiPiN6thrust23THRUST_200600_302600_NS4plusIiEEEE10hipError_tPvRmT2_T3_mT4_P12ihipStream_tbEUlT_E_NS1_11comp_targetILNS1_3genE8ELNS1_11target_archE1030ELNS1_3gpuE2ELNS1_3repE0EEENS1_30default_config_static_selectorELNS0_4arch9wavefront6targetE0EEEvT1_.kd
    .uniform_work_group_size: 1
    .uses_dynamic_stack: false
    .vgpr_count:     0
    .vgpr_spill_count: 0
    .wavefront_size: 32
    .workgroup_processor_mode: 1
  - .args:
      - .offset:         0
        .size:           56
        .value_kind:     by_value
    .group_segment_fixed_size: 0
    .kernarg_segment_align: 8
    .kernarg_segment_size: 56
    .language:       OpenCL C
    .language_version:
      - 2
      - 0
    .max_flat_workgroup_size: 64
    .name:           _ZN7rocprim17ROCPRIM_400000_NS6detail17trampoline_kernelINS0_14default_configENS1_35adjacent_difference_config_selectorILb0EsEEZNS1_24adjacent_difference_implIS3_Lb0ELb0EPKsPsN6thrust23THRUST_200600_302600_NS4plusIsEEEE10hipError_tPvRmT2_T3_mT4_P12ihipStream_tbEUlT_E_NS1_11comp_targetILNS1_3genE0ELNS1_11target_archE4294967295ELNS1_3gpuE0ELNS1_3repE0EEENS1_30default_config_static_selectorELNS0_4arch9wavefront6targetE0EEEvT1_
    .private_segment_fixed_size: 0
    .sgpr_count:     0
    .sgpr_spill_count: 0
    .symbol:         _ZN7rocprim17ROCPRIM_400000_NS6detail17trampoline_kernelINS0_14default_configENS1_35adjacent_difference_config_selectorILb0EsEEZNS1_24adjacent_difference_implIS3_Lb0ELb0EPKsPsN6thrust23THRUST_200600_302600_NS4plusIsEEEE10hipError_tPvRmT2_T3_mT4_P12ihipStream_tbEUlT_E_NS1_11comp_targetILNS1_3genE0ELNS1_11target_archE4294967295ELNS1_3gpuE0ELNS1_3repE0EEENS1_30default_config_static_selectorELNS0_4arch9wavefront6targetE0EEEvT1_.kd
    .uniform_work_group_size: 1
    .uses_dynamic_stack: false
    .vgpr_count:     0
    .vgpr_spill_count: 0
    .wavefront_size: 32
    .workgroup_processor_mode: 1
  - .args:
      - .offset:         0
        .size:           56
        .value_kind:     by_value
    .group_segment_fixed_size: 0
    .kernarg_segment_align: 8
    .kernarg_segment_size: 56
    .language:       OpenCL C
    .language_version:
      - 2
      - 0
    .max_flat_workgroup_size: 128
    .name:           _ZN7rocprim17ROCPRIM_400000_NS6detail17trampoline_kernelINS0_14default_configENS1_35adjacent_difference_config_selectorILb0EsEEZNS1_24adjacent_difference_implIS3_Lb0ELb0EPKsPsN6thrust23THRUST_200600_302600_NS4plusIsEEEE10hipError_tPvRmT2_T3_mT4_P12ihipStream_tbEUlT_E_NS1_11comp_targetILNS1_3genE10ELNS1_11target_archE1201ELNS1_3gpuE5ELNS1_3repE0EEENS1_30default_config_static_selectorELNS0_4arch9wavefront6targetE0EEEvT1_
    .private_segment_fixed_size: 0
    .sgpr_count:     0
    .sgpr_spill_count: 0
    .symbol:         _ZN7rocprim17ROCPRIM_400000_NS6detail17trampoline_kernelINS0_14default_configENS1_35adjacent_difference_config_selectorILb0EsEEZNS1_24adjacent_difference_implIS3_Lb0ELb0EPKsPsN6thrust23THRUST_200600_302600_NS4plusIsEEEE10hipError_tPvRmT2_T3_mT4_P12ihipStream_tbEUlT_E_NS1_11comp_targetILNS1_3genE10ELNS1_11target_archE1201ELNS1_3gpuE5ELNS1_3repE0EEENS1_30default_config_static_selectorELNS0_4arch9wavefront6targetE0EEEvT1_.kd
    .uniform_work_group_size: 1
    .uses_dynamic_stack: false
    .vgpr_count:     0
    .vgpr_spill_count: 0
    .wavefront_size: 32
    .workgroup_processor_mode: 1
  - .args:
      - .offset:         0
        .size:           56
        .value_kind:     by_value
    .group_segment_fixed_size: 0
    .kernarg_segment_align: 8
    .kernarg_segment_size: 56
    .language:       OpenCL C
    .language_version:
      - 2
      - 0
    .max_flat_workgroup_size: 256
    .name:           _ZN7rocprim17ROCPRIM_400000_NS6detail17trampoline_kernelINS0_14default_configENS1_35adjacent_difference_config_selectorILb0EsEEZNS1_24adjacent_difference_implIS3_Lb0ELb0EPKsPsN6thrust23THRUST_200600_302600_NS4plusIsEEEE10hipError_tPvRmT2_T3_mT4_P12ihipStream_tbEUlT_E_NS1_11comp_targetILNS1_3genE5ELNS1_11target_archE942ELNS1_3gpuE9ELNS1_3repE0EEENS1_30default_config_static_selectorELNS0_4arch9wavefront6targetE0EEEvT1_
    .private_segment_fixed_size: 0
    .sgpr_count:     0
    .sgpr_spill_count: 0
    .symbol:         _ZN7rocprim17ROCPRIM_400000_NS6detail17trampoline_kernelINS0_14default_configENS1_35adjacent_difference_config_selectorILb0EsEEZNS1_24adjacent_difference_implIS3_Lb0ELb0EPKsPsN6thrust23THRUST_200600_302600_NS4plusIsEEEE10hipError_tPvRmT2_T3_mT4_P12ihipStream_tbEUlT_E_NS1_11comp_targetILNS1_3genE5ELNS1_11target_archE942ELNS1_3gpuE9ELNS1_3repE0EEENS1_30default_config_static_selectorELNS0_4arch9wavefront6targetE0EEEvT1_.kd
    .uniform_work_group_size: 1
    .uses_dynamic_stack: false
    .vgpr_count:     0
    .vgpr_spill_count: 0
    .wavefront_size: 32
    .workgroup_processor_mode: 1
  - .args:
      - .offset:         0
        .size:           56
        .value_kind:     by_value
    .group_segment_fixed_size: 0
    .kernarg_segment_align: 8
    .kernarg_segment_size: 56
    .language:       OpenCL C
    .language_version:
      - 2
      - 0
    .max_flat_workgroup_size: 64
    .name:           _ZN7rocprim17ROCPRIM_400000_NS6detail17trampoline_kernelINS0_14default_configENS1_35adjacent_difference_config_selectorILb0EsEEZNS1_24adjacent_difference_implIS3_Lb0ELb0EPKsPsN6thrust23THRUST_200600_302600_NS4plusIsEEEE10hipError_tPvRmT2_T3_mT4_P12ihipStream_tbEUlT_E_NS1_11comp_targetILNS1_3genE4ELNS1_11target_archE910ELNS1_3gpuE8ELNS1_3repE0EEENS1_30default_config_static_selectorELNS0_4arch9wavefront6targetE0EEEvT1_
    .private_segment_fixed_size: 0
    .sgpr_count:     0
    .sgpr_spill_count: 0
    .symbol:         _ZN7rocprim17ROCPRIM_400000_NS6detail17trampoline_kernelINS0_14default_configENS1_35adjacent_difference_config_selectorILb0EsEEZNS1_24adjacent_difference_implIS3_Lb0ELb0EPKsPsN6thrust23THRUST_200600_302600_NS4plusIsEEEE10hipError_tPvRmT2_T3_mT4_P12ihipStream_tbEUlT_E_NS1_11comp_targetILNS1_3genE4ELNS1_11target_archE910ELNS1_3gpuE8ELNS1_3repE0EEENS1_30default_config_static_selectorELNS0_4arch9wavefront6targetE0EEEvT1_.kd
    .uniform_work_group_size: 1
    .uses_dynamic_stack: false
    .vgpr_count:     0
    .vgpr_spill_count: 0
    .wavefront_size: 32
    .workgroup_processor_mode: 1
  - .args:
      - .offset:         0
        .size:           56
        .value_kind:     by_value
    .group_segment_fixed_size: 0
    .kernarg_segment_align: 8
    .kernarg_segment_size: 56
    .language:       OpenCL C
    .language_version:
      - 2
      - 0
    .max_flat_workgroup_size: 64
    .name:           _ZN7rocprim17ROCPRIM_400000_NS6detail17trampoline_kernelINS0_14default_configENS1_35adjacent_difference_config_selectorILb0EsEEZNS1_24adjacent_difference_implIS3_Lb0ELb0EPKsPsN6thrust23THRUST_200600_302600_NS4plusIsEEEE10hipError_tPvRmT2_T3_mT4_P12ihipStream_tbEUlT_E_NS1_11comp_targetILNS1_3genE3ELNS1_11target_archE908ELNS1_3gpuE7ELNS1_3repE0EEENS1_30default_config_static_selectorELNS0_4arch9wavefront6targetE0EEEvT1_
    .private_segment_fixed_size: 0
    .sgpr_count:     0
    .sgpr_spill_count: 0
    .symbol:         _ZN7rocprim17ROCPRIM_400000_NS6detail17trampoline_kernelINS0_14default_configENS1_35adjacent_difference_config_selectorILb0EsEEZNS1_24adjacent_difference_implIS3_Lb0ELb0EPKsPsN6thrust23THRUST_200600_302600_NS4plusIsEEEE10hipError_tPvRmT2_T3_mT4_P12ihipStream_tbEUlT_E_NS1_11comp_targetILNS1_3genE3ELNS1_11target_archE908ELNS1_3gpuE7ELNS1_3repE0EEENS1_30default_config_static_selectorELNS0_4arch9wavefront6targetE0EEEvT1_.kd
    .uniform_work_group_size: 1
    .uses_dynamic_stack: false
    .vgpr_count:     0
    .vgpr_spill_count: 0
    .wavefront_size: 32
    .workgroup_processor_mode: 1
  - .args:
      - .offset:         0
        .size:           56
        .value_kind:     by_value
    .group_segment_fixed_size: 0
    .kernarg_segment_align: 8
    .kernarg_segment_size: 56
    .language:       OpenCL C
    .language_version:
      - 2
      - 0
    .max_flat_workgroup_size: 64
    .name:           _ZN7rocprim17ROCPRIM_400000_NS6detail17trampoline_kernelINS0_14default_configENS1_35adjacent_difference_config_selectorILb0EsEEZNS1_24adjacent_difference_implIS3_Lb0ELb0EPKsPsN6thrust23THRUST_200600_302600_NS4plusIsEEEE10hipError_tPvRmT2_T3_mT4_P12ihipStream_tbEUlT_E_NS1_11comp_targetILNS1_3genE2ELNS1_11target_archE906ELNS1_3gpuE6ELNS1_3repE0EEENS1_30default_config_static_selectorELNS0_4arch9wavefront6targetE0EEEvT1_
    .private_segment_fixed_size: 0
    .sgpr_count:     0
    .sgpr_spill_count: 0
    .symbol:         _ZN7rocprim17ROCPRIM_400000_NS6detail17trampoline_kernelINS0_14default_configENS1_35adjacent_difference_config_selectorILb0EsEEZNS1_24adjacent_difference_implIS3_Lb0ELb0EPKsPsN6thrust23THRUST_200600_302600_NS4plusIsEEEE10hipError_tPvRmT2_T3_mT4_P12ihipStream_tbEUlT_E_NS1_11comp_targetILNS1_3genE2ELNS1_11target_archE906ELNS1_3gpuE6ELNS1_3repE0EEENS1_30default_config_static_selectorELNS0_4arch9wavefront6targetE0EEEvT1_.kd
    .uniform_work_group_size: 1
    .uses_dynamic_stack: false
    .vgpr_count:     0
    .vgpr_spill_count: 0
    .wavefront_size: 32
    .workgroup_processor_mode: 1
  - .args:
      - .offset:         0
        .size:           56
        .value_kind:     by_value
    .group_segment_fixed_size: 896
    .kernarg_segment_align: 8
    .kernarg_segment_size: 56
    .language:       OpenCL C
    .language_version:
      - 2
      - 0
    .max_flat_workgroup_size: 64
    .name:           _ZN7rocprim17ROCPRIM_400000_NS6detail17trampoline_kernelINS0_14default_configENS1_35adjacent_difference_config_selectorILb0EsEEZNS1_24adjacent_difference_implIS3_Lb0ELb0EPKsPsN6thrust23THRUST_200600_302600_NS4plusIsEEEE10hipError_tPvRmT2_T3_mT4_P12ihipStream_tbEUlT_E_NS1_11comp_targetILNS1_3genE9ELNS1_11target_archE1100ELNS1_3gpuE3ELNS1_3repE0EEENS1_30default_config_static_selectorELNS0_4arch9wavefront6targetE0EEEvT1_
    .private_segment_fixed_size: 0
    .sgpr_count:     23
    .sgpr_spill_count: 0
    .symbol:         _ZN7rocprim17ROCPRIM_400000_NS6detail17trampoline_kernelINS0_14default_configENS1_35adjacent_difference_config_selectorILb0EsEEZNS1_24adjacent_difference_implIS3_Lb0ELb0EPKsPsN6thrust23THRUST_200600_302600_NS4plusIsEEEE10hipError_tPvRmT2_T3_mT4_P12ihipStream_tbEUlT_E_NS1_11comp_targetILNS1_3genE9ELNS1_11target_archE1100ELNS1_3gpuE3ELNS1_3repE0EEENS1_30default_config_static_selectorELNS0_4arch9wavefront6targetE0EEEvT1_.kd
    .uniform_work_group_size: 1
    .uses_dynamic_stack: false
    .vgpr_count:     22
    .vgpr_spill_count: 0
    .wavefront_size: 32
    .workgroup_processor_mode: 1
  - .args:
      - .offset:         0
        .size:           56
        .value_kind:     by_value
    .group_segment_fixed_size: 0
    .kernarg_segment_align: 8
    .kernarg_segment_size: 56
    .language:       OpenCL C
    .language_version:
      - 2
      - 0
    .max_flat_workgroup_size: 1024
    .name:           _ZN7rocprim17ROCPRIM_400000_NS6detail17trampoline_kernelINS0_14default_configENS1_35adjacent_difference_config_selectorILb0EsEEZNS1_24adjacent_difference_implIS3_Lb0ELb0EPKsPsN6thrust23THRUST_200600_302600_NS4plusIsEEEE10hipError_tPvRmT2_T3_mT4_P12ihipStream_tbEUlT_E_NS1_11comp_targetILNS1_3genE8ELNS1_11target_archE1030ELNS1_3gpuE2ELNS1_3repE0EEENS1_30default_config_static_selectorELNS0_4arch9wavefront6targetE0EEEvT1_
    .private_segment_fixed_size: 0
    .sgpr_count:     0
    .sgpr_spill_count: 0
    .symbol:         _ZN7rocprim17ROCPRIM_400000_NS6detail17trampoline_kernelINS0_14default_configENS1_35adjacent_difference_config_selectorILb0EsEEZNS1_24adjacent_difference_implIS3_Lb0ELb0EPKsPsN6thrust23THRUST_200600_302600_NS4plusIsEEEE10hipError_tPvRmT2_T3_mT4_P12ihipStream_tbEUlT_E_NS1_11comp_targetILNS1_3genE8ELNS1_11target_archE1030ELNS1_3gpuE2ELNS1_3repE0EEENS1_30default_config_static_selectorELNS0_4arch9wavefront6targetE0EEEvT1_.kd
    .uniform_work_group_size: 1
    .uses_dynamic_stack: false
    .vgpr_count:     0
    .vgpr_spill_count: 0
    .wavefront_size: 32
    .workgroup_processor_mode: 1
  - .args:
      - .offset:         0
        .size:           56
        .value_kind:     by_value
    .group_segment_fixed_size: 0
    .kernarg_segment_align: 8
    .kernarg_segment_size: 56
    .language:       OpenCL C
    .language_version:
      - 2
      - 0
    .max_flat_workgroup_size: 128
    .name:           _ZN7rocprim17ROCPRIM_400000_NS6detail17trampoline_kernelINS0_14default_configENS1_25transform_config_selectorIsLb0EEEZNS1_14transform_implILb0ES3_S5_NS0_18transform_iteratorINS0_17counting_iteratorImlEEZNS1_24adjacent_difference_implIS3_Lb1ELb0EPKsPsN6thrust23THRUST_200600_302600_NS4plusIsEEEE10hipError_tPvRmT2_T3_mT4_P12ihipStream_tbEUlmE_sEESD_NS0_8identityIvEEEESI_SL_SM_mSN_SP_bEUlT_E_NS1_11comp_targetILNS1_3genE0ELNS1_11target_archE4294967295ELNS1_3gpuE0ELNS1_3repE0EEENS1_30default_config_static_selectorELNS0_4arch9wavefront6targetE0EEEvT1_
    .private_segment_fixed_size: 0
    .sgpr_count:     0
    .sgpr_spill_count: 0
    .symbol:         _ZN7rocprim17ROCPRIM_400000_NS6detail17trampoline_kernelINS0_14default_configENS1_25transform_config_selectorIsLb0EEEZNS1_14transform_implILb0ES3_S5_NS0_18transform_iteratorINS0_17counting_iteratorImlEEZNS1_24adjacent_difference_implIS3_Lb1ELb0EPKsPsN6thrust23THRUST_200600_302600_NS4plusIsEEEE10hipError_tPvRmT2_T3_mT4_P12ihipStream_tbEUlmE_sEESD_NS0_8identityIvEEEESI_SL_SM_mSN_SP_bEUlT_E_NS1_11comp_targetILNS1_3genE0ELNS1_11target_archE4294967295ELNS1_3gpuE0ELNS1_3repE0EEENS1_30default_config_static_selectorELNS0_4arch9wavefront6targetE0EEEvT1_.kd
    .uniform_work_group_size: 1
    .uses_dynamic_stack: false
    .vgpr_count:     0
    .vgpr_spill_count: 0
    .wavefront_size: 32
    .workgroup_processor_mode: 1
  - .args:
      - .offset:         0
        .size:           56
        .value_kind:     by_value
    .group_segment_fixed_size: 0
    .kernarg_segment_align: 8
    .kernarg_segment_size: 56
    .language:       OpenCL C
    .language_version:
      - 2
      - 0
    .max_flat_workgroup_size: 256
    .name:           _ZN7rocprim17ROCPRIM_400000_NS6detail17trampoline_kernelINS0_14default_configENS1_25transform_config_selectorIsLb0EEEZNS1_14transform_implILb0ES3_S5_NS0_18transform_iteratorINS0_17counting_iteratorImlEEZNS1_24adjacent_difference_implIS3_Lb1ELb0EPKsPsN6thrust23THRUST_200600_302600_NS4plusIsEEEE10hipError_tPvRmT2_T3_mT4_P12ihipStream_tbEUlmE_sEESD_NS0_8identityIvEEEESI_SL_SM_mSN_SP_bEUlT_E_NS1_11comp_targetILNS1_3genE5ELNS1_11target_archE942ELNS1_3gpuE9ELNS1_3repE0EEENS1_30default_config_static_selectorELNS0_4arch9wavefront6targetE0EEEvT1_
    .private_segment_fixed_size: 0
    .sgpr_count:     0
    .sgpr_spill_count: 0
    .symbol:         _ZN7rocprim17ROCPRIM_400000_NS6detail17trampoline_kernelINS0_14default_configENS1_25transform_config_selectorIsLb0EEEZNS1_14transform_implILb0ES3_S5_NS0_18transform_iteratorINS0_17counting_iteratorImlEEZNS1_24adjacent_difference_implIS3_Lb1ELb0EPKsPsN6thrust23THRUST_200600_302600_NS4plusIsEEEE10hipError_tPvRmT2_T3_mT4_P12ihipStream_tbEUlmE_sEESD_NS0_8identityIvEEEESI_SL_SM_mSN_SP_bEUlT_E_NS1_11comp_targetILNS1_3genE5ELNS1_11target_archE942ELNS1_3gpuE9ELNS1_3repE0EEENS1_30default_config_static_selectorELNS0_4arch9wavefront6targetE0EEEvT1_.kd
    .uniform_work_group_size: 1
    .uses_dynamic_stack: false
    .vgpr_count:     0
    .vgpr_spill_count: 0
    .wavefront_size: 32
    .workgroup_processor_mode: 1
  - .args:
      - .offset:         0
        .size:           56
        .value_kind:     by_value
    .group_segment_fixed_size: 0
    .kernarg_segment_align: 8
    .kernarg_segment_size: 56
    .language:       OpenCL C
    .language_version:
      - 2
      - 0
    .max_flat_workgroup_size: 64
    .name:           _ZN7rocprim17ROCPRIM_400000_NS6detail17trampoline_kernelINS0_14default_configENS1_25transform_config_selectorIsLb0EEEZNS1_14transform_implILb0ES3_S5_NS0_18transform_iteratorINS0_17counting_iteratorImlEEZNS1_24adjacent_difference_implIS3_Lb1ELb0EPKsPsN6thrust23THRUST_200600_302600_NS4plusIsEEEE10hipError_tPvRmT2_T3_mT4_P12ihipStream_tbEUlmE_sEESD_NS0_8identityIvEEEESI_SL_SM_mSN_SP_bEUlT_E_NS1_11comp_targetILNS1_3genE4ELNS1_11target_archE910ELNS1_3gpuE8ELNS1_3repE0EEENS1_30default_config_static_selectorELNS0_4arch9wavefront6targetE0EEEvT1_
    .private_segment_fixed_size: 0
    .sgpr_count:     0
    .sgpr_spill_count: 0
    .symbol:         _ZN7rocprim17ROCPRIM_400000_NS6detail17trampoline_kernelINS0_14default_configENS1_25transform_config_selectorIsLb0EEEZNS1_14transform_implILb0ES3_S5_NS0_18transform_iteratorINS0_17counting_iteratorImlEEZNS1_24adjacent_difference_implIS3_Lb1ELb0EPKsPsN6thrust23THRUST_200600_302600_NS4plusIsEEEE10hipError_tPvRmT2_T3_mT4_P12ihipStream_tbEUlmE_sEESD_NS0_8identityIvEEEESI_SL_SM_mSN_SP_bEUlT_E_NS1_11comp_targetILNS1_3genE4ELNS1_11target_archE910ELNS1_3gpuE8ELNS1_3repE0EEENS1_30default_config_static_selectorELNS0_4arch9wavefront6targetE0EEEvT1_.kd
    .uniform_work_group_size: 1
    .uses_dynamic_stack: false
    .vgpr_count:     0
    .vgpr_spill_count: 0
    .wavefront_size: 32
    .workgroup_processor_mode: 1
  - .args:
      - .offset:         0
        .size:           56
        .value_kind:     by_value
    .group_segment_fixed_size: 0
    .kernarg_segment_align: 8
    .kernarg_segment_size: 56
    .language:       OpenCL C
    .language_version:
      - 2
      - 0
    .max_flat_workgroup_size: 128
    .name:           _ZN7rocprim17ROCPRIM_400000_NS6detail17trampoline_kernelINS0_14default_configENS1_25transform_config_selectorIsLb0EEEZNS1_14transform_implILb0ES3_S5_NS0_18transform_iteratorINS0_17counting_iteratorImlEEZNS1_24adjacent_difference_implIS3_Lb1ELb0EPKsPsN6thrust23THRUST_200600_302600_NS4plusIsEEEE10hipError_tPvRmT2_T3_mT4_P12ihipStream_tbEUlmE_sEESD_NS0_8identityIvEEEESI_SL_SM_mSN_SP_bEUlT_E_NS1_11comp_targetILNS1_3genE3ELNS1_11target_archE908ELNS1_3gpuE7ELNS1_3repE0EEENS1_30default_config_static_selectorELNS0_4arch9wavefront6targetE0EEEvT1_
    .private_segment_fixed_size: 0
    .sgpr_count:     0
    .sgpr_spill_count: 0
    .symbol:         _ZN7rocprim17ROCPRIM_400000_NS6detail17trampoline_kernelINS0_14default_configENS1_25transform_config_selectorIsLb0EEEZNS1_14transform_implILb0ES3_S5_NS0_18transform_iteratorINS0_17counting_iteratorImlEEZNS1_24adjacent_difference_implIS3_Lb1ELb0EPKsPsN6thrust23THRUST_200600_302600_NS4plusIsEEEE10hipError_tPvRmT2_T3_mT4_P12ihipStream_tbEUlmE_sEESD_NS0_8identityIvEEEESI_SL_SM_mSN_SP_bEUlT_E_NS1_11comp_targetILNS1_3genE3ELNS1_11target_archE908ELNS1_3gpuE7ELNS1_3repE0EEENS1_30default_config_static_selectorELNS0_4arch9wavefront6targetE0EEEvT1_.kd
    .uniform_work_group_size: 1
    .uses_dynamic_stack: false
    .vgpr_count:     0
    .vgpr_spill_count: 0
    .wavefront_size: 32
    .workgroup_processor_mode: 1
  - .args:
      - .offset:         0
        .size:           56
        .value_kind:     by_value
    .group_segment_fixed_size: 0
    .kernarg_segment_align: 8
    .kernarg_segment_size: 56
    .language:       OpenCL C
    .language_version:
      - 2
      - 0
    .max_flat_workgroup_size: 512
    .name:           _ZN7rocprim17ROCPRIM_400000_NS6detail17trampoline_kernelINS0_14default_configENS1_25transform_config_selectorIsLb0EEEZNS1_14transform_implILb0ES3_S5_NS0_18transform_iteratorINS0_17counting_iteratorImlEEZNS1_24adjacent_difference_implIS3_Lb1ELb0EPKsPsN6thrust23THRUST_200600_302600_NS4plusIsEEEE10hipError_tPvRmT2_T3_mT4_P12ihipStream_tbEUlmE_sEESD_NS0_8identityIvEEEESI_SL_SM_mSN_SP_bEUlT_E_NS1_11comp_targetILNS1_3genE2ELNS1_11target_archE906ELNS1_3gpuE6ELNS1_3repE0EEENS1_30default_config_static_selectorELNS0_4arch9wavefront6targetE0EEEvT1_
    .private_segment_fixed_size: 0
    .sgpr_count:     0
    .sgpr_spill_count: 0
    .symbol:         _ZN7rocprim17ROCPRIM_400000_NS6detail17trampoline_kernelINS0_14default_configENS1_25transform_config_selectorIsLb0EEEZNS1_14transform_implILb0ES3_S5_NS0_18transform_iteratorINS0_17counting_iteratorImlEEZNS1_24adjacent_difference_implIS3_Lb1ELb0EPKsPsN6thrust23THRUST_200600_302600_NS4plusIsEEEE10hipError_tPvRmT2_T3_mT4_P12ihipStream_tbEUlmE_sEESD_NS0_8identityIvEEEESI_SL_SM_mSN_SP_bEUlT_E_NS1_11comp_targetILNS1_3genE2ELNS1_11target_archE906ELNS1_3gpuE6ELNS1_3repE0EEENS1_30default_config_static_selectorELNS0_4arch9wavefront6targetE0EEEvT1_.kd
    .uniform_work_group_size: 1
    .uses_dynamic_stack: false
    .vgpr_count:     0
    .vgpr_spill_count: 0
    .wavefront_size: 32
    .workgroup_processor_mode: 1
  - .args:
      - .offset:         0
        .size:           56
        .value_kind:     by_value
    .group_segment_fixed_size: 0
    .kernarg_segment_align: 8
    .kernarg_segment_size: 56
    .language:       OpenCL C
    .language_version:
      - 2
      - 0
    .max_flat_workgroup_size: 1024
    .name:           _ZN7rocprim17ROCPRIM_400000_NS6detail17trampoline_kernelINS0_14default_configENS1_25transform_config_selectorIsLb0EEEZNS1_14transform_implILb0ES3_S5_NS0_18transform_iteratorINS0_17counting_iteratorImlEEZNS1_24adjacent_difference_implIS3_Lb1ELb0EPKsPsN6thrust23THRUST_200600_302600_NS4plusIsEEEE10hipError_tPvRmT2_T3_mT4_P12ihipStream_tbEUlmE_sEESD_NS0_8identityIvEEEESI_SL_SM_mSN_SP_bEUlT_E_NS1_11comp_targetILNS1_3genE10ELNS1_11target_archE1201ELNS1_3gpuE5ELNS1_3repE0EEENS1_30default_config_static_selectorELNS0_4arch9wavefront6targetE0EEEvT1_
    .private_segment_fixed_size: 0
    .sgpr_count:     0
    .sgpr_spill_count: 0
    .symbol:         _ZN7rocprim17ROCPRIM_400000_NS6detail17trampoline_kernelINS0_14default_configENS1_25transform_config_selectorIsLb0EEEZNS1_14transform_implILb0ES3_S5_NS0_18transform_iteratorINS0_17counting_iteratorImlEEZNS1_24adjacent_difference_implIS3_Lb1ELb0EPKsPsN6thrust23THRUST_200600_302600_NS4plusIsEEEE10hipError_tPvRmT2_T3_mT4_P12ihipStream_tbEUlmE_sEESD_NS0_8identityIvEEEESI_SL_SM_mSN_SP_bEUlT_E_NS1_11comp_targetILNS1_3genE10ELNS1_11target_archE1201ELNS1_3gpuE5ELNS1_3repE0EEENS1_30default_config_static_selectorELNS0_4arch9wavefront6targetE0EEEvT1_.kd
    .uniform_work_group_size: 1
    .uses_dynamic_stack: false
    .vgpr_count:     0
    .vgpr_spill_count: 0
    .wavefront_size: 32
    .workgroup_processor_mode: 1
  - .args:
      - .offset:         0
        .size:           56
        .value_kind:     by_value
    .group_segment_fixed_size: 0
    .kernarg_segment_align: 8
    .kernarg_segment_size: 56
    .language:       OpenCL C
    .language_version:
      - 2
      - 0
    .max_flat_workgroup_size: 512
    .name:           _ZN7rocprim17ROCPRIM_400000_NS6detail17trampoline_kernelINS0_14default_configENS1_25transform_config_selectorIsLb0EEEZNS1_14transform_implILb0ES3_S5_NS0_18transform_iteratorINS0_17counting_iteratorImlEEZNS1_24adjacent_difference_implIS3_Lb1ELb0EPKsPsN6thrust23THRUST_200600_302600_NS4plusIsEEEE10hipError_tPvRmT2_T3_mT4_P12ihipStream_tbEUlmE_sEESD_NS0_8identityIvEEEESI_SL_SM_mSN_SP_bEUlT_E_NS1_11comp_targetILNS1_3genE10ELNS1_11target_archE1200ELNS1_3gpuE4ELNS1_3repE0EEENS1_30default_config_static_selectorELNS0_4arch9wavefront6targetE0EEEvT1_
    .private_segment_fixed_size: 0
    .sgpr_count:     0
    .sgpr_spill_count: 0
    .symbol:         _ZN7rocprim17ROCPRIM_400000_NS6detail17trampoline_kernelINS0_14default_configENS1_25transform_config_selectorIsLb0EEEZNS1_14transform_implILb0ES3_S5_NS0_18transform_iteratorINS0_17counting_iteratorImlEEZNS1_24adjacent_difference_implIS3_Lb1ELb0EPKsPsN6thrust23THRUST_200600_302600_NS4plusIsEEEE10hipError_tPvRmT2_T3_mT4_P12ihipStream_tbEUlmE_sEESD_NS0_8identityIvEEEESI_SL_SM_mSN_SP_bEUlT_E_NS1_11comp_targetILNS1_3genE10ELNS1_11target_archE1200ELNS1_3gpuE4ELNS1_3repE0EEENS1_30default_config_static_selectorELNS0_4arch9wavefront6targetE0EEEvT1_.kd
    .uniform_work_group_size: 1
    .uses_dynamic_stack: false
    .vgpr_count:     0
    .vgpr_spill_count: 0
    .wavefront_size: 32
    .workgroup_processor_mode: 1
  - .args:
      - .offset:         0
        .size:           56
        .value_kind:     by_value
      - .offset:         56
        .size:           4
        .value_kind:     hidden_block_count_x
      - .offset:         60
        .size:           4
        .value_kind:     hidden_block_count_y
      - .offset:         64
        .size:           4
        .value_kind:     hidden_block_count_z
      - .offset:         68
        .size:           2
        .value_kind:     hidden_group_size_x
      - .offset:         70
        .size:           2
        .value_kind:     hidden_group_size_y
      - .offset:         72
        .size:           2
        .value_kind:     hidden_group_size_z
      - .offset:         74
        .size:           2
        .value_kind:     hidden_remainder_x
      - .offset:         76
        .size:           2
        .value_kind:     hidden_remainder_y
      - .offset:         78
        .size:           2
        .value_kind:     hidden_remainder_z
      - .offset:         96
        .size:           8
        .value_kind:     hidden_global_offset_x
      - .offset:         104
        .size:           8
        .value_kind:     hidden_global_offset_y
      - .offset:         112
        .size:           8
        .value_kind:     hidden_global_offset_z
      - .offset:         120
        .size:           2
        .value_kind:     hidden_grid_dims
    .group_segment_fixed_size: 0
    .kernarg_segment_align: 8
    .kernarg_segment_size: 312
    .language:       OpenCL C
    .language_version:
      - 2
      - 0
    .max_flat_workgroup_size: 1024
    .name:           _ZN7rocprim17ROCPRIM_400000_NS6detail17trampoline_kernelINS0_14default_configENS1_25transform_config_selectorIsLb0EEEZNS1_14transform_implILb0ES3_S5_NS0_18transform_iteratorINS0_17counting_iteratorImlEEZNS1_24adjacent_difference_implIS3_Lb1ELb0EPKsPsN6thrust23THRUST_200600_302600_NS4plusIsEEEE10hipError_tPvRmT2_T3_mT4_P12ihipStream_tbEUlmE_sEESD_NS0_8identityIvEEEESI_SL_SM_mSN_SP_bEUlT_E_NS1_11comp_targetILNS1_3genE9ELNS1_11target_archE1100ELNS1_3gpuE3ELNS1_3repE0EEENS1_30default_config_static_selectorELNS0_4arch9wavefront6targetE0EEEvT1_
    .private_segment_fixed_size: 0
    .sgpr_count:     20
    .sgpr_spill_count: 0
    .symbol:         _ZN7rocprim17ROCPRIM_400000_NS6detail17trampoline_kernelINS0_14default_configENS1_25transform_config_selectorIsLb0EEEZNS1_14transform_implILb0ES3_S5_NS0_18transform_iteratorINS0_17counting_iteratorImlEEZNS1_24adjacent_difference_implIS3_Lb1ELb0EPKsPsN6thrust23THRUST_200600_302600_NS4plusIsEEEE10hipError_tPvRmT2_T3_mT4_P12ihipStream_tbEUlmE_sEESD_NS0_8identityIvEEEESI_SL_SM_mSN_SP_bEUlT_E_NS1_11comp_targetILNS1_3genE9ELNS1_11target_archE1100ELNS1_3gpuE3ELNS1_3repE0EEENS1_30default_config_static_selectorELNS0_4arch9wavefront6targetE0EEEvT1_.kd
    .uniform_work_group_size: 1
    .uses_dynamic_stack: false
    .vgpr_count:     8
    .vgpr_spill_count: 0
    .wavefront_size: 32
    .workgroup_processor_mode: 1
  - .args:
      - .offset:         0
        .size:           56
        .value_kind:     by_value
    .group_segment_fixed_size: 0
    .kernarg_segment_align: 8
    .kernarg_segment_size: 56
    .language:       OpenCL C
    .language_version:
      - 2
      - 0
    .max_flat_workgroup_size: 1024
    .name:           _ZN7rocprim17ROCPRIM_400000_NS6detail17trampoline_kernelINS0_14default_configENS1_25transform_config_selectorIsLb0EEEZNS1_14transform_implILb0ES3_S5_NS0_18transform_iteratorINS0_17counting_iteratorImlEEZNS1_24adjacent_difference_implIS3_Lb1ELb0EPKsPsN6thrust23THRUST_200600_302600_NS4plusIsEEEE10hipError_tPvRmT2_T3_mT4_P12ihipStream_tbEUlmE_sEESD_NS0_8identityIvEEEESI_SL_SM_mSN_SP_bEUlT_E_NS1_11comp_targetILNS1_3genE8ELNS1_11target_archE1030ELNS1_3gpuE2ELNS1_3repE0EEENS1_30default_config_static_selectorELNS0_4arch9wavefront6targetE0EEEvT1_
    .private_segment_fixed_size: 0
    .sgpr_count:     0
    .sgpr_spill_count: 0
    .symbol:         _ZN7rocprim17ROCPRIM_400000_NS6detail17trampoline_kernelINS0_14default_configENS1_25transform_config_selectorIsLb0EEEZNS1_14transform_implILb0ES3_S5_NS0_18transform_iteratorINS0_17counting_iteratorImlEEZNS1_24adjacent_difference_implIS3_Lb1ELb0EPKsPsN6thrust23THRUST_200600_302600_NS4plusIsEEEE10hipError_tPvRmT2_T3_mT4_P12ihipStream_tbEUlmE_sEESD_NS0_8identityIvEEEESI_SL_SM_mSN_SP_bEUlT_E_NS1_11comp_targetILNS1_3genE8ELNS1_11target_archE1030ELNS1_3gpuE2ELNS1_3repE0EEENS1_30default_config_static_selectorELNS0_4arch9wavefront6targetE0EEEvT1_.kd
    .uniform_work_group_size: 1
    .uses_dynamic_stack: false
    .vgpr_count:     0
    .vgpr_spill_count: 0
    .wavefront_size: 32
    .workgroup_processor_mode: 1
  - .args:
      - .offset:         0
        .size:           56
        .value_kind:     by_value
    .group_segment_fixed_size: 0
    .kernarg_segment_align: 8
    .kernarg_segment_size: 56
    .language:       OpenCL C
    .language_version:
      - 2
      - 0
    .max_flat_workgroup_size: 32
    .name:           _ZN7rocprim17ROCPRIM_400000_NS6detail17trampoline_kernelINS0_14default_configENS1_35adjacent_difference_config_selectorILb1EsEEZNS1_24adjacent_difference_implIS3_Lb1ELb0EPKsPsN6thrust23THRUST_200600_302600_NS4plusIsEEEE10hipError_tPvRmT2_T3_mT4_P12ihipStream_tbEUlT_E_NS1_11comp_targetILNS1_3genE0ELNS1_11target_archE4294967295ELNS1_3gpuE0ELNS1_3repE0EEENS1_30default_config_static_selectorELNS0_4arch9wavefront6targetE0EEEvT1_
    .private_segment_fixed_size: 0
    .sgpr_count:     0
    .sgpr_spill_count: 0
    .symbol:         _ZN7rocprim17ROCPRIM_400000_NS6detail17trampoline_kernelINS0_14default_configENS1_35adjacent_difference_config_selectorILb1EsEEZNS1_24adjacent_difference_implIS3_Lb1ELb0EPKsPsN6thrust23THRUST_200600_302600_NS4plusIsEEEE10hipError_tPvRmT2_T3_mT4_P12ihipStream_tbEUlT_E_NS1_11comp_targetILNS1_3genE0ELNS1_11target_archE4294967295ELNS1_3gpuE0ELNS1_3repE0EEENS1_30default_config_static_selectorELNS0_4arch9wavefront6targetE0EEEvT1_.kd
    .uniform_work_group_size: 1
    .uses_dynamic_stack: false
    .vgpr_count:     0
    .vgpr_spill_count: 0
    .wavefront_size: 32
    .workgroup_processor_mode: 1
  - .args:
      - .offset:         0
        .size:           56
        .value_kind:     by_value
    .group_segment_fixed_size: 0
    .kernarg_segment_align: 8
    .kernarg_segment_size: 56
    .language:       OpenCL C
    .language_version:
      - 2
      - 0
    .max_flat_workgroup_size: 512
    .name:           _ZN7rocprim17ROCPRIM_400000_NS6detail17trampoline_kernelINS0_14default_configENS1_35adjacent_difference_config_selectorILb1EsEEZNS1_24adjacent_difference_implIS3_Lb1ELb0EPKsPsN6thrust23THRUST_200600_302600_NS4plusIsEEEE10hipError_tPvRmT2_T3_mT4_P12ihipStream_tbEUlT_E_NS1_11comp_targetILNS1_3genE10ELNS1_11target_archE1201ELNS1_3gpuE5ELNS1_3repE0EEENS1_30default_config_static_selectorELNS0_4arch9wavefront6targetE0EEEvT1_
    .private_segment_fixed_size: 0
    .sgpr_count:     0
    .sgpr_spill_count: 0
    .symbol:         _ZN7rocprim17ROCPRIM_400000_NS6detail17trampoline_kernelINS0_14default_configENS1_35adjacent_difference_config_selectorILb1EsEEZNS1_24adjacent_difference_implIS3_Lb1ELb0EPKsPsN6thrust23THRUST_200600_302600_NS4plusIsEEEE10hipError_tPvRmT2_T3_mT4_P12ihipStream_tbEUlT_E_NS1_11comp_targetILNS1_3genE10ELNS1_11target_archE1201ELNS1_3gpuE5ELNS1_3repE0EEENS1_30default_config_static_selectorELNS0_4arch9wavefront6targetE0EEEvT1_.kd
    .uniform_work_group_size: 1
    .uses_dynamic_stack: false
    .vgpr_count:     0
    .vgpr_spill_count: 0
    .wavefront_size: 32
    .workgroup_processor_mode: 1
  - .args:
      - .offset:         0
        .size:           56
        .value_kind:     by_value
    .group_segment_fixed_size: 0
    .kernarg_segment_align: 8
    .kernarg_segment_size: 56
    .language:       OpenCL C
    .language_version:
      - 2
      - 0
    .max_flat_workgroup_size: 64
    .name:           _ZN7rocprim17ROCPRIM_400000_NS6detail17trampoline_kernelINS0_14default_configENS1_35adjacent_difference_config_selectorILb1EsEEZNS1_24adjacent_difference_implIS3_Lb1ELb0EPKsPsN6thrust23THRUST_200600_302600_NS4plusIsEEEE10hipError_tPvRmT2_T3_mT4_P12ihipStream_tbEUlT_E_NS1_11comp_targetILNS1_3genE5ELNS1_11target_archE942ELNS1_3gpuE9ELNS1_3repE0EEENS1_30default_config_static_selectorELNS0_4arch9wavefront6targetE0EEEvT1_
    .private_segment_fixed_size: 0
    .sgpr_count:     0
    .sgpr_spill_count: 0
    .symbol:         _ZN7rocprim17ROCPRIM_400000_NS6detail17trampoline_kernelINS0_14default_configENS1_35adjacent_difference_config_selectorILb1EsEEZNS1_24adjacent_difference_implIS3_Lb1ELb0EPKsPsN6thrust23THRUST_200600_302600_NS4plusIsEEEE10hipError_tPvRmT2_T3_mT4_P12ihipStream_tbEUlT_E_NS1_11comp_targetILNS1_3genE5ELNS1_11target_archE942ELNS1_3gpuE9ELNS1_3repE0EEENS1_30default_config_static_selectorELNS0_4arch9wavefront6targetE0EEEvT1_.kd
    .uniform_work_group_size: 1
    .uses_dynamic_stack: false
    .vgpr_count:     0
    .vgpr_spill_count: 0
    .wavefront_size: 32
    .workgroup_processor_mode: 1
  - .args:
      - .offset:         0
        .size:           56
        .value_kind:     by_value
    .group_segment_fixed_size: 0
    .kernarg_segment_align: 8
    .kernarg_segment_size: 56
    .language:       OpenCL C
    .language_version:
      - 2
      - 0
    .max_flat_workgroup_size: 64
    .name:           _ZN7rocprim17ROCPRIM_400000_NS6detail17trampoline_kernelINS0_14default_configENS1_35adjacent_difference_config_selectorILb1EsEEZNS1_24adjacent_difference_implIS3_Lb1ELb0EPKsPsN6thrust23THRUST_200600_302600_NS4plusIsEEEE10hipError_tPvRmT2_T3_mT4_P12ihipStream_tbEUlT_E_NS1_11comp_targetILNS1_3genE4ELNS1_11target_archE910ELNS1_3gpuE8ELNS1_3repE0EEENS1_30default_config_static_selectorELNS0_4arch9wavefront6targetE0EEEvT1_
    .private_segment_fixed_size: 0
    .sgpr_count:     0
    .sgpr_spill_count: 0
    .symbol:         _ZN7rocprim17ROCPRIM_400000_NS6detail17trampoline_kernelINS0_14default_configENS1_35adjacent_difference_config_selectorILb1EsEEZNS1_24adjacent_difference_implIS3_Lb1ELb0EPKsPsN6thrust23THRUST_200600_302600_NS4plusIsEEEE10hipError_tPvRmT2_T3_mT4_P12ihipStream_tbEUlT_E_NS1_11comp_targetILNS1_3genE4ELNS1_11target_archE910ELNS1_3gpuE8ELNS1_3repE0EEENS1_30default_config_static_selectorELNS0_4arch9wavefront6targetE0EEEvT1_.kd
    .uniform_work_group_size: 1
    .uses_dynamic_stack: false
    .vgpr_count:     0
    .vgpr_spill_count: 0
    .wavefront_size: 32
    .workgroup_processor_mode: 1
  - .args:
      - .offset:         0
        .size:           56
        .value_kind:     by_value
    .group_segment_fixed_size: 0
    .kernarg_segment_align: 8
    .kernarg_segment_size: 56
    .language:       OpenCL C
    .language_version:
      - 2
      - 0
    .max_flat_workgroup_size: 32
    .name:           _ZN7rocprim17ROCPRIM_400000_NS6detail17trampoline_kernelINS0_14default_configENS1_35adjacent_difference_config_selectorILb1EsEEZNS1_24adjacent_difference_implIS3_Lb1ELb0EPKsPsN6thrust23THRUST_200600_302600_NS4plusIsEEEE10hipError_tPvRmT2_T3_mT4_P12ihipStream_tbEUlT_E_NS1_11comp_targetILNS1_3genE3ELNS1_11target_archE908ELNS1_3gpuE7ELNS1_3repE0EEENS1_30default_config_static_selectorELNS0_4arch9wavefront6targetE0EEEvT1_
    .private_segment_fixed_size: 0
    .sgpr_count:     0
    .sgpr_spill_count: 0
    .symbol:         _ZN7rocprim17ROCPRIM_400000_NS6detail17trampoline_kernelINS0_14default_configENS1_35adjacent_difference_config_selectorILb1EsEEZNS1_24adjacent_difference_implIS3_Lb1ELb0EPKsPsN6thrust23THRUST_200600_302600_NS4plusIsEEEE10hipError_tPvRmT2_T3_mT4_P12ihipStream_tbEUlT_E_NS1_11comp_targetILNS1_3genE3ELNS1_11target_archE908ELNS1_3gpuE7ELNS1_3repE0EEENS1_30default_config_static_selectorELNS0_4arch9wavefront6targetE0EEEvT1_.kd
    .uniform_work_group_size: 1
    .uses_dynamic_stack: false
    .vgpr_count:     0
    .vgpr_spill_count: 0
    .wavefront_size: 32
    .workgroup_processor_mode: 1
  - .args:
      - .offset:         0
        .size:           56
        .value_kind:     by_value
    .group_segment_fixed_size: 0
    .kernarg_segment_align: 8
    .kernarg_segment_size: 56
    .language:       OpenCL C
    .language_version:
      - 2
      - 0
    .max_flat_workgroup_size: 64
    .name:           _ZN7rocprim17ROCPRIM_400000_NS6detail17trampoline_kernelINS0_14default_configENS1_35adjacent_difference_config_selectorILb1EsEEZNS1_24adjacent_difference_implIS3_Lb1ELb0EPKsPsN6thrust23THRUST_200600_302600_NS4plusIsEEEE10hipError_tPvRmT2_T3_mT4_P12ihipStream_tbEUlT_E_NS1_11comp_targetILNS1_3genE2ELNS1_11target_archE906ELNS1_3gpuE6ELNS1_3repE0EEENS1_30default_config_static_selectorELNS0_4arch9wavefront6targetE0EEEvT1_
    .private_segment_fixed_size: 0
    .sgpr_count:     0
    .sgpr_spill_count: 0
    .symbol:         _ZN7rocprim17ROCPRIM_400000_NS6detail17trampoline_kernelINS0_14default_configENS1_35adjacent_difference_config_selectorILb1EsEEZNS1_24adjacent_difference_implIS3_Lb1ELb0EPKsPsN6thrust23THRUST_200600_302600_NS4plusIsEEEE10hipError_tPvRmT2_T3_mT4_P12ihipStream_tbEUlT_E_NS1_11comp_targetILNS1_3genE2ELNS1_11target_archE906ELNS1_3gpuE6ELNS1_3repE0EEENS1_30default_config_static_selectorELNS0_4arch9wavefront6targetE0EEEvT1_.kd
    .uniform_work_group_size: 1
    .uses_dynamic_stack: false
    .vgpr_count:     0
    .vgpr_spill_count: 0
    .wavefront_size: 32
    .workgroup_processor_mode: 1
  - .args:
      - .offset:         0
        .size:           56
        .value_kind:     by_value
    .group_segment_fixed_size: 5888
    .kernarg_segment_align: 8
    .kernarg_segment_size: 56
    .language:       OpenCL C
    .language_version:
      - 2
      - 0
    .max_flat_workgroup_size: 128
    .name:           _ZN7rocprim17ROCPRIM_400000_NS6detail17trampoline_kernelINS0_14default_configENS1_35adjacent_difference_config_selectorILb1EsEEZNS1_24adjacent_difference_implIS3_Lb1ELb0EPKsPsN6thrust23THRUST_200600_302600_NS4plusIsEEEE10hipError_tPvRmT2_T3_mT4_P12ihipStream_tbEUlT_E_NS1_11comp_targetILNS1_3genE9ELNS1_11target_archE1100ELNS1_3gpuE3ELNS1_3repE0EEENS1_30default_config_static_selectorELNS0_4arch9wavefront6targetE0EEEvT1_
    .private_segment_fixed_size: 0
    .sgpr_count:     28
    .sgpr_spill_count: 0
    .symbol:         _ZN7rocprim17ROCPRIM_400000_NS6detail17trampoline_kernelINS0_14default_configENS1_35adjacent_difference_config_selectorILb1EsEEZNS1_24adjacent_difference_implIS3_Lb1ELb0EPKsPsN6thrust23THRUST_200600_302600_NS4plusIsEEEE10hipError_tPvRmT2_T3_mT4_P12ihipStream_tbEUlT_E_NS1_11comp_targetILNS1_3genE9ELNS1_11target_archE1100ELNS1_3gpuE3ELNS1_3repE0EEENS1_30default_config_static_selectorELNS0_4arch9wavefront6targetE0EEEvT1_.kd
    .uniform_work_group_size: 1
    .uses_dynamic_stack: false
    .vgpr_count:     41
    .vgpr_spill_count: 0
    .wavefront_size: 32
    .workgroup_processor_mode: 1
  - .args:
      - .offset:         0
        .size:           56
        .value_kind:     by_value
    .group_segment_fixed_size: 0
    .kernarg_segment_align: 8
    .kernarg_segment_size: 56
    .language:       OpenCL C
    .language_version:
      - 2
      - 0
    .max_flat_workgroup_size: 512
    .name:           _ZN7rocprim17ROCPRIM_400000_NS6detail17trampoline_kernelINS0_14default_configENS1_35adjacent_difference_config_selectorILb1EsEEZNS1_24adjacent_difference_implIS3_Lb1ELb0EPKsPsN6thrust23THRUST_200600_302600_NS4plusIsEEEE10hipError_tPvRmT2_T3_mT4_P12ihipStream_tbEUlT_E_NS1_11comp_targetILNS1_3genE8ELNS1_11target_archE1030ELNS1_3gpuE2ELNS1_3repE0EEENS1_30default_config_static_selectorELNS0_4arch9wavefront6targetE0EEEvT1_
    .private_segment_fixed_size: 0
    .sgpr_count:     0
    .sgpr_spill_count: 0
    .symbol:         _ZN7rocprim17ROCPRIM_400000_NS6detail17trampoline_kernelINS0_14default_configENS1_35adjacent_difference_config_selectorILb1EsEEZNS1_24adjacent_difference_implIS3_Lb1ELb0EPKsPsN6thrust23THRUST_200600_302600_NS4plusIsEEEE10hipError_tPvRmT2_T3_mT4_P12ihipStream_tbEUlT_E_NS1_11comp_targetILNS1_3genE8ELNS1_11target_archE1030ELNS1_3gpuE2ELNS1_3repE0EEENS1_30default_config_static_selectorELNS0_4arch9wavefront6targetE0EEEvT1_.kd
    .uniform_work_group_size: 1
    .uses_dynamic_stack: false
    .vgpr_count:     0
    .vgpr_spill_count: 0
    .wavefront_size: 32
    .workgroup_processor_mode: 1
  - .args:
      - .offset:         0
        .size:           56
        .value_kind:     by_value
    .group_segment_fixed_size: 0
    .kernarg_segment_align: 8
    .kernarg_segment_size: 56
    .language:       OpenCL C
    .language_version:
      - 2
      - 0
    .max_flat_workgroup_size: 128
    .name:           _ZN7rocprim17ROCPRIM_400000_NS6detail17trampoline_kernelINS0_14default_configENS1_25transform_config_selectorIdLb0EEEZNS1_14transform_implILb0ES3_S5_NS0_18transform_iteratorINS0_17counting_iteratorImlEEZNS1_24adjacent_difference_implIS3_Lb1ELb0EPdN6thrust23THRUST_200600_302600_NS16discard_iteratorINSD_11use_defaultEEENSD_5minusIdEEEE10hipError_tPvRmT2_T3_mT4_P12ihipStream_tbEUlmE_dEESB_NS0_8identityIvEEEESJ_SM_SN_mSO_SQ_bEUlT_E_NS1_11comp_targetILNS1_3genE0ELNS1_11target_archE4294967295ELNS1_3gpuE0ELNS1_3repE0EEENS1_30default_config_static_selectorELNS0_4arch9wavefront6targetE0EEEvT1_
    .private_segment_fixed_size: 0
    .sgpr_count:     0
    .sgpr_spill_count: 0
    .symbol:         _ZN7rocprim17ROCPRIM_400000_NS6detail17trampoline_kernelINS0_14default_configENS1_25transform_config_selectorIdLb0EEEZNS1_14transform_implILb0ES3_S5_NS0_18transform_iteratorINS0_17counting_iteratorImlEEZNS1_24adjacent_difference_implIS3_Lb1ELb0EPdN6thrust23THRUST_200600_302600_NS16discard_iteratorINSD_11use_defaultEEENSD_5minusIdEEEE10hipError_tPvRmT2_T3_mT4_P12ihipStream_tbEUlmE_dEESB_NS0_8identityIvEEEESJ_SM_SN_mSO_SQ_bEUlT_E_NS1_11comp_targetILNS1_3genE0ELNS1_11target_archE4294967295ELNS1_3gpuE0ELNS1_3repE0EEENS1_30default_config_static_selectorELNS0_4arch9wavefront6targetE0EEEvT1_.kd
    .uniform_work_group_size: 1
    .uses_dynamic_stack: false
    .vgpr_count:     0
    .vgpr_spill_count: 0
    .wavefront_size: 32
    .workgroup_processor_mode: 1
  - .args:
      - .offset:         0
        .size:           56
        .value_kind:     by_value
    .group_segment_fixed_size: 0
    .kernarg_segment_align: 8
    .kernarg_segment_size: 56
    .language:       OpenCL C
    .language_version:
      - 2
      - 0
    .max_flat_workgroup_size: 512
    .name:           _ZN7rocprim17ROCPRIM_400000_NS6detail17trampoline_kernelINS0_14default_configENS1_25transform_config_selectorIdLb0EEEZNS1_14transform_implILb0ES3_S5_NS0_18transform_iteratorINS0_17counting_iteratorImlEEZNS1_24adjacent_difference_implIS3_Lb1ELb0EPdN6thrust23THRUST_200600_302600_NS16discard_iteratorINSD_11use_defaultEEENSD_5minusIdEEEE10hipError_tPvRmT2_T3_mT4_P12ihipStream_tbEUlmE_dEESB_NS0_8identityIvEEEESJ_SM_SN_mSO_SQ_bEUlT_E_NS1_11comp_targetILNS1_3genE5ELNS1_11target_archE942ELNS1_3gpuE9ELNS1_3repE0EEENS1_30default_config_static_selectorELNS0_4arch9wavefront6targetE0EEEvT1_
    .private_segment_fixed_size: 0
    .sgpr_count:     0
    .sgpr_spill_count: 0
    .symbol:         _ZN7rocprim17ROCPRIM_400000_NS6detail17trampoline_kernelINS0_14default_configENS1_25transform_config_selectorIdLb0EEEZNS1_14transform_implILb0ES3_S5_NS0_18transform_iteratorINS0_17counting_iteratorImlEEZNS1_24adjacent_difference_implIS3_Lb1ELb0EPdN6thrust23THRUST_200600_302600_NS16discard_iteratorINSD_11use_defaultEEENSD_5minusIdEEEE10hipError_tPvRmT2_T3_mT4_P12ihipStream_tbEUlmE_dEESB_NS0_8identityIvEEEESJ_SM_SN_mSO_SQ_bEUlT_E_NS1_11comp_targetILNS1_3genE5ELNS1_11target_archE942ELNS1_3gpuE9ELNS1_3repE0EEENS1_30default_config_static_selectorELNS0_4arch9wavefront6targetE0EEEvT1_.kd
    .uniform_work_group_size: 1
    .uses_dynamic_stack: false
    .vgpr_count:     0
    .vgpr_spill_count: 0
    .wavefront_size: 32
    .workgroup_processor_mode: 1
  - .args:
      - .offset:         0
        .size:           56
        .value_kind:     by_value
    .group_segment_fixed_size: 0
    .kernarg_segment_align: 8
    .kernarg_segment_size: 56
    .language:       OpenCL C
    .language_version:
      - 2
      - 0
    .max_flat_workgroup_size: 256
    .name:           _ZN7rocprim17ROCPRIM_400000_NS6detail17trampoline_kernelINS0_14default_configENS1_25transform_config_selectorIdLb0EEEZNS1_14transform_implILb0ES3_S5_NS0_18transform_iteratorINS0_17counting_iteratorImlEEZNS1_24adjacent_difference_implIS3_Lb1ELb0EPdN6thrust23THRUST_200600_302600_NS16discard_iteratorINSD_11use_defaultEEENSD_5minusIdEEEE10hipError_tPvRmT2_T3_mT4_P12ihipStream_tbEUlmE_dEESB_NS0_8identityIvEEEESJ_SM_SN_mSO_SQ_bEUlT_E_NS1_11comp_targetILNS1_3genE4ELNS1_11target_archE910ELNS1_3gpuE8ELNS1_3repE0EEENS1_30default_config_static_selectorELNS0_4arch9wavefront6targetE0EEEvT1_
    .private_segment_fixed_size: 0
    .sgpr_count:     0
    .sgpr_spill_count: 0
    .symbol:         _ZN7rocprim17ROCPRIM_400000_NS6detail17trampoline_kernelINS0_14default_configENS1_25transform_config_selectorIdLb0EEEZNS1_14transform_implILb0ES3_S5_NS0_18transform_iteratorINS0_17counting_iteratorImlEEZNS1_24adjacent_difference_implIS3_Lb1ELb0EPdN6thrust23THRUST_200600_302600_NS16discard_iteratorINSD_11use_defaultEEENSD_5minusIdEEEE10hipError_tPvRmT2_T3_mT4_P12ihipStream_tbEUlmE_dEESB_NS0_8identityIvEEEESJ_SM_SN_mSO_SQ_bEUlT_E_NS1_11comp_targetILNS1_3genE4ELNS1_11target_archE910ELNS1_3gpuE8ELNS1_3repE0EEENS1_30default_config_static_selectorELNS0_4arch9wavefront6targetE0EEEvT1_.kd
    .uniform_work_group_size: 1
    .uses_dynamic_stack: false
    .vgpr_count:     0
    .vgpr_spill_count: 0
    .wavefront_size: 32
    .workgroup_processor_mode: 1
  - .args:
      - .offset:         0
        .size:           56
        .value_kind:     by_value
    .group_segment_fixed_size: 0
    .kernarg_segment_align: 8
    .kernarg_segment_size: 56
    .language:       OpenCL C
    .language_version:
      - 2
      - 0
    .max_flat_workgroup_size: 128
    .name:           _ZN7rocprim17ROCPRIM_400000_NS6detail17trampoline_kernelINS0_14default_configENS1_25transform_config_selectorIdLb0EEEZNS1_14transform_implILb0ES3_S5_NS0_18transform_iteratorINS0_17counting_iteratorImlEEZNS1_24adjacent_difference_implIS3_Lb1ELb0EPdN6thrust23THRUST_200600_302600_NS16discard_iteratorINSD_11use_defaultEEENSD_5minusIdEEEE10hipError_tPvRmT2_T3_mT4_P12ihipStream_tbEUlmE_dEESB_NS0_8identityIvEEEESJ_SM_SN_mSO_SQ_bEUlT_E_NS1_11comp_targetILNS1_3genE3ELNS1_11target_archE908ELNS1_3gpuE7ELNS1_3repE0EEENS1_30default_config_static_selectorELNS0_4arch9wavefront6targetE0EEEvT1_
    .private_segment_fixed_size: 0
    .sgpr_count:     0
    .sgpr_spill_count: 0
    .symbol:         _ZN7rocprim17ROCPRIM_400000_NS6detail17trampoline_kernelINS0_14default_configENS1_25transform_config_selectorIdLb0EEEZNS1_14transform_implILb0ES3_S5_NS0_18transform_iteratorINS0_17counting_iteratorImlEEZNS1_24adjacent_difference_implIS3_Lb1ELb0EPdN6thrust23THRUST_200600_302600_NS16discard_iteratorINSD_11use_defaultEEENSD_5minusIdEEEE10hipError_tPvRmT2_T3_mT4_P12ihipStream_tbEUlmE_dEESB_NS0_8identityIvEEEESJ_SM_SN_mSO_SQ_bEUlT_E_NS1_11comp_targetILNS1_3genE3ELNS1_11target_archE908ELNS1_3gpuE7ELNS1_3repE0EEENS1_30default_config_static_selectorELNS0_4arch9wavefront6targetE0EEEvT1_.kd
    .uniform_work_group_size: 1
    .uses_dynamic_stack: false
    .vgpr_count:     0
    .vgpr_spill_count: 0
    .wavefront_size: 32
    .workgroup_processor_mode: 1
  - .args:
      - .offset:         0
        .size:           56
        .value_kind:     by_value
    .group_segment_fixed_size: 0
    .kernarg_segment_align: 8
    .kernarg_segment_size: 56
    .language:       OpenCL C
    .language_version:
      - 2
      - 0
    .max_flat_workgroup_size: 1024
    .name:           _ZN7rocprim17ROCPRIM_400000_NS6detail17trampoline_kernelINS0_14default_configENS1_25transform_config_selectorIdLb0EEEZNS1_14transform_implILb0ES3_S5_NS0_18transform_iteratorINS0_17counting_iteratorImlEEZNS1_24adjacent_difference_implIS3_Lb1ELb0EPdN6thrust23THRUST_200600_302600_NS16discard_iteratorINSD_11use_defaultEEENSD_5minusIdEEEE10hipError_tPvRmT2_T3_mT4_P12ihipStream_tbEUlmE_dEESB_NS0_8identityIvEEEESJ_SM_SN_mSO_SQ_bEUlT_E_NS1_11comp_targetILNS1_3genE2ELNS1_11target_archE906ELNS1_3gpuE6ELNS1_3repE0EEENS1_30default_config_static_selectorELNS0_4arch9wavefront6targetE0EEEvT1_
    .private_segment_fixed_size: 0
    .sgpr_count:     0
    .sgpr_spill_count: 0
    .symbol:         _ZN7rocprim17ROCPRIM_400000_NS6detail17trampoline_kernelINS0_14default_configENS1_25transform_config_selectorIdLb0EEEZNS1_14transform_implILb0ES3_S5_NS0_18transform_iteratorINS0_17counting_iteratorImlEEZNS1_24adjacent_difference_implIS3_Lb1ELb0EPdN6thrust23THRUST_200600_302600_NS16discard_iteratorINSD_11use_defaultEEENSD_5minusIdEEEE10hipError_tPvRmT2_T3_mT4_P12ihipStream_tbEUlmE_dEESB_NS0_8identityIvEEEESJ_SM_SN_mSO_SQ_bEUlT_E_NS1_11comp_targetILNS1_3genE2ELNS1_11target_archE906ELNS1_3gpuE6ELNS1_3repE0EEENS1_30default_config_static_selectorELNS0_4arch9wavefront6targetE0EEEvT1_.kd
    .uniform_work_group_size: 1
    .uses_dynamic_stack: false
    .vgpr_count:     0
    .vgpr_spill_count: 0
    .wavefront_size: 32
    .workgroup_processor_mode: 1
  - .args:
      - .offset:         0
        .size:           56
        .value_kind:     by_value
    .group_segment_fixed_size: 0
    .kernarg_segment_align: 8
    .kernarg_segment_size: 56
    .language:       OpenCL C
    .language_version:
      - 2
      - 0
    .max_flat_workgroup_size: 64
    .name:           _ZN7rocprim17ROCPRIM_400000_NS6detail17trampoline_kernelINS0_14default_configENS1_25transform_config_selectorIdLb0EEEZNS1_14transform_implILb0ES3_S5_NS0_18transform_iteratorINS0_17counting_iteratorImlEEZNS1_24adjacent_difference_implIS3_Lb1ELb0EPdN6thrust23THRUST_200600_302600_NS16discard_iteratorINSD_11use_defaultEEENSD_5minusIdEEEE10hipError_tPvRmT2_T3_mT4_P12ihipStream_tbEUlmE_dEESB_NS0_8identityIvEEEESJ_SM_SN_mSO_SQ_bEUlT_E_NS1_11comp_targetILNS1_3genE10ELNS1_11target_archE1201ELNS1_3gpuE5ELNS1_3repE0EEENS1_30default_config_static_selectorELNS0_4arch9wavefront6targetE0EEEvT1_
    .private_segment_fixed_size: 0
    .sgpr_count:     0
    .sgpr_spill_count: 0
    .symbol:         _ZN7rocprim17ROCPRIM_400000_NS6detail17trampoline_kernelINS0_14default_configENS1_25transform_config_selectorIdLb0EEEZNS1_14transform_implILb0ES3_S5_NS0_18transform_iteratorINS0_17counting_iteratorImlEEZNS1_24adjacent_difference_implIS3_Lb1ELb0EPdN6thrust23THRUST_200600_302600_NS16discard_iteratorINSD_11use_defaultEEENSD_5minusIdEEEE10hipError_tPvRmT2_T3_mT4_P12ihipStream_tbEUlmE_dEESB_NS0_8identityIvEEEESJ_SM_SN_mSO_SQ_bEUlT_E_NS1_11comp_targetILNS1_3genE10ELNS1_11target_archE1201ELNS1_3gpuE5ELNS1_3repE0EEENS1_30default_config_static_selectorELNS0_4arch9wavefront6targetE0EEEvT1_.kd
    .uniform_work_group_size: 1
    .uses_dynamic_stack: false
    .vgpr_count:     0
    .vgpr_spill_count: 0
    .wavefront_size: 32
    .workgroup_processor_mode: 1
  - .args:
      - .offset:         0
        .size:           56
        .value_kind:     by_value
    .group_segment_fixed_size: 0
    .kernarg_segment_align: 8
    .kernarg_segment_size: 56
    .language:       OpenCL C
    .language_version:
      - 2
      - 0
    .max_flat_workgroup_size: 512
    .name:           _ZN7rocprim17ROCPRIM_400000_NS6detail17trampoline_kernelINS0_14default_configENS1_25transform_config_selectorIdLb0EEEZNS1_14transform_implILb0ES3_S5_NS0_18transform_iteratorINS0_17counting_iteratorImlEEZNS1_24adjacent_difference_implIS3_Lb1ELb0EPdN6thrust23THRUST_200600_302600_NS16discard_iteratorINSD_11use_defaultEEENSD_5minusIdEEEE10hipError_tPvRmT2_T3_mT4_P12ihipStream_tbEUlmE_dEESB_NS0_8identityIvEEEESJ_SM_SN_mSO_SQ_bEUlT_E_NS1_11comp_targetILNS1_3genE10ELNS1_11target_archE1200ELNS1_3gpuE4ELNS1_3repE0EEENS1_30default_config_static_selectorELNS0_4arch9wavefront6targetE0EEEvT1_
    .private_segment_fixed_size: 0
    .sgpr_count:     0
    .sgpr_spill_count: 0
    .symbol:         _ZN7rocprim17ROCPRIM_400000_NS6detail17trampoline_kernelINS0_14default_configENS1_25transform_config_selectorIdLb0EEEZNS1_14transform_implILb0ES3_S5_NS0_18transform_iteratorINS0_17counting_iteratorImlEEZNS1_24adjacent_difference_implIS3_Lb1ELb0EPdN6thrust23THRUST_200600_302600_NS16discard_iteratorINSD_11use_defaultEEENSD_5minusIdEEEE10hipError_tPvRmT2_T3_mT4_P12ihipStream_tbEUlmE_dEESB_NS0_8identityIvEEEESJ_SM_SN_mSO_SQ_bEUlT_E_NS1_11comp_targetILNS1_3genE10ELNS1_11target_archE1200ELNS1_3gpuE4ELNS1_3repE0EEENS1_30default_config_static_selectorELNS0_4arch9wavefront6targetE0EEEvT1_.kd
    .uniform_work_group_size: 1
    .uses_dynamic_stack: false
    .vgpr_count:     0
    .vgpr_spill_count: 0
    .wavefront_size: 32
    .workgroup_processor_mode: 1
  - .args:
      - .offset:         0
        .size:           56
        .value_kind:     by_value
      - .offset:         56
        .size:           4
        .value_kind:     hidden_block_count_x
      - .offset:         60
        .size:           4
        .value_kind:     hidden_block_count_y
      - .offset:         64
        .size:           4
        .value_kind:     hidden_block_count_z
      - .offset:         68
        .size:           2
        .value_kind:     hidden_group_size_x
      - .offset:         70
        .size:           2
        .value_kind:     hidden_group_size_y
      - .offset:         72
        .size:           2
        .value_kind:     hidden_group_size_z
      - .offset:         74
        .size:           2
        .value_kind:     hidden_remainder_x
      - .offset:         76
        .size:           2
        .value_kind:     hidden_remainder_y
      - .offset:         78
        .size:           2
        .value_kind:     hidden_remainder_z
      - .offset:         96
        .size:           8
        .value_kind:     hidden_global_offset_x
      - .offset:         104
        .size:           8
        .value_kind:     hidden_global_offset_y
      - .offset:         112
        .size:           8
        .value_kind:     hidden_global_offset_z
      - .offset:         120
        .size:           2
        .value_kind:     hidden_grid_dims
    .group_segment_fixed_size: 0
    .kernarg_segment_align: 8
    .kernarg_segment_size: 312
    .language:       OpenCL C
    .language_version:
      - 2
      - 0
    .max_flat_workgroup_size: 512
    .name:           _ZN7rocprim17ROCPRIM_400000_NS6detail17trampoline_kernelINS0_14default_configENS1_25transform_config_selectorIdLb0EEEZNS1_14transform_implILb0ES3_S5_NS0_18transform_iteratorINS0_17counting_iteratorImlEEZNS1_24adjacent_difference_implIS3_Lb1ELb0EPdN6thrust23THRUST_200600_302600_NS16discard_iteratorINSD_11use_defaultEEENSD_5minusIdEEEE10hipError_tPvRmT2_T3_mT4_P12ihipStream_tbEUlmE_dEESB_NS0_8identityIvEEEESJ_SM_SN_mSO_SQ_bEUlT_E_NS1_11comp_targetILNS1_3genE9ELNS1_11target_archE1100ELNS1_3gpuE3ELNS1_3repE0EEENS1_30default_config_static_selectorELNS0_4arch9wavefront6targetE0EEEvT1_
    .private_segment_fixed_size: 0
    .sgpr_count:     18
    .sgpr_spill_count: 0
    .symbol:         _ZN7rocprim17ROCPRIM_400000_NS6detail17trampoline_kernelINS0_14default_configENS1_25transform_config_selectorIdLb0EEEZNS1_14transform_implILb0ES3_S5_NS0_18transform_iteratorINS0_17counting_iteratorImlEEZNS1_24adjacent_difference_implIS3_Lb1ELb0EPdN6thrust23THRUST_200600_302600_NS16discard_iteratorINSD_11use_defaultEEENSD_5minusIdEEEE10hipError_tPvRmT2_T3_mT4_P12ihipStream_tbEUlmE_dEESB_NS0_8identityIvEEEESJ_SM_SN_mSO_SQ_bEUlT_E_NS1_11comp_targetILNS1_3genE9ELNS1_11target_archE1100ELNS1_3gpuE3ELNS1_3repE0EEENS1_30default_config_static_selectorELNS0_4arch9wavefront6targetE0EEEvT1_.kd
    .uniform_work_group_size: 1
    .uses_dynamic_stack: false
    .vgpr_count:     6
    .vgpr_spill_count: 0
    .wavefront_size: 32
    .workgroup_processor_mode: 1
  - .args:
      - .offset:         0
        .size:           56
        .value_kind:     by_value
    .group_segment_fixed_size: 0
    .kernarg_segment_align: 8
    .kernarg_segment_size: 56
    .language:       OpenCL C
    .language_version:
      - 2
      - 0
    .max_flat_workgroup_size: 512
    .name:           _ZN7rocprim17ROCPRIM_400000_NS6detail17trampoline_kernelINS0_14default_configENS1_25transform_config_selectorIdLb0EEEZNS1_14transform_implILb0ES3_S5_NS0_18transform_iteratorINS0_17counting_iteratorImlEEZNS1_24adjacent_difference_implIS3_Lb1ELb0EPdN6thrust23THRUST_200600_302600_NS16discard_iteratorINSD_11use_defaultEEENSD_5minusIdEEEE10hipError_tPvRmT2_T3_mT4_P12ihipStream_tbEUlmE_dEESB_NS0_8identityIvEEEESJ_SM_SN_mSO_SQ_bEUlT_E_NS1_11comp_targetILNS1_3genE8ELNS1_11target_archE1030ELNS1_3gpuE2ELNS1_3repE0EEENS1_30default_config_static_selectorELNS0_4arch9wavefront6targetE0EEEvT1_
    .private_segment_fixed_size: 0
    .sgpr_count:     0
    .sgpr_spill_count: 0
    .symbol:         _ZN7rocprim17ROCPRIM_400000_NS6detail17trampoline_kernelINS0_14default_configENS1_25transform_config_selectorIdLb0EEEZNS1_14transform_implILb0ES3_S5_NS0_18transform_iteratorINS0_17counting_iteratorImlEEZNS1_24adjacent_difference_implIS3_Lb1ELb0EPdN6thrust23THRUST_200600_302600_NS16discard_iteratorINSD_11use_defaultEEENSD_5minusIdEEEE10hipError_tPvRmT2_T3_mT4_P12ihipStream_tbEUlmE_dEESB_NS0_8identityIvEEEESJ_SM_SN_mSO_SQ_bEUlT_E_NS1_11comp_targetILNS1_3genE8ELNS1_11target_archE1030ELNS1_3gpuE2ELNS1_3repE0EEENS1_30default_config_static_selectorELNS0_4arch9wavefront6targetE0EEEvT1_.kd
    .uniform_work_group_size: 1
    .uses_dynamic_stack: false
    .vgpr_count:     0
    .vgpr_spill_count: 0
    .wavefront_size: 32
    .workgroup_processor_mode: 1
  - .args:
      - .offset:         0
        .size:           64
        .value_kind:     by_value
    .group_segment_fixed_size: 0
    .kernarg_segment_align: 8
    .kernarg_segment_size: 64
    .language:       OpenCL C
    .language_version:
      - 2
      - 0
    .max_flat_workgroup_size: 512
    .name:           _ZN7rocprim17ROCPRIM_400000_NS6detail17trampoline_kernelINS0_14default_configENS1_35adjacent_difference_config_selectorILb1EdEEZNS1_24adjacent_difference_implIS3_Lb1ELb0EPdN6thrust23THRUST_200600_302600_NS16discard_iteratorINS9_11use_defaultEEENS9_5minusIdEEEE10hipError_tPvRmT2_T3_mT4_P12ihipStream_tbEUlT_E_NS1_11comp_targetILNS1_3genE0ELNS1_11target_archE4294967295ELNS1_3gpuE0ELNS1_3repE0EEENS1_30default_config_static_selectorELNS0_4arch9wavefront6targetE0EEEvT1_
    .private_segment_fixed_size: 0
    .sgpr_count:     0
    .sgpr_spill_count: 0
    .symbol:         _ZN7rocprim17ROCPRIM_400000_NS6detail17trampoline_kernelINS0_14default_configENS1_35adjacent_difference_config_selectorILb1EdEEZNS1_24adjacent_difference_implIS3_Lb1ELb0EPdN6thrust23THRUST_200600_302600_NS16discard_iteratorINS9_11use_defaultEEENS9_5minusIdEEEE10hipError_tPvRmT2_T3_mT4_P12ihipStream_tbEUlT_E_NS1_11comp_targetILNS1_3genE0ELNS1_11target_archE4294967295ELNS1_3gpuE0ELNS1_3repE0EEENS1_30default_config_static_selectorELNS0_4arch9wavefront6targetE0EEEvT1_.kd
    .uniform_work_group_size: 1
    .uses_dynamic_stack: false
    .vgpr_count:     0
    .vgpr_spill_count: 0
    .wavefront_size: 32
    .workgroup_processor_mode: 1
  - .args:
      - .offset:         0
        .size:           64
        .value_kind:     by_value
    .group_segment_fixed_size: 0
    .kernarg_segment_align: 8
    .kernarg_segment_size: 64
    .language:       OpenCL C
    .language_version:
      - 2
      - 0
    .max_flat_workgroup_size: 256
    .name:           _ZN7rocprim17ROCPRIM_400000_NS6detail17trampoline_kernelINS0_14default_configENS1_35adjacent_difference_config_selectorILb1EdEEZNS1_24adjacent_difference_implIS3_Lb1ELb0EPdN6thrust23THRUST_200600_302600_NS16discard_iteratorINS9_11use_defaultEEENS9_5minusIdEEEE10hipError_tPvRmT2_T3_mT4_P12ihipStream_tbEUlT_E_NS1_11comp_targetILNS1_3genE10ELNS1_11target_archE1201ELNS1_3gpuE5ELNS1_3repE0EEENS1_30default_config_static_selectorELNS0_4arch9wavefront6targetE0EEEvT1_
    .private_segment_fixed_size: 0
    .sgpr_count:     0
    .sgpr_spill_count: 0
    .symbol:         _ZN7rocprim17ROCPRIM_400000_NS6detail17trampoline_kernelINS0_14default_configENS1_35adjacent_difference_config_selectorILb1EdEEZNS1_24adjacent_difference_implIS3_Lb1ELb0EPdN6thrust23THRUST_200600_302600_NS16discard_iteratorINS9_11use_defaultEEENS9_5minusIdEEEE10hipError_tPvRmT2_T3_mT4_P12ihipStream_tbEUlT_E_NS1_11comp_targetILNS1_3genE10ELNS1_11target_archE1201ELNS1_3gpuE5ELNS1_3repE0EEENS1_30default_config_static_selectorELNS0_4arch9wavefront6targetE0EEEvT1_.kd
    .uniform_work_group_size: 1
    .uses_dynamic_stack: false
    .vgpr_count:     0
    .vgpr_spill_count: 0
    .wavefront_size: 32
    .workgroup_processor_mode: 1
  - .args:
      - .offset:         0
        .size:           64
        .value_kind:     by_value
    .group_segment_fixed_size: 0
    .kernarg_segment_align: 8
    .kernarg_segment_size: 64
    .language:       OpenCL C
    .language_version:
      - 2
      - 0
    .max_flat_workgroup_size: 128
    .name:           _ZN7rocprim17ROCPRIM_400000_NS6detail17trampoline_kernelINS0_14default_configENS1_35adjacent_difference_config_selectorILb1EdEEZNS1_24adjacent_difference_implIS3_Lb1ELb0EPdN6thrust23THRUST_200600_302600_NS16discard_iteratorINS9_11use_defaultEEENS9_5minusIdEEEE10hipError_tPvRmT2_T3_mT4_P12ihipStream_tbEUlT_E_NS1_11comp_targetILNS1_3genE5ELNS1_11target_archE942ELNS1_3gpuE9ELNS1_3repE0EEENS1_30default_config_static_selectorELNS0_4arch9wavefront6targetE0EEEvT1_
    .private_segment_fixed_size: 0
    .sgpr_count:     0
    .sgpr_spill_count: 0
    .symbol:         _ZN7rocprim17ROCPRIM_400000_NS6detail17trampoline_kernelINS0_14default_configENS1_35adjacent_difference_config_selectorILb1EdEEZNS1_24adjacent_difference_implIS3_Lb1ELb0EPdN6thrust23THRUST_200600_302600_NS16discard_iteratorINS9_11use_defaultEEENS9_5minusIdEEEE10hipError_tPvRmT2_T3_mT4_P12ihipStream_tbEUlT_E_NS1_11comp_targetILNS1_3genE5ELNS1_11target_archE942ELNS1_3gpuE9ELNS1_3repE0EEENS1_30default_config_static_selectorELNS0_4arch9wavefront6targetE0EEEvT1_.kd
    .uniform_work_group_size: 1
    .uses_dynamic_stack: false
    .vgpr_count:     0
    .vgpr_spill_count: 0
    .wavefront_size: 32
    .workgroup_processor_mode: 1
  - .args:
      - .offset:         0
        .size:           64
        .value_kind:     by_value
    .group_segment_fixed_size: 0
    .kernarg_segment_align: 8
    .kernarg_segment_size: 64
    .language:       OpenCL C
    .language_version:
      - 2
      - 0
    .max_flat_workgroup_size: 512
    .name:           _ZN7rocprim17ROCPRIM_400000_NS6detail17trampoline_kernelINS0_14default_configENS1_35adjacent_difference_config_selectorILb1EdEEZNS1_24adjacent_difference_implIS3_Lb1ELb0EPdN6thrust23THRUST_200600_302600_NS16discard_iteratorINS9_11use_defaultEEENS9_5minusIdEEEE10hipError_tPvRmT2_T3_mT4_P12ihipStream_tbEUlT_E_NS1_11comp_targetILNS1_3genE4ELNS1_11target_archE910ELNS1_3gpuE8ELNS1_3repE0EEENS1_30default_config_static_selectorELNS0_4arch9wavefront6targetE0EEEvT1_
    .private_segment_fixed_size: 0
    .sgpr_count:     0
    .sgpr_spill_count: 0
    .symbol:         _ZN7rocprim17ROCPRIM_400000_NS6detail17trampoline_kernelINS0_14default_configENS1_35adjacent_difference_config_selectorILb1EdEEZNS1_24adjacent_difference_implIS3_Lb1ELb0EPdN6thrust23THRUST_200600_302600_NS16discard_iteratorINS9_11use_defaultEEENS9_5minusIdEEEE10hipError_tPvRmT2_T3_mT4_P12ihipStream_tbEUlT_E_NS1_11comp_targetILNS1_3genE4ELNS1_11target_archE910ELNS1_3gpuE8ELNS1_3repE0EEENS1_30default_config_static_selectorELNS0_4arch9wavefront6targetE0EEEvT1_.kd
    .uniform_work_group_size: 1
    .uses_dynamic_stack: false
    .vgpr_count:     0
    .vgpr_spill_count: 0
    .wavefront_size: 32
    .workgroup_processor_mode: 1
  - .args:
      - .offset:         0
        .size:           64
        .value_kind:     by_value
    .group_segment_fixed_size: 0
    .kernarg_segment_align: 8
    .kernarg_segment_size: 64
    .language:       OpenCL C
    .language_version:
      - 2
      - 0
    .max_flat_workgroup_size: 512
    .name:           _ZN7rocprim17ROCPRIM_400000_NS6detail17trampoline_kernelINS0_14default_configENS1_35adjacent_difference_config_selectorILb1EdEEZNS1_24adjacent_difference_implIS3_Lb1ELb0EPdN6thrust23THRUST_200600_302600_NS16discard_iteratorINS9_11use_defaultEEENS9_5minusIdEEEE10hipError_tPvRmT2_T3_mT4_P12ihipStream_tbEUlT_E_NS1_11comp_targetILNS1_3genE3ELNS1_11target_archE908ELNS1_3gpuE7ELNS1_3repE0EEENS1_30default_config_static_selectorELNS0_4arch9wavefront6targetE0EEEvT1_
    .private_segment_fixed_size: 0
    .sgpr_count:     0
    .sgpr_spill_count: 0
    .symbol:         _ZN7rocprim17ROCPRIM_400000_NS6detail17trampoline_kernelINS0_14default_configENS1_35adjacent_difference_config_selectorILb1EdEEZNS1_24adjacent_difference_implIS3_Lb1ELb0EPdN6thrust23THRUST_200600_302600_NS16discard_iteratorINS9_11use_defaultEEENS9_5minusIdEEEE10hipError_tPvRmT2_T3_mT4_P12ihipStream_tbEUlT_E_NS1_11comp_targetILNS1_3genE3ELNS1_11target_archE908ELNS1_3gpuE7ELNS1_3repE0EEENS1_30default_config_static_selectorELNS0_4arch9wavefront6targetE0EEEvT1_.kd
    .uniform_work_group_size: 1
    .uses_dynamic_stack: false
    .vgpr_count:     0
    .vgpr_spill_count: 0
    .wavefront_size: 32
    .workgroup_processor_mode: 1
  - .args:
      - .offset:         0
        .size:           64
        .value_kind:     by_value
    .group_segment_fixed_size: 0
    .kernarg_segment_align: 8
    .kernarg_segment_size: 64
    .language:       OpenCL C
    .language_version:
      - 2
      - 0
    .max_flat_workgroup_size: 128
    .name:           _ZN7rocprim17ROCPRIM_400000_NS6detail17trampoline_kernelINS0_14default_configENS1_35adjacent_difference_config_selectorILb1EdEEZNS1_24adjacent_difference_implIS3_Lb1ELb0EPdN6thrust23THRUST_200600_302600_NS16discard_iteratorINS9_11use_defaultEEENS9_5minusIdEEEE10hipError_tPvRmT2_T3_mT4_P12ihipStream_tbEUlT_E_NS1_11comp_targetILNS1_3genE2ELNS1_11target_archE906ELNS1_3gpuE6ELNS1_3repE0EEENS1_30default_config_static_selectorELNS0_4arch9wavefront6targetE0EEEvT1_
    .private_segment_fixed_size: 0
    .sgpr_count:     0
    .sgpr_spill_count: 0
    .symbol:         _ZN7rocprim17ROCPRIM_400000_NS6detail17trampoline_kernelINS0_14default_configENS1_35adjacent_difference_config_selectorILb1EdEEZNS1_24adjacent_difference_implIS3_Lb1ELb0EPdN6thrust23THRUST_200600_302600_NS16discard_iteratorINS9_11use_defaultEEENS9_5minusIdEEEE10hipError_tPvRmT2_T3_mT4_P12ihipStream_tbEUlT_E_NS1_11comp_targetILNS1_3genE2ELNS1_11target_archE906ELNS1_3gpuE6ELNS1_3repE0EEENS1_30default_config_static_selectorELNS0_4arch9wavefront6targetE0EEEvT1_.kd
    .uniform_work_group_size: 1
    .uses_dynamic_stack: false
    .vgpr_count:     0
    .vgpr_spill_count: 0
    .wavefront_size: 32
    .workgroup_processor_mode: 1
  - .args:
      - .offset:         0
        .size:           64
        .value_kind:     by_value
    .group_segment_fixed_size: 29696
    .kernarg_segment_align: 8
    .kernarg_segment_size: 64
    .language:       OpenCL C
    .language_version:
      - 2
      - 0
    .max_flat_workgroup_size: 128
    .name:           _ZN7rocprim17ROCPRIM_400000_NS6detail17trampoline_kernelINS0_14default_configENS1_35adjacent_difference_config_selectorILb1EdEEZNS1_24adjacent_difference_implIS3_Lb1ELb0EPdN6thrust23THRUST_200600_302600_NS16discard_iteratorINS9_11use_defaultEEENS9_5minusIdEEEE10hipError_tPvRmT2_T3_mT4_P12ihipStream_tbEUlT_E_NS1_11comp_targetILNS1_3genE9ELNS1_11target_archE1100ELNS1_3gpuE3ELNS1_3repE0EEENS1_30default_config_static_selectorELNS0_4arch9wavefront6targetE0EEEvT1_
    .private_segment_fixed_size: 0
    .sgpr_count:     20
    .sgpr_spill_count: 0
    .symbol:         _ZN7rocprim17ROCPRIM_400000_NS6detail17trampoline_kernelINS0_14default_configENS1_35adjacent_difference_config_selectorILb1EdEEZNS1_24adjacent_difference_implIS3_Lb1ELb0EPdN6thrust23THRUST_200600_302600_NS16discard_iteratorINS9_11use_defaultEEENS9_5minusIdEEEE10hipError_tPvRmT2_T3_mT4_P12ihipStream_tbEUlT_E_NS1_11comp_targetILNS1_3genE9ELNS1_11target_archE1100ELNS1_3gpuE3ELNS1_3repE0EEENS1_30default_config_static_selectorELNS0_4arch9wavefront6targetE0EEEvT1_.kd
    .uniform_work_group_size: 1
    .uses_dynamic_stack: false
    .vgpr_count:     148
    .vgpr_spill_count: 0
    .wavefront_size: 32
    .workgroup_processor_mode: 1
  - .args:
      - .offset:         0
        .size:           64
        .value_kind:     by_value
    .group_segment_fixed_size: 0
    .kernarg_segment_align: 8
    .kernarg_segment_size: 64
    .language:       OpenCL C
    .language_version:
      - 2
      - 0
    .max_flat_workgroup_size: 32
    .name:           _ZN7rocprim17ROCPRIM_400000_NS6detail17trampoline_kernelINS0_14default_configENS1_35adjacent_difference_config_selectorILb1EdEEZNS1_24adjacent_difference_implIS3_Lb1ELb0EPdN6thrust23THRUST_200600_302600_NS16discard_iteratorINS9_11use_defaultEEENS9_5minusIdEEEE10hipError_tPvRmT2_T3_mT4_P12ihipStream_tbEUlT_E_NS1_11comp_targetILNS1_3genE8ELNS1_11target_archE1030ELNS1_3gpuE2ELNS1_3repE0EEENS1_30default_config_static_selectorELNS0_4arch9wavefront6targetE0EEEvT1_
    .private_segment_fixed_size: 0
    .sgpr_count:     0
    .sgpr_spill_count: 0
    .symbol:         _ZN7rocprim17ROCPRIM_400000_NS6detail17trampoline_kernelINS0_14default_configENS1_35adjacent_difference_config_selectorILb1EdEEZNS1_24adjacent_difference_implIS3_Lb1ELb0EPdN6thrust23THRUST_200600_302600_NS16discard_iteratorINS9_11use_defaultEEENS9_5minusIdEEEE10hipError_tPvRmT2_T3_mT4_P12ihipStream_tbEUlT_E_NS1_11comp_targetILNS1_3genE8ELNS1_11target_archE1030ELNS1_3gpuE2ELNS1_3repE0EEENS1_30default_config_static_selectorELNS0_4arch9wavefront6targetE0EEEvT1_.kd
    .uniform_work_group_size: 1
    .uses_dynamic_stack: false
    .vgpr_count:     0
    .vgpr_spill_count: 0
    .wavefront_size: 32
    .workgroup_processor_mode: 1
  - .args:
      - .offset:         0
        .size:           56
        .value_kind:     by_value
    .group_segment_fixed_size: 0
    .kernarg_segment_align: 8
    .kernarg_segment_size: 56
    .language:       OpenCL C
    .language_version:
      - 2
      - 0
    .max_flat_workgroup_size: 128
    .name:           _ZN7rocprim17ROCPRIM_400000_NS6detail17trampoline_kernelINS0_14default_configENS1_25transform_config_selectorIfLb0EEEZNS1_14transform_implILb0ES3_S5_NS0_18transform_iteratorINS0_17counting_iteratorImlEEZNS1_24adjacent_difference_implIS3_Lb1ELb0EPfN6thrust23THRUST_200600_302600_NS16discard_iteratorINSD_11use_defaultEEENSD_5minusIfEEEE10hipError_tPvRmT2_T3_mT4_P12ihipStream_tbEUlmE_fEESB_NS0_8identityIvEEEESJ_SM_SN_mSO_SQ_bEUlT_E_NS1_11comp_targetILNS1_3genE0ELNS1_11target_archE4294967295ELNS1_3gpuE0ELNS1_3repE0EEENS1_30default_config_static_selectorELNS0_4arch9wavefront6targetE0EEEvT1_
    .private_segment_fixed_size: 0
    .sgpr_count:     0
    .sgpr_spill_count: 0
    .symbol:         _ZN7rocprim17ROCPRIM_400000_NS6detail17trampoline_kernelINS0_14default_configENS1_25transform_config_selectorIfLb0EEEZNS1_14transform_implILb0ES3_S5_NS0_18transform_iteratorINS0_17counting_iteratorImlEEZNS1_24adjacent_difference_implIS3_Lb1ELb0EPfN6thrust23THRUST_200600_302600_NS16discard_iteratorINSD_11use_defaultEEENSD_5minusIfEEEE10hipError_tPvRmT2_T3_mT4_P12ihipStream_tbEUlmE_fEESB_NS0_8identityIvEEEESJ_SM_SN_mSO_SQ_bEUlT_E_NS1_11comp_targetILNS1_3genE0ELNS1_11target_archE4294967295ELNS1_3gpuE0ELNS1_3repE0EEENS1_30default_config_static_selectorELNS0_4arch9wavefront6targetE0EEEvT1_.kd
    .uniform_work_group_size: 1
    .uses_dynamic_stack: false
    .vgpr_count:     0
    .vgpr_spill_count: 0
    .wavefront_size: 32
    .workgroup_processor_mode: 1
  - .args:
      - .offset:         0
        .size:           56
        .value_kind:     by_value
    .group_segment_fixed_size: 0
    .kernarg_segment_align: 8
    .kernarg_segment_size: 56
    .language:       OpenCL C
    .language_version:
      - 2
      - 0
    .max_flat_workgroup_size: 256
    .name:           _ZN7rocprim17ROCPRIM_400000_NS6detail17trampoline_kernelINS0_14default_configENS1_25transform_config_selectorIfLb0EEEZNS1_14transform_implILb0ES3_S5_NS0_18transform_iteratorINS0_17counting_iteratorImlEEZNS1_24adjacent_difference_implIS3_Lb1ELb0EPfN6thrust23THRUST_200600_302600_NS16discard_iteratorINSD_11use_defaultEEENSD_5minusIfEEEE10hipError_tPvRmT2_T3_mT4_P12ihipStream_tbEUlmE_fEESB_NS0_8identityIvEEEESJ_SM_SN_mSO_SQ_bEUlT_E_NS1_11comp_targetILNS1_3genE5ELNS1_11target_archE942ELNS1_3gpuE9ELNS1_3repE0EEENS1_30default_config_static_selectorELNS0_4arch9wavefront6targetE0EEEvT1_
    .private_segment_fixed_size: 0
    .sgpr_count:     0
    .sgpr_spill_count: 0
    .symbol:         _ZN7rocprim17ROCPRIM_400000_NS6detail17trampoline_kernelINS0_14default_configENS1_25transform_config_selectorIfLb0EEEZNS1_14transform_implILb0ES3_S5_NS0_18transform_iteratorINS0_17counting_iteratorImlEEZNS1_24adjacent_difference_implIS3_Lb1ELb0EPfN6thrust23THRUST_200600_302600_NS16discard_iteratorINSD_11use_defaultEEENSD_5minusIfEEEE10hipError_tPvRmT2_T3_mT4_P12ihipStream_tbEUlmE_fEESB_NS0_8identityIvEEEESJ_SM_SN_mSO_SQ_bEUlT_E_NS1_11comp_targetILNS1_3genE5ELNS1_11target_archE942ELNS1_3gpuE9ELNS1_3repE0EEENS1_30default_config_static_selectorELNS0_4arch9wavefront6targetE0EEEvT1_.kd
    .uniform_work_group_size: 1
    .uses_dynamic_stack: false
    .vgpr_count:     0
    .vgpr_spill_count: 0
    .wavefront_size: 32
    .workgroup_processor_mode: 1
  - .args:
      - .offset:         0
        .size:           56
        .value_kind:     by_value
    .group_segment_fixed_size: 0
    .kernarg_segment_align: 8
    .kernarg_segment_size: 56
    .language:       OpenCL C
    .language_version:
      - 2
      - 0
    .max_flat_workgroup_size: 1024
    .name:           _ZN7rocprim17ROCPRIM_400000_NS6detail17trampoline_kernelINS0_14default_configENS1_25transform_config_selectorIfLb0EEEZNS1_14transform_implILb0ES3_S5_NS0_18transform_iteratorINS0_17counting_iteratorImlEEZNS1_24adjacent_difference_implIS3_Lb1ELb0EPfN6thrust23THRUST_200600_302600_NS16discard_iteratorINSD_11use_defaultEEENSD_5minusIfEEEE10hipError_tPvRmT2_T3_mT4_P12ihipStream_tbEUlmE_fEESB_NS0_8identityIvEEEESJ_SM_SN_mSO_SQ_bEUlT_E_NS1_11comp_targetILNS1_3genE4ELNS1_11target_archE910ELNS1_3gpuE8ELNS1_3repE0EEENS1_30default_config_static_selectorELNS0_4arch9wavefront6targetE0EEEvT1_
    .private_segment_fixed_size: 0
    .sgpr_count:     0
    .sgpr_spill_count: 0
    .symbol:         _ZN7rocprim17ROCPRIM_400000_NS6detail17trampoline_kernelINS0_14default_configENS1_25transform_config_selectorIfLb0EEEZNS1_14transform_implILb0ES3_S5_NS0_18transform_iteratorINS0_17counting_iteratorImlEEZNS1_24adjacent_difference_implIS3_Lb1ELb0EPfN6thrust23THRUST_200600_302600_NS16discard_iteratorINSD_11use_defaultEEENSD_5minusIfEEEE10hipError_tPvRmT2_T3_mT4_P12ihipStream_tbEUlmE_fEESB_NS0_8identityIvEEEESJ_SM_SN_mSO_SQ_bEUlT_E_NS1_11comp_targetILNS1_3genE4ELNS1_11target_archE910ELNS1_3gpuE8ELNS1_3repE0EEENS1_30default_config_static_selectorELNS0_4arch9wavefront6targetE0EEEvT1_.kd
    .uniform_work_group_size: 1
    .uses_dynamic_stack: false
    .vgpr_count:     0
    .vgpr_spill_count: 0
    .wavefront_size: 32
    .workgroup_processor_mode: 1
  - .args:
      - .offset:         0
        .size:           56
        .value_kind:     by_value
    .group_segment_fixed_size: 0
    .kernarg_segment_align: 8
    .kernarg_segment_size: 56
    .language:       OpenCL C
    .language_version:
      - 2
      - 0
    .max_flat_workgroup_size: 128
    .name:           _ZN7rocprim17ROCPRIM_400000_NS6detail17trampoline_kernelINS0_14default_configENS1_25transform_config_selectorIfLb0EEEZNS1_14transform_implILb0ES3_S5_NS0_18transform_iteratorINS0_17counting_iteratorImlEEZNS1_24adjacent_difference_implIS3_Lb1ELb0EPfN6thrust23THRUST_200600_302600_NS16discard_iteratorINSD_11use_defaultEEENSD_5minusIfEEEE10hipError_tPvRmT2_T3_mT4_P12ihipStream_tbEUlmE_fEESB_NS0_8identityIvEEEESJ_SM_SN_mSO_SQ_bEUlT_E_NS1_11comp_targetILNS1_3genE3ELNS1_11target_archE908ELNS1_3gpuE7ELNS1_3repE0EEENS1_30default_config_static_selectorELNS0_4arch9wavefront6targetE0EEEvT1_
    .private_segment_fixed_size: 0
    .sgpr_count:     0
    .sgpr_spill_count: 0
    .symbol:         _ZN7rocprim17ROCPRIM_400000_NS6detail17trampoline_kernelINS0_14default_configENS1_25transform_config_selectorIfLb0EEEZNS1_14transform_implILb0ES3_S5_NS0_18transform_iteratorINS0_17counting_iteratorImlEEZNS1_24adjacent_difference_implIS3_Lb1ELb0EPfN6thrust23THRUST_200600_302600_NS16discard_iteratorINSD_11use_defaultEEENSD_5minusIfEEEE10hipError_tPvRmT2_T3_mT4_P12ihipStream_tbEUlmE_fEESB_NS0_8identityIvEEEESJ_SM_SN_mSO_SQ_bEUlT_E_NS1_11comp_targetILNS1_3genE3ELNS1_11target_archE908ELNS1_3gpuE7ELNS1_3repE0EEENS1_30default_config_static_selectorELNS0_4arch9wavefront6targetE0EEEvT1_.kd
    .uniform_work_group_size: 1
    .uses_dynamic_stack: false
    .vgpr_count:     0
    .vgpr_spill_count: 0
    .wavefront_size: 32
    .workgroup_processor_mode: 1
  - .args:
      - .offset:         0
        .size:           56
        .value_kind:     by_value
    .group_segment_fixed_size: 0
    .kernarg_segment_align: 8
    .kernarg_segment_size: 56
    .language:       OpenCL C
    .language_version:
      - 2
      - 0
    .max_flat_workgroup_size: 1024
    .name:           _ZN7rocprim17ROCPRIM_400000_NS6detail17trampoline_kernelINS0_14default_configENS1_25transform_config_selectorIfLb0EEEZNS1_14transform_implILb0ES3_S5_NS0_18transform_iteratorINS0_17counting_iteratorImlEEZNS1_24adjacent_difference_implIS3_Lb1ELb0EPfN6thrust23THRUST_200600_302600_NS16discard_iteratorINSD_11use_defaultEEENSD_5minusIfEEEE10hipError_tPvRmT2_T3_mT4_P12ihipStream_tbEUlmE_fEESB_NS0_8identityIvEEEESJ_SM_SN_mSO_SQ_bEUlT_E_NS1_11comp_targetILNS1_3genE2ELNS1_11target_archE906ELNS1_3gpuE6ELNS1_3repE0EEENS1_30default_config_static_selectorELNS0_4arch9wavefront6targetE0EEEvT1_
    .private_segment_fixed_size: 0
    .sgpr_count:     0
    .sgpr_spill_count: 0
    .symbol:         _ZN7rocprim17ROCPRIM_400000_NS6detail17trampoline_kernelINS0_14default_configENS1_25transform_config_selectorIfLb0EEEZNS1_14transform_implILb0ES3_S5_NS0_18transform_iteratorINS0_17counting_iteratorImlEEZNS1_24adjacent_difference_implIS3_Lb1ELb0EPfN6thrust23THRUST_200600_302600_NS16discard_iteratorINSD_11use_defaultEEENSD_5minusIfEEEE10hipError_tPvRmT2_T3_mT4_P12ihipStream_tbEUlmE_fEESB_NS0_8identityIvEEEESJ_SM_SN_mSO_SQ_bEUlT_E_NS1_11comp_targetILNS1_3genE2ELNS1_11target_archE906ELNS1_3gpuE6ELNS1_3repE0EEENS1_30default_config_static_selectorELNS0_4arch9wavefront6targetE0EEEvT1_.kd
    .uniform_work_group_size: 1
    .uses_dynamic_stack: false
    .vgpr_count:     0
    .vgpr_spill_count: 0
    .wavefront_size: 32
    .workgroup_processor_mode: 1
  - .args:
      - .offset:         0
        .size:           56
        .value_kind:     by_value
    .group_segment_fixed_size: 0
    .kernarg_segment_align: 8
    .kernarg_segment_size: 56
    .language:       OpenCL C
    .language_version:
      - 2
      - 0
    .max_flat_workgroup_size: 512
    .name:           _ZN7rocprim17ROCPRIM_400000_NS6detail17trampoline_kernelINS0_14default_configENS1_25transform_config_selectorIfLb0EEEZNS1_14transform_implILb0ES3_S5_NS0_18transform_iteratorINS0_17counting_iteratorImlEEZNS1_24adjacent_difference_implIS3_Lb1ELb0EPfN6thrust23THRUST_200600_302600_NS16discard_iteratorINSD_11use_defaultEEENSD_5minusIfEEEE10hipError_tPvRmT2_T3_mT4_P12ihipStream_tbEUlmE_fEESB_NS0_8identityIvEEEESJ_SM_SN_mSO_SQ_bEUlT_E_NS1_11comp_targetILNS1_3genE10ELNS1_11target_archE1201ELNS1_3gpuE5ELNS1_3repE0EEENS1_30default_config_static_selectorELNS0_4arch9wavefront6targetE0EEEvT1_
    .private_segment_fixed_size: 0
    .sgpr_count:     0
    .sgpr_spill_count: 0
    .symbol:         _ZN7rocprim17ROCPRIM_400000_NS6detail17trampoline_kernelINS0_14default_configENS1_25transform_config_selectorIfLb0EEEZNS1_14transform_implILb0ES3_S5_NS0_18transform_iteratorINS0_17counting_iteratorImlEEZNS1_24adjacent_difference_implIS3_Lb1ELb0EPfN6thrust23THRUST_200600_302600_NS16discard_iteratorINSD_11use_defaultEEENSD_5minusIfEEEE10hipError_tPvRmT2_T3_mT4_P12ihipStream_tbEUlmE_fEESB_NS0_8identityIvEEEESJ_SM_SN_mSO_SQ_bEUlT_E_NS1_11comp_targetILNS1_3genE10ELNS1_11target_archE1201ELNS1_3gpuE5ELNS1_3repE0EEENS1_30default_config_static_selectorELNS0_4arch9wavefront6targetE0EEEvT1_.kd
    .uniform_work_group_size: 1
    .uses_dynamic_stack: false
    .vgpr_count:     0
    .vgpr_spill_count: 0
    .wavefront_size: 32
    .workgroup_processor_mode: 1
  - .args:
      - .offset:         0
        .size:           56
        .value_kind:     by_value
    .group_segment_fixed_size: 0
    .kernarg_segment_align: 8
    .kernarg_segment_size: 56
    .language:       OpenCL C
    .language_version:
      - 2
      - 0
    .max_flat_workgroup_size: 512
    .name:           _ZN7rocprim17ROCPRIM_400000_NS6detail17trampoline_kernelINS0_14default_configENS1_25transform_config_selectorIfLb0EEEZNS1_14transform_implILb0ES3_S5_NS0_18transform_iteratorINS0_17counting_iteratorImlEEZNS1_24adjacent_difference_implIS3_Lb1ELb0EPfN6thrust23THRUST_200600_302600_NS16discard_iteratorINSD_11use_defaultEEENSD_5minusIfEEEE10hipError_tPvRmT2_T3_mT4_P12ihipStream_tbEUlmE_fEESB_NS0_8identityIvEEEESJ_SM_SN_mSO_SQ_bEUlT_E_NS1_11comp_targetILNS1_3genE10ELNS1_11target_archE1200ELNS1_3gpuE4ELNS1_3repE0EEENS1_30default_config_static_selectorELNS0_4arch9wavefront6targetE0EEEvT1_
    .private_segment_fixed_size: 0
    .sgpr_count:     0
    .sgpr_spill_count: 0
    .symbol:         _ZN7rocprim17ROCPRIM_400000_NS6detail17trampoline_kernelINS0_14default_configENS1_25transform_config_selectorIfLb0EEEZNS1_14transform_implILb0ES3_S5_NS0_18transform_iteratorINS0_17counting_iteratorImlEEZNS1_24adjacent_difference_implIS3_Lb1ELb0EPfN6thrust23THRUST_200600_302600_NS16discard_iteratorINSD_11use_defaultEEENSD_5minusIfEEEE10hipError_tPvRmT2_T3_mT4_P12ihipStream_tbEUlmE_fEESB_NS0_8identityIvEEEESJ_SM_SN_mSO_SQ_bEUlT_E_NS1_11comp_targetILNS1_3genE10ELNS1_11target_archE1200ELNS1_3gpuE4ELNS1_3repE0EEENS1_30default_config_static_selectorELNS0_4arch9wavefront6targetE0EEEvT1_.kd
    .uniform_work_group_size: 1
    .uses_dynamic_stack: false
    .vgpr_count:     0
    .vgpr_spill_count: 0
    .wavefront_size: 32
    .workgroup_processor_mode: 1
  - .args:
      - .offset:         0
        .size:           56
        .value_kind:     by_value
      - .offset:         56
        .size:           4
        .value_kind:     hidden_block_count_x
      - .offset:         60
        .size:           4
        .value_kind:     hidden_block_count_y
      - .offset:         64
        .size:           4
        .value_kind:     hidden_block_count_z
      - .offset:         68
        .size:           2
        .value_kind:     hidden_group_size_x
      - .offset:         70
        .size:           2
        .value_kind:     hidden_group_size_y
      - .offset:         72
        .size:           2
        .value_kind:     hidden_group_size_z
      - .offset:         74
        .size:           2
        .value_kind:     hidden_remainder_x
      - .offset:         76
        .size:           2
        .value_kind:     hidden_remainder_y
      - .offset:         78
        .size:           2
        .value_kind:     hidden_remainder_z
      - .offset:         96
        .size:           8
        .value_kind:     hidden_global_offset_x
      - .offset:         104
        .size:           8
        .value_kind:     hidden_global_offset_y
      - .offset:         112
        .size:           8
        .value_kind:     hidden_global_offset_z
      - .offset:         120
        .size:           2
        .value_kind:     hidden_grid_dims
    .group_segment_fixed_size: 0
    .kernarg_segment_align: 8
    .kernarg_segment_size: 312
    .language:       OpenCL C
    .language_version:
      - 2
      - 0
    .max_flat_workgroup_size: 1024
    .name:           _ZN7rocprim17ROCPRIM_400000_NS6detail17trampoline_kernelINS0_14default_configENS1_25transform_config_selectorIfLb0EEEZNS1_14transform_implILb0ES3_S5_NS0_18transform_iteratorINS0_17counting_iteratorImlEEZNS1_24adjacent_difference_implIS3_Lb1ELb0EPfN6thrust23THRUST_200600_302600_NS16discard_iteratorINSD_11use_defaultEEENSD_5minusIfEEEE10hipError_tPvRmT2_T3_mT4_P12ihipStream_tbEUlmE_fEESB_NS0_8identityIvEEEESJ_SM_SN_mSO_SQ_bEUlT_E_NS1_11comp_targetILNS1_3genE9ELNS1_11target_archE1100ELNS1_3gpuE3ELNS1_3repE0EEENS1_30default_config_static_selectorELNS0_4arch9wavefront6targetE0EEEvT1_
    .private_segment_fixed_size: 0
    .sgpr_count:     18
    .sgpr_spill_count: 0
    .symbol:         _ZN7rocprim17ROCPRIM_400000_NS6detail17trampoline_kernelINS0_14default_configENS1_25transform_config_selectorIfLb0EEEZNS1_14transform_implILb0ES3_S5_NS0_18transform_iteratorINS0_17counting_iteratorImlEEZNS1_24adjacent_difference_implIS3_Lb1ELb0EPfN6thrust23THRUST_200600_302600_NS16discard_iteratorINSD_11use_defaultEEENSD_5minusIfEEEE10hipError_tPvRmT2_T3_mT4_P12ihipStream_tbEUlmE_fEESB_NS0_8identityIvEEEESJ_SM_SN_mSO_SQ_bEUlT_E_NS1_11comp_targetILNS1_3genE9ELNS1_11target_archE1100ELNS1_3gpuE3ELNS1_3repE0EEENS1_30default_config_static_selectorELNS0_4arch9wavefront6targetE0EEEvT1_.kd
    .uniform_work_group_size: 1
    .uses_dynamic_stack: false
    .vgpr_count:     6
    .vgpr_spill_count: 0
    .wavefront_size: 32
    .workgroup_processor_mode: 1
  - .args:
      - .offset:         0
        .size:           56
        .value_kind:     by_value
    .group_segment_fixed_size: 0
    .kernarg_segment_align: 8
    .kernarg_segment_size: 56
    .language:       OpenCL C
    .language_version:
      - 2
      - 0
    .max_flat_workgroup_size: 256
    .name:           _ZN7rocprim17ROCPRIM_400000_NS6detail17trampoline_kernelINS0_14default_configENS1_25transform_config_selectorIfLb0EEEZNS1_14transform_implILb0ES3_S5_NS0_18transform_iteratorINS0_17counting_iteratorImlEEZNS1_24adjacent_difference_implIS3_Lb1ELb0EPfN6thrust23THRUST_200600_302600_NS16discard_iteratorINSD_11use_defaultEEENSD_5minusIfEEEE10hipError_tPvRmT2_T3_mT4_P12ihipStream_tbEUlmE_fEESB_NS0_8identityIvEEEESJ_SM_SN_mSO_SQ_bEUlT_E_NS1_11comp_targetILNS1_3genE8ELNS1_11target_archE1030ELNS1_3gpuE2ELNS1_3repE0EEENS1_30default_config_static_selectorELNS0_4arch9wavefront6targetE0EEEvT1_
    .private_segment_fixed_size: 0
    .sgpr_count:     0
    .sgpr_spill_count: 0
    .symbol:         _ZN7rocprim17ROCPRIM_400000_NS6detail17trampoline_kernelINS0_14default_configENS1_25transform_config_selectorIfLb0EEEZNS1_14transform_implILb0ES3_S5_NS0_18transform_iteratorINS0_17counting_iteratorImlEEZNS1_24adjacent_difference_implIS3_Lb1ELb0EPfN6thrust23THRUST_200600_302600_NS16discard_iteratorINSD_11use_defaultEEENSD_5minusIfEEEE10hipError_tPvRmT2_T3_mT4_P12ihipStream_tbEUlmE_fEESB_NS0_8identityIvEEEESJ_SM_SN_mSO_SQ_bEUlT_E_NS1_11comp_targetILNS1_3genE8ELNS1_11target_archE1030ELNS1_3gpuE2ELNS1_3repE0EEENS1_30default_config_static_selectorELNS0_4arch9wavefront6targetE0EEEvT1_.kd
    .uniform_work_group_size: 1
    .uses_dynamic_stack: false
    .vgpr_count:     0
    .vgpr_spill_count: 0
    .wavefront_size: 32
    .workgroup_processor_mode: 1
  - .args:
      - .offset:         0
        .size:           64
        .value_kind:     by_value
    .group_segment_fixed_size: 0
    .kernarg_segment_align: 8
    .kernarg_segment_size: 64
    .language:       OpenCL C
    .language_version:
      - 2
      - 0
    .max_flat_workgroup_size: 1024
    .name:           _ZN7rocprim17ROCPRIM_400000_NS6detail17trampoline_kernelINS0_14default_configENS1_35adjacent_difference_config_selectorILb1EfEEZNS1_24adjacent_difference_implIS3_Lb1ELb0EPfN6thrust23THRUST_200600_302600_NS16discard_iteratorINS9_11use_defaultEEENS9_5minusIfEEEE10hipError_tPvRmT2_T3_mT4_P12ihipStream_tbEUlT_E_NS1_11comp_targetILNS1_3genE0ELNS1_11target_archE4294967295ELNS1_3gpuE0ELNS1_3repE0EEENS1_30default_config_static_selectorELNS0_4arch9wavefront6targetE0EEEvT1_
    .private_segment_fixed_size: 0
    .sgpr_count:     0
    .sgpr_spill_count: 0
    .symbol:         _ZN7rocprim17ROCPRIM_400000_NS6detail17trampoline_kernelINS0_14default_configENS1_35adjacent_difference_config_selectorILb1EfEEZNS1_24adjacent_difference_implIS3_Lb1ELb0EPfN6thrust23THRUST_200600_302600_NS16discard_iteratorINS9_11use_defaultEEENS9_5minusIfEEEE10hipError_tPvRmT2_T3_mT4_P12ihipStream_tbEUlT_E_NS1_11comp_targetILNS1_3genE0ELNS1_11target_archE4294967295ELNS1_3gpuE0ELNS1_3repE0EEENS1_30default_config_static_selectorELNS0_4arch9wavefront6targetE0EEEvT1_.kd
    .uniform_work_group_size: 1
    .uses_dynamic_stack: false
    .vgpr_count:     0
    .vgpr_spill_count: 0
    .wavefront_size: 32
    .workgroup_processor_mode: 1
  - .args:
      - .offset:         0
        .size:           64
        .value_kind:     by_value
    .group_segment_fixed_size: 0
    .kernarg_segment_align: 8
    .kernarg_segment_size: 64
    .language:       OpenCL C
    .language_version:
      - 2
      - 0
    .max_flat_workgroup_size: 128
    .name:           _ZN7rocprim17ROCPRIM_400000_NS6detail17trampoline_kernelINS0_14default_configENS1_35adjacent_difference_config_selectorILb1EfEEZNS1_24adjacent_difference_implIS3_Lb1ELb0EPfN6thrust23THRUST_200600_302600_NS16discard_iteratorINS9_11use_defaultEEENS9_5minusIfEEEE10hipError_tPvRmT2_T3_mT4_P12ihipStream_tbEUlT_E_NS1_11comp_targetILNS1_3genE10ELNS1_11target_archE1201ELNS1_3gpuE5ELNS1_3repE0EEENS1_30default_config_static_selectorELNS0_4arch9wavefront6targetE0EEEvT1_
    .private_segment_fixed_size: 0
    .sgpr_count:     0
    .sgpr_spill_count: 0
    .symbol:         _ZN7rocprim17ROCPRIM_400000_NS6detail17trampoline_kernelINS0_14default_configENS1_35adjacent_difference_config_selectorILb1EfEEZNS1_24adjacent_difference_implIS3_Lb1ELb0EPfN6thrust23THRUST_200600_302600_NS16discard_iteratorINS9_11use_defaultEEENS9_5minusIfEEEE10hipError_tPvRmT2_T3_mT4_P12ihipStream_tbEUlT_E_NS1_11comp_targetILNS1_3genE10ELNS1_11target_archE1201ELNS1_3gpuE5ELNS1_3repE0EEENS1_30default_config_static_selectorELNS0_4arch9wavefront6targetE0EEEvT1_.kd
    .uniform_work_group_size: 1
    .uses_dynamic_stack: false
    .vgpr_count:     0
    .vgpr_spill_count: 0
    .wavefront_size: 32
    .workgroup_processor_mode: 1
  - .args:
      - .offset:         0
        .size:           64
        .value_kind:     by_value
    .group_segment_fixed_size: 0
    .kernarg_segment_align: 8
    .kernarg_segment_size: 64
    .language:       OpenCL C
    .language_version:
      - 2
      - 0
    .max_flat_workgroup_size: 256
    .name:           _ZN7rocprim17ROCPRIM_400000_NS6detail17trampoline_kernelINS0_14default_configENS1_35adjacent_difference_config_selectorILb1EfEEZNS1_24adjacent_difference_implIS3_Lb1ELb0EPfN6thrust23THRUST_200600_302600_NS16discard_iteratorINS9_11use_defaultEEENS9_5minusIfEEEE10hipError_tPvRmT2_T3_mT4_P12ihipStream_tbEUlT_E_NS1_11comp_targetILNS1_3genE5ELNS1_11target_archE942ELNS1_3gpuE9ELNS1_3repE0EEENS1_30default_config_static_selectorELNS0_4arch9wavefront6targetE0EEEvT1_
    .private_segment_fixed_size: 0
    .sgpr_count:     0
    .sgpr_spill_count: 0
    .symbol:         _ZN7rocprim17ROCPRIM_400000_NS6detail17trampoline_kernelINS0_14default_configENS1_35adjacent_difference_config_selectorILb1EfEEZNS1_24adjacent_difference_implIS3_Lb1ELb0EPfN6thrust23THRUST_200600_302600_NS16discard_iteratorINS9_11use_defaultEEENS9_5minusIfEEEE10hipError_tPvRmT2_T3_mT4_P12ihipStream_tbEUlT_E_NS1_11comp_targetILNS1_3genE5ELNS1_11target_archE942ELNS1_3gpuE9ELNS1_3repE0EEENS1_30default_config_static_selectorELNS0_4arch9wavefront6targetE0EEEvT1_.kd
    .uniform_work_group_size: 1
    .uses_dynamic_stack: false
    .vgpr_count:     0
    .vgpr_spill_count: 0
    .wavefront_size: 32
    .workgroup_processor_mode: 1
  - .args:
      - .offset:         0
        .size:           64
        .value_kind:     by_value
    .group_segment_fixed_size: 0
    .kernarg_segment_align: 8
    .kernarg_segment_size: 64
    .language:       OpenCL C
    .language_version:
      - 2
      - 0
    .max_flat_workgroup_size: 512
    .name:           _ZN7rocprim17ROCPRIM_400000_NS6detail17trampoline_kernelINS0_14default_configENS1_35adjacent_difference_config_selectorILb1EfEEZNS1_24adjacent_difference_implIS3_Lb1ELb0EPfN6thrust23THRUST_200600_302600_NS16discard_iteratorINS9_11use_defaultEEENS9_5minusIfEEEE10hipError_tPvRmT2_T3_mT4_P12ihipStream_tbEUlT_E_NS1_11comp_targetILNS1_3genE4ELNS1_11target_archE910ELNS1_3gpuE8ELNS1_3repE0EEENS1_30default_config_static_selectorELNS0_4arch9wavefront6targetE0EEEvT1_
    .private_segment_fixed_size: 0
    .sgpr_count:     0
    .sgpr_spill_count: 0
    .symbol:         _ZN7rocprim17ROCPRIM_400000_NS6detail17trampoline_kernelINS0_14default_configENS1_35adjacent_difference_config_selectorILb1EfEEZNS1_24adjacent_difference_implIS3_Lb1ELb0EPfN6thrust23THRUST_200600_302600_NS16discard_iteratorINS9_11use_defaultEEENS9_5minusIfEEEE10hipError_tPvRmT2_T3_mT4_P12ihipStream_tbEUlT_E_NS1_11comp_targetILNS1_3genE4ELNS1_11target_archE910ELNS1_3gpuE8ELNS1_3repE0EEENS1_30default_config_static_selectorELNS0_4arch9wavefront6targetE0EEEvT1_.kd
    .uniform_work_group_size: 1
    .uses_dynamic_stack: false
    .vgpr_count:     0
    .vgpr_spill_count: 0
    .wavefront_size: 32
    .workgroup_processor_mode: 1
  - .args:
      - .offset:         0
        .size:           64
        .value_kind:     by_value
    .group_segment_fixed_size: 0
    .kernarg_segment_align: 8
    .kernarg_segment_size: 64
    .language:       OpenCL C
    .language_version:
      - 2
      - 0
    .max_flat_workgroup_size: 1024
    .name:           _ZN7rocprim17ROCPRIM_400000_NS6detail17trampoline_kernelINS0_14default_configENS1_35adjacent_difference_config_selectorILb1EfEEZNS1_24adjacent_difference_implIS3_Lb1ELb0EPfN6thrust23THRUST_200600_302600_NS16discard_iteratorINS9_11use_defaultEEENS9_5minusIfEEEE10hipError_tPvRmT2_T3_mT4_P12ihipStream_tbEUlT_E_NS1_11comp_targetILNS1_3genE3ELNS1_11target_archE908ELNS1_3gpuE7ELNS1_3repE0EEENS1_30default_config_static_selectorELNS0_4arch9wavefront6targetE0EEEvT1_
    .private_segment_fixed_size: 0
    .sgpr_count:     0
    .sgpr_spill_count: 0
    .symbol:         _ZN7rocprim17ROCPRIM_400000_NS6detail17trampoline_kernelINS0_14default_configENS1_35adjacent_difference_config_selectorILb1EfEEZNS1_24adjacent_difference_implIS3_Lb1ELb0EPfN6thrust23THRUST_200600_302600_NS16discard_iteratorINS9_11use_defaultEEENS9_5minusIfEEEE10hipError_tPvRmT2_T3_mT4_P12ihipStream_tbEUlT_E_NS1_11comp_targetILNS1_3genE3ELNS1_11target_archE908ELNS1_3gpuE7ELNS1_3repE0EEENS1_30default_config_static_selectorELNS0_4arch9wavefront6targetE0EEEvT1_.kd
    .uniform_work_group_size: 1
    .uses_dynamic_stack: false
    .vgpr_count:     0
    .vgpr_spill_count: 0
    .wavefront_size: 32
    .workgroup_processor_mode: 1
  - .args:
      - .offset:         0
        .size:           64
        .value_kind:     by_value
    .group_segment_fixed_size: 0
    .kernarg_segment_align: 8
    .kernarg_segment_size: 64
    .language:       OpenCL C
    .language_version:
      - 2
      - 0
    .max_flat_workgroup_size: 256
    .name:           _ZN7rocprim17ROCPRIM_400000_NS6detail17trampoline_kernelINS0_14default_configENS1_35adjacent_difference_config_selectorILb1EfEEZNS1_24adjacent_difference_implIS3_Lb1ELb0EPfN6thrust23THRUST_200600_302600_NS16discard_iteratorINS9_11use_defaultEEENS9_5minusIfEEEE10hipError_tPvRmT2_T3_mT4_P12ihipStream_tbEUlT_E_NS1_11comp_targetILNS1_3genE2ELNS1_11target_archE906ELNS1_3gpuE6ELNS1_3repE0EEENS1_30default_config_static_selectorELNS0_4arch9wavefront6targetE0EEEvT1_
    .private_segment_fixed_size: 0
    .sgpr_count:     0
    .sgpr_spill_count: 0
    .symbol:         _ZN7rocprim17ROCPRIM_400000_NS6detail17trampoline_kernelINS0_14default_configENS1_35adjacent_difference_config_selectorILb1EfEEZNS1_24adjacent_difference_implIS3_Lb1ELb0EPfN6thrust23THRUST_200600_302600_NS16discard_iteratorINS9_11use_defaultEEENS9_5minusIfEEEE10hipError_tPvRmT2_T3_mT4_P12ihipStream_tbEUlT_E_NS1_11comp_targetILNS1_3genE2ELNS1_11target_archE906ELNS1_3gpuE6ELNS1_3repE0EEENS1_30default_config_static_selectorELNS0_4arch9wavefront6targetE0EEEvT1_.kd
    .uniform_work_group_size: 1
    .uses_dynamic_stack: false
    .vgpr_count:     0
    .vgpr_spill_count: 0
    .wavefront_size: 32
    .workgroup_processor_mode: 1
  - .args:
      - .offset:         0
        .size:           64
        .value_kind:     by_value
    .group_segment_fixed_size: 14848
    .kernarg_segment_align: 8
    .kernarg_segment_size: 64
    .language:       OpenCL C
    .language_version:
      - 2
      - 0
    .max_flat_workgroup_size: 128
    .name:           _ZN7rocprim17ROCPRIM_400000_NS6detail17trampoline_kernelINS0_14default_configENS1_35adjacent_difference_config_selectorILb1EfEEZNS1_24adjacent_difference_implIS3_Lb1ELb0EPfN6thrust23THRUST_200600_302600_NS16discard_iteratorINS9_11use_defaultEEENS9_5minusIfEEEE10hipError_tPvRmT2_T3_mT4_P12ihipStream_tbEUlT_E_NS1_11comp_targetILNS1_3genE9ELNS1_11target_archE1100ELNS1_3gpuE3ELNS1_3repE0EEENS1_30default_config_static_selectorELNS0_4arch9wavefront6targetE0EEEvT1_
    .private_segment_fixed_size: 0
    .sgpr_count:     34
    .sgpr_spill_count: 0
    .symbol:         _ZN7rocprim17ROCPRIM_400000_NS6detail17trampoline_kernelINS0_14default_configENS1_35adjacent_difference_config_selectorILb1EfEEZNS1_24adjacent_difference_implIS3_Lb1ELb0EPfN6thrust23THRUST_200600_302600_NS16discard_iteratorINS9_11use_defaultEEENS9_5minusIfEEEE10hipError_tPvRmT2_T3_mT4_P12ihipStream_tbEUlT_E_NS1_11comp_targetILNS1_3genE9ELNS1_11target_archE1100ELNS1_3gpuE3ELNS1_3repE0EEENS1_30default_config_static_selectorELNS0_4arch9wavefront6targetE0EEEvT1_.kd
    .uniform_work_group_size: 1
    .uses_dynamic_stack: false
    .vgpr_count:     66
    .vgpr_spill_count: 0
    .wavefront_size: 32
    .workgroup_processor_mode: 1
  - .args:
      - .offset:         0
        .size:           64
        .value_kind:     by_value
    .group_segment_fixed_size: 0
    .kernarg_segment_align: 8
    .kernarg_segment_size: 64
    .language:       OpenCL C
    .language_version:
      - 2
      - 0
    .max_flat_workgroup_size: 32
    .name:           _ZN7rocprim17ROCPRIM_400000_NS6detail17trampoline_kernelINS0_14default_configENS1_35adjacent_difference_config_selectorILb1EfEEZNS1_24adjacent_difference_implIS3_Lb1ELb0EPfN6thrust23THRUST_200600_302600_NS16discard_iteratorINS9_11use_defaultEEENS9_5minusIfEEEE10hipError_tPvRmT2_T3_mT4_P12ihipStream_tbEUlT_E_NS1_11comp_targetILNS1_3genE8ELNS1_11target_archE1030ELNS1_3gpuE2ELNS1_3repE0EEENS1_30default_config_static_selectorELNS0_4arch9wavefront6targetE0EEEvT1_
    .private_segment_fixed_size: 0
    .sgpr_count:     0
    .sgpr_spill_count: 0
    .symbol:         _ZN7rocprim17ROCPRIM_400000_NS6detail17trampoline_kernelINS0_14default_configENS1_35adjacent_difference_config_selectorILb1EfEEZNS1_24adjacent_difference_implIS3_Lb1ELb0EPfN6thrust23THRUST_200600_302600_NS16discard_iteratorINS9_11use_defaultEEENS9_5minusIfEEEE10hipError_tPvRmT2_T3_mT4_P12ihipStream_tbEUlT_E_NS1_11comp_targetILNS1_3genE8ELNS1_11target_archE1030ELNS1_3gpuE2ELNS1_3repE0EEENS1_30default_config_static_selectorELNS0_4arch9wavefront6targetE0EEEvT1_.kd
    .uniform_work_group_size: 1
    .uses_dynamic_stack: false
    .vgpr_count:     0
    .vgpr_spill_count: 0
    .wavefront_size: 32
    .workgroup_processor_mode: 1
  - .args:
      - .offset:         0
        .size:           56
        .value_kind:     by_value
    .group_segment_fixed_size: 0
    .kernarg_segment_align: 8
    .kernarg_segment_size: 56
    .language:       OpenCL C
    .language_version:
      - 2
      - 0
    .max_flat_workgroup_size: 128
    .name:           _ZN7rocprim17ROCPRIM_400000_NS6detail17trampoline_kernelINS0_14default_configENS1_25transform_config_selectorIyLb0EEEZNS1_14transform_implILb0ES3_S5_NS0_18transform_iteratorINS0_17counting_iteratorImlEEZNS1_24adjacent_difference_implIS3_Lb1ELb0EPyN6thrust23THRUST_200600_302600_NS16discard_iteratorINSD_11use_defaultEEENSD_5minusIyEEEE10hipError_tPvRmT2_T3_mT4_P12ihipStream_tbEUlmE_yEESB_NS0_8identityIvEEEESJ_SM_SN_mSO_SQ_bEUlT_E_NS1_11comp_targetILNS1_3genE0ELNS1_11target_archE4294967295ELNS1_3gpuE0ELNS1_3repE0EEENS1_30default_config_static_selectorELNS0_4arch9wavefront6targetE0EEEvT1_
    .private_segment_fixed_size: 0
    .sgpr_count:     0
    .sgpr_spill_count: 0
    .symbol:         _ZN7rocprim17ROCPRIM_400000_NS6detail17trampoline_kernelINS0_14default_configENS1_25transform_config_selectorIyLb0EEEZNS1_14transform_implILb0ES3_S5_NS0_18transform_iteratorINS0_17counting_iteratorImlEEZNS1_24adjacent_difference_implIS3_Lb1ELb0EPyN6thrust23THRUST_200600_302600_NS16discard_iteratorINSD_11use_defaultEEENSD_5minusIyEEEE10hipError_tPvRmT2_T3_mT4_P12ihipStream_tbEUlmE_yEESB_NS0_8identityIvEEEESJ_SM_SN_mSO_SQ_bEUlT_E_NS1_11comp_targetILNS1_3genE0ELNS1_11target_archE4294967295ELNS1_3gpuE0ELNS1_3repE0EEENS1_30default_config_static_selectorELNS0_4arch9wavefront6targetE0EEEvT1_.kd
    .uniform_work_group_size: 1
    .uses_dynamic_stack: false
    .vgpr_count:     0
    .vgpr_spill_count: 0
    .wavefront_size: 32
    .workgroup_processor_mode: 1
  - .args:
      - .offset:         0
        .size:           56
        .value_kind:     by_value
    .group_segment_fixed_size: 0
    .kernarg_segment_align: 8
    .kernarg_segment_size: 56
    .language:       OpenCL C
    .language_version:
      - 2
      - 0
    .max_flat_workgroup_size: 512
    .name:           _ZN7rocprim17ROCPRIM_400000_NS6detail17trampoline_kernelINS0_14default_configENS1_25transform_config_selectorIyLb0EEEZNS1_14transform_implILb0ES3_S5_NS0_18transform_iteratorINS0_17counting_iteratorImlEEZNS1_24adjacent_difference_implIS3_Lb1ELb0EPyN6thrust23THRUST_200600_302600_NS16discard_iteratorINSD_11use_defaultEEENSD_5minusIyEEEE10hipError_tPvRmT2_T3_mT4_P12ihipStream_tbEUlmE_yEESB_NS0_8identityIvEEEESJ_SM_SN_mSO_SQ_bEUlT_E_NS1_11comp_targetILNS1_3genE5ELNS1_11target_archE942ELNS1_3gpuE9ELNS1_3repE0EEENS1_30default_config_static_selectorELNS0_4arch9wavefront6targetE0EEEvT1_
    .private_segment_fixed_size: 0
    .sgpr_count:     0
    .sgpr_spill_count: 0
    .symbol:         _ZN7rocprim17ROCPRIM_400000_NS6detail17trampoline_kernelINS0_14default_configENS1_25transform_config_selectorIyLb0EEEZNS1_14transform_implILb0ES3_S5_NS0_18transform_iteratorINS0_17counting_iteratorImlEEZNS1_24adjacent_difference_implIS3_Lb1ELb0EPyN6thrust23THRUST_200600_302600_NS16discard_iteratorINSD_11use_defaultEEENSD_5minusIyEEEE10hipError_tPvRmT2_T3_mT4_P12ihipStream_tbEUlmE_yEESB_NS0_8identityIvEEEESJ_SM_SN_mSO_SQ_bEUlT_E_NS1_11comp_targetILNS1_3genE5ELNS1_11target_archE942ELNS1_3gpuE9ELNS1_3repE0EEENS1_30default_config_static_selectorELNS0_4arch9wavefront6targetE0EEEvT1_.kd
    .uniform_work_group_size: 1
    .uses_dynamic_stack: false
    .vgpr_count:     0
    .vgpr_spill_count: 0
    .wavefront_size: 32
    .workgroup_processor_mode: 1
  - .args:
      - .offset:         0
        .size:           56
        .value_kind:     by_value
    .group_segment_fixed_size: 0
    .kernarg_segment_align: 8
    .kernarg_segment_size: 56
    .language:       OpenCL C
    .language_version:
      - 2
      - 0
    .max_flat_workgroup_size: 256
    .name:           _ZN7rocprim17ROCPRIM_400000_NS6detail17trampoline_kernelINS0_14default_configENS1_25transform_config_selectorIyLb0EEEZNS1_14transform_implILb0ES3_S5_NS0_18transform_iteratorINS0_17counting_iteratorImlEEZNS1_24adjacent_difference_implIS3_Lb1ELb0EPyN6thrust23THRUST_200600_302600_NS16discard_iteratorINSD_11use_defaultEEENSD_5minusIyEEEE10hipError_tPvRmT2_T3_mT4_P12ihipStream_tbEUlmE_yEESB_NS0_8identityIvEEEESJ_SM_SN_mSO_SQ_bEUlT_E_NS1_11comp_targetILNS1_3genE4ELNS1_11target_archE910ELNS1_3gpuE8ELNS1_3repE0EEENS1_30default_config_static_selectorELNS0_4arch9wavefront6targetE0EEEvT1_
    .private_segment_fixed_size: 0
    .sgpr_count:     0
    .sgpr_spill_count: 0
    .symbol:         _ZN7rocprim17ROCPRIM_400000_NS6detail17trampoline_kernelINS0_14default_configENS1_25transform_config_selectorIyLb0EEEZNS1_14transform_implILb0ES3_S5_NS0_18transform_iteratorINS0_17counting_iteratorImlEEZNS1_24adjacent_difference_implIS3_Lb1ELb0EPyN6thrust23THRUST_200600_302600_NS16discard_iteratorINSD_11use_defaultEEENSD_5minusIyEEEE10hipError_tPvRmT2_T3_mT4_P12ihipStream_tbEUlmE_yEESB_NS0_8identityIvEEEESJ_SM_SN_mSO_SQ_bEUlT_E_NS1_11comp_targetILNS1_3genE4ELNS1_11target_archE910ELNS1_3gpuE8ELNS1_3repE0EEENS1_30default_config_static_selectorELNS0_4arch9wavefront6targetE0EEEvT1_.kd
    .uniform_work_group_size: 1
    .uses_dynamic_stack: false
    .vgpr_count:     0
    .vgpr_spill_count: 0
    .wavefront_size: 32
    .workgroup_processor_mode: 1
  - .args:
      - .offset:         0
        .size:           56
        .value_kind:     by_value
    .group_segment_fixed_size: 0
    .kernarg_segment_align: 8
    .kernarg_segment_size: 56
    .language:       OpenCL C
    .language_version:
      - 2
      - 0
    .max_flat_workgroup_size: 128
    .name:           _ZN7rocprim17ROCPRIM_400000_NS6detail17trampoline_kernelINS0_14default_configENS1_25transform_config_selectorIyLb0EEEZNS1_14transform_implILb0ES3_S5_NS0_18transform_iteratorINS0_17counting_iteratorImlEEZNS1_24adjacent_difference_implIS3_Lb1ELb0EPyN6thrust23THRUST_200600_302600_NS16discard_iteratorINSD_11use_defaultEEENSD_5minusIyEEEE10hipError_tPvRmT2_T3_mT4_P12ihipStream_tbEUlmE_yEESB_NS0_8identityIvEEEESJ_SM_SN_mSO_SQ_bEUlT_E_NS1_11comp_targetILNS1_3genE3ELNS1_11target_archE908ELNS1_3gpuE7ELNS1_3repE0EEENS1_30default_config_static_selectorELNS0_4arch9wavefront6targetE0EEEvT1_
    .private_segment_fixed_size: 0
    .sgpr_count:     0
    .sgpr_spill_count: 0
    .symbol:         _ZN7rocprim17ROCPRIM_400000_NS6detail17trampoline_kernelINS0_14default_configENS1_25transform_config_selectorIyLb0EEEZNS1_14transform_implILb0ES3_S5_NS0_18transform_iteratorINS0_17counting_iteratorImlEEZNS1_24adjacent_difference_implIS3_Lb1ELb0EPyN6thrust23THRUST_200600_302600_NS16discard_iteratorINSD_11use_defaultEEENSD_5minusIyEEEE10hipError_tPvRmT2_T3_mT4_P12ihipStream_tbEUlmE_yEESB_NS0_8identityIvEEEESJ_SM_SN_mSO_SQ_bEUlT_E_NS1_11comp_targetILNS1_3genE3ELNS1_11target_archE908ELNS1_3gpuE7ELNS1_3repE0EEENS1_30default_config_static_selectorELNS0_4arch9wavefront6targetE0EEEvT1_.kd
    .uniform_work_group_size: 1
    .uses_dynamic_stack: false
    .vgpr_count:     0
    .vgpr_spill_count: 0
    .wavefront_size: 32
    .workgroup_processor_mode: 1
  - .args:
      - .offset:         0
        .size:           56
        .value_kind:     by_value
    .group_segment_fixed_size: 0
    .kernarg_segment_align: 8
    .kernarg_segment_size: 56
    .language:       OpenCL C
    .language_version:
      - 2
      - 0
    .max_flat_workgroup_size: 512
    .name:           _ZN7rocprim17ROCPRIM_400000_NS6detail17trampoline_kernelINS0_14default_configENS1_25transform_config_selectorIyLb0EEEZNS1_14transform_implILb0ES3_S5_NS0_18transform_iteratorINS0_17counting_iteratorImlEEZNS1_24adjacent_difference_implIS3_Lb1ELb0EPyN6thrust23THRUST_200600_302600_NS16discard_iteratorINSD_11use_defaultEEENSD_5minusIyEEEE10hipError_tPvRmT2_T3_mT4_P12ihipStream_tbEUlmE_yEESB_NS0_8identityIvEEEESJ_SM_SN_mSO_SQ_bEUlT_E_NS1_11comp_targetILNS1_3genE2ELNS1_11target_archE906ELNS1_3gpuE6ELNS1_3repE0EEENS1_30default_config_static_selectorELNS0_4arch9wavefront6targetE0EEEvT1_
    .private_segment_fixed_size: 0
    .sgpr_count:     0
    .sgpr_spill_count: 0
    .symbol:         _ZN7rocprim17ROCPRIM_400000_NS6detail17trampoline_kernelINS0_14default_configENS1_25transform_config_selectorIyLb0EEEZNS1_14transform_implILb0ES3_S5_NS0_18transform_iteratorINS0_17counting_iteratorImlEEZNS1_24adjacent_difference_implIS3_Lb1ELb0EPyN6thrust23THRUST_200600_302600_NS16discard_iteratorINSD_11use_defaultEEENSD_5minusIyEEEE10hipError_tPvRmT2_T3_mT4_P12ihipStream_tbEUlmE_yEESB_NS0_8identityIvEEEESJ_SM_SN_mSO_SQ_bEUlT_E_NS1_11comp_targetILNS1_3genE2ELNS1_11target_archE906ELNS1_3gpuE6ELNS1_3repE0EEENS1_30default_config_static_selectorELNS0_4arch9wavefront6targetE0EEEvT1_.kd
    .uniform_work_group_size: 1
    .uses_dynamic_stack: false
    .vgpr_count:     0
    .vgpr_spill_count: 0
    .wavefront_size: 32
    .workgroup_processor_mode: 1
  - .args:
      - .offset:         0
        .size:           56
        .value_kind:     by_value
    .group_segment_fixed_size: 0
    .kernarg_segment_align: 8
    .kernarg_segment_size: 56
    .language:       OpenCL C
    .language_version:
      - 2
      - 0
    .max_flat_workgroup_size: 1024
    .name:           _ZN7rocprim17ROCPRIM_400000_NS6detail17trampoline_kernelINS0_14default_configENS1_25transform_config_selectorIyLb0EEEZNS1_14transform_implILb0ES3_S5_NS0_18transform_iteratorINS0_17counting_iteratorImlEEZNS1_24adjacent_difference_implIS3_Lb1ELb0EPyN6thrust23THRUST_200600_302600_NS16discard_iteratorINSD_11use_defaultEEENSD_5minusIyEEEE10hipError_tPvRmT2_T3_mT4_P12ihipStream_tbEUlmE_yEESB_NS0_8identityIvEEEESJ_SM_SN_mSO_SQ_bEUlT_E_NS1_11comp_targetILNS1_3genE10ELNS1_11target_archE1201ELNS1_3gpuE5ELNS1_3repE0EEENS1_30default_config_static_selectorELNS0_4arch9wavefront6targetE0EEEvT1_
    .private_segment_fixed_size: 0
    .sgpr_count:     0
    .sgpr_spill_count: 0
    .symbol:         _ZN7rocprim17ROCPRIM_400000_NS6detail17trampoline_kernelINS0_14default_configENS1_25transform_config_selectorIyLb0EEEZNS1_14transform_implILb0ES3_S5_NS0_18transform_iteratorINS0_17counting_iteratorImlEEZNS1_24adjacent_difference_implIS3_Lb1ELb0EPyN6thrust23THRUST_200600_302600_NS16discard_iteratorINSD_11use_defaultEEENSD_5minusIyEEEE10hipError_tPvRmT2_T3_mT4_P12ihipStream_tbEUlmE_yEESB_NS0_8identityIvEEEESJ_SM_SN_mSO_SQ_bEUlT_E_NS1_11comp_targetILNS1_3genE10ELNS1_11target_archE1201ELNS1_3gpuE5ELNS1_3repE0EEENS1_30default_config_static_selectorELNS0_4arch9wavefront6targetE0EEEvT1_.kd
    .uniform_work_group_size: 1
    .uses_dynamic_stack: false
    .vgpr_count:     0
    .vgpr_spill_count: 0
    .wavefront_size: 32
    .workgroup_processor_mode: 1
  - .args:
      - .offset:         0
        .size:           56
        .value_kind:     by_value
    .group_segment_fixed_size: 0
    .kernarg_segment_align: 8
    .kernarg_segment_size: 56
    .language:       OpenCL C
    .language_version:
      - 2
      - 0
    .max_flat_workgroup_size: 512
    .name:           _ZN7rocprim17ROCPRIM_400000_NS6detail17trampoline_kernelINS0_14default_configENS1_25transform_config_selectorIyLb0EEEZNS1_14transform_implILb0ES3_S5_NS0_18transform_iteratorINS0_17counting_iteratorImlEEZNS1_24adjacent_difference_implIS3_Lb1ELb0EPyN6thrust23THRUST_200600_302600_NS16discard_iteratorINSD_11use_defaultEEENSD_5minusIyEEEE10hipError_tPvRmT2_T3_mT4_P12ihipStream_tbEUlmE_yEESB_NS0_8identityIvEEEESJ_SM_SN_mSO_SQ_bEUlT_E_NS1_11comp_targetILNS1_3genE10ELNS1_11target_archE1200ELNS1_3gpuE4ELNS1_3repE0EEENS1_30default_config_static_selectorELNS0_4arch9wavefront6targetE0EEEvT1_
    .private_segment_fixed_size: 0
    .sgpr_count:     0
    .sgpr_spill_count: 0
    .symbol:         _ZN7rocprim17ROCPRIM_400000_NS6detail17trampoline_kernelINS0_14default_configENS1_25transform_config_selectorIyLb0EEEZNS1_14transform_implILb0ES3_S5_NS0_18transform_iteratorINS0_17counting_iteratorImlEEZNS1_24adjacent_difference_implIS3_Lb1ELb0EPyN6thrust23THRUST_200600_302600_NS16discard_iteratorINSD_11use_defaultEEENSD_5minusIyEEEE10hipError_tPvRmT2_T3_mT4_P12ihipStream_tbEUlmE_yEESB_NS0_8identityIvEEEESJ_SM_SN_mSO_SQ_bEUlT_E_NS1_11comp_targetILNS1_3genE10ELNS1_11target_archE1200ELNS1_3gpuE4ELNS1_3repE0EEENS1_30default_config_static_selectorELNS0_4arch9wavefront6targetE0EEEvT1_.kd
    .uniform_work_group_size: 1
    .uses_dynamic_stack: false
    .vgpr_count:     0
    .vgpr_spill_count: 0
    .wavefront_size: 32
    .workgroup_processor_mode: 1
  - .args:
      - .offset:         0
        .size:           56
        .value_kind:     by_value
      - .offset:         56
        .size:           4
        .value_kind:     hidden_block_count_x
      - .offset:         60
        .size:           4
        .value_kind:     hidden_block_count_y
      - .offset:         64
        .size:           4
        .value_kind:     hidden_block_count_z
      - .offset:         68
        .size:           2
        .value_kind:     hidden_group_size_x
      - .offset:         70
        .size:           2
        .value_kind:     hidden_group_size_y
      - .offset:         72
        .size:           2
        .value_kind:     hidden_group_size_z
      - .offset:         74
        .size:           2
        .value_kind:     hidden_remainder_x
      - .offset:         76
        .size:           2
        .value_kind:     hidden_remainder_y
      - .offset:         78
        .size:           2
        .value_kind:     hidden_remainder_z
      - .offset:         96
        .size:           8
        .value_kind:     hidden_global_offset_x
      - .offset:         104
        .size:           8
        .value_kind:     hidden_global_offset_y
      - .offset:         112
        .size:           8
        .value_kind:     hidden_global_offset_z
      - .offset:         120
        .size:           2
        .value_kind:     hidden_grid_dims
    .group_segment_fixed_size: 0
    .kernarg_segment_align: 8
    .kernarg_segment_size: 312
    .language:       OpenCL C
    .language_version:
      - 2
      - 0
    .max_flat_workgroup_size: 512
    .name:           _ZN7rocprim17ROCPRIM_400000_NS6detail17trampoline_kernelINS0_14default_configENS1_25transform_config_selectorIyLb0EEEZNS1_14transform_implILb0ES3_S5_NS0_18transform_iteratorINS0_17counting_iteratorImlEEZNS1_24adjacent_difference_implIS3_Lb1ELb0EPyN6thrust23THRUST_200600_302600_NS16discard_iteratorINSD_11use_defaultEEENSD_5minusIyEEEE10hipError_tPvRmT2_T3_mT4_P12ihipStream_tbEUlmE_yEESB_NS0_8identityIvEEEESJ_SM_SN_mSO_SQ_bEUlT_E_NS1_11comp_targetILNS1_3genE9ELNS1_11target_archE1100ELNS1_3gpuE3ELNS1_3repE0EEENS1_30default_config_static_selectorELNS0_4arch9wavefront6targetE0EEEvT1_
    .private_segment_fixed_size: 0
    .sgpr_count:     18
    .sgpr_spill_count: 0
    .symbol:         _ZN7rocprim17ROCPRIM_400000_NS6detail17trampoline_kernelINS0_14default_configENS1_25transform_config_selectorIyLb0EEEZNS1_14transform_implILb0ES3_S5_NS0_18transform_iteratorINS0_17counting_iteratorImlEEZNS1_24adjacent_difference_implIS3_Lb1ELb0EPyN6thrust23THRUST_200600_302600_NS16discard_iteratorINSD_11use_defaultEEENSD_5minusIyEEEE10hipError_tPvRmT2_T3_mT4_P12ihipStream_tbEUlmE_yEESB_NS0_8identityIvEEEESJ_SM_SN_mSO_SQ_bEUlT_E_NS1_11comp_targetILNS1_3genE9ELNS1_11target_archE1100ELNS1_3gpuE3ELNS1_3repE0EEENS1_30default_config_static_selectorELNS0_4arch9wavefront6targetE0EEEvT1_.kd
    .uniform_work_group_size: 1
    .uses_dynamic_stack: false
    .vgpr_count:     6
    .vgpr_spill_count: 0
    .wavefront_size: 32
    .workgroup_processor_mode: 1
  - .args:
      - .offset:         0
        .size:           56
        .value_kind:     by_value
    .group_segment_fixed_size: 0
    .kernarg_segment_align: 8
    .kernarg_segment_size: 56
    .language:       OpenCL C
    .language_version:
      - 2
      - 0
    .max_flat_workgroup_size: 512
    .name:           _ZN7rocprim17ROCPRIM_400000_NS6detail17trampoline_kernelINS0_14default_configENS1_25transform_config_selectorIyLb0EEEZNS1_14transform_implILb0ES3_S5_NS0_18transform_iteratorINS0_17counting_iteratorImlEEZNS1_24adjacent_difference_implIS3_Lb1ELb0EPyN6thrust23THRUST_200600_302600_NS16discard_iteratorINSD_11use_defaultEEENSD_5minusIyEEEE10hipError_tPvRmT2_T3_mT4_P12ihipStream_tbEUlmE_yEESB_NS0_8identityIvEEEESJ_SM_SN_mSO_SQ_bEUlT_E_NS1_11comp_targetILNS1_3genE8ELNS1_11target_archE1030ELNS1_3gpuE2ELNS1_3repE0EEENS1_30default_config_static_selectorELNS0_4arch9wavefront6targetE0EEEvT1_
    .private_segment_fixed_size: 0
    .sgpr_count:     0
    .sgpr_spill_count: 0
    .symbol:         _ZN7rocprim17ROCPRIM_400000_NS6detail17trampoline_kernelINS0_14default_configENS1_25transform_config_selectorIyLb0EEEZNS1_14transform_implILb0ES3_S5_NS0_18transform_iteratorINS0_17counting_iteratorImlEEZNS1_24adjacent_difference_implIS3_Lb1ELb0EPyN6thrust23THRUST_200600_302600_NS16discard_iteratorINSD_11use_defaultEEENSD_5minusIyEEEE10hipError_tPvRmT2_T3_mT4_P12ihipStream_tbEUlmE_yEESB_NS0_8identityIvEEEESJ_SM_SN_mSO_SQ_bEUlT_E_NS1_11comp_targetILNS1_3genE8ELNS1_11target_archE1030ELNS1_3gpuE2ELNS1_3repE0EEENS1_30default_config_static_selectorELNS0_4arch9wavefront6targetE0EEEvT1_.kd
    .uniform_work_group_size: 1
    .uses_dynamic_stack: false
    .vgpr_count:     0
    .vgpr_spill_count: 0
    .wavefront_size: 32
    .workgroup_processor_mode: 1
  - .args:
      - .offset:         0
        .size:           64
        .value_kind:     by_value
    .group_segment_fixed_size: 0
    .kernarg_segment_align: 8
    .kernarg_segment_size: 64
    .language:       OpenCL C
    .language_version:
      - 2
      - 0
    .max_flat_workgroup_size: 512
    .name:           _ZN7rocprim17ROCPRIM_400000_NS6detail17trampoline_kernelINS0_14default_configENS1_35adjacent_difference_config_selectorILb1EyEEZNS1_24adjacent_difference_implIS3_Lb1ELb0EPyN6thrust23THRUST_200600_302600_NS16discard_iteratorINS9_11use_defaultEEENS9_5minusIyEEEE10hipError_tPvRmT2_T3_mT4_P12ihipStream_tbEUlT_E_NS1_11comp_targetILNS1_3genE0ELNS1_11target_archE4294967295ELNS1_3gpuE0ELNS1_3repE0EEENS1_30default_config_static_selectorELNS0_4arch9wavefront6targetE0EEEvT1_
    .private_segment_fixed_size: 0
    .sgpr_count:     0
    .sgpr_spill_count: 0
    .symbol:         _ZN7rocprim17ROCPRIM_400000_NS6detail17trampoline_kernelINS0_14default_configENS1_35adjacent_difference_config_selectorILb1EyEEZNS1_24adjacent_difference_implIS3_Lb1ELb0EPyN6thrust23THRUST_200600_302600_NS16discard_iteratorINS9_11use_defaultEEENS9_5minusIyEEEE10hipError_tPvRmT2_T3_mT4_P12ihipStream_tbEUlT_E_NS1_11comp_targetILNS1_3genE0ELNS1_11target_archE4294967295ELNS1_3gpuE0ELNS1_3repE0EEENS1_30default_config_static_selectorELNS0_4arch9wavefront6targetE0EEEvT1_.kd
    .uniform_work_group_size: 1
    .uses_dynamic_stack: false
    .vgpr_count:     0
    .vgpr_spill_count: 0
    .wavefront_size: 32
    .workgroup_processor_mode: 1
  - .args:
      - .offset:         0
        .size:           64
        .value_kind:     by_value
    .group_segment_fixed_size: 0
    .kernarg_segment_align: 8
    .kernarg_segment_size: 64
    .language:       OpenCL C
    .language_version:
      - 2
      - 0
    .max_flat_workgroup_size: 32
    .name:           _ZN7rocprim17ROCPRIM_400000_NS6detail17trampoline_kernelINS0_14default_configENS1_35adjacent_difference_config_selectorILb1EyEEZNS1_24adjacent_difference_implIS3_Lb1ELb0EPyN6thrust23THRUST_200600_302600_NS16discard_iteratorINS9_11use_defaultEEENS9_5minusIyEEEE10hipError_tPvRmT2_T3_mT4_P12ihipStream_tbEUlT_E_NS1_11comp_targetILNS1_3genE10ELNS1_11target_archE1201ELNS1_3gpuE5ELNS1_3repE0EEENS1_30default_config_static_selectorELNS0_4arch9wavefront6targetE0EEEvT1_
    .private_segment_fixed_size: 0
    .sgpr_count:     0
    .sgpr_spill_count: 0
    .symbol:         _ZN7rocprim17ROCPRIM_400000_NS6detail17trampoline_kernelINS0_14default_configENS1_35adjacent_difference_config_selectorILb1EyEEZNS1_24adjacent_difference_implIS3_Lb1ELb0EPyN6thrust23THRUST_200600_302600_NS16discard_iteratorINS9_11use_defaultEEENS9_5minusIyEEEE10hipError_tPvRmT2_T3_mT4_P12ihipStream_tbEUlT_E_NS1_11comp_targetILNS1_3genE10ELNS1_11target_archE1201ELNS1_3gpuE5ELNS1_3repE0EEENS1_30default_config_static_selectorELNS0_4arch9wavefront6targetE0EEEvT1_.kd
    .uniform_work_group_size: 1
    .uses_dynamic_stack: false
    .vgpr_count:     0
    .vgpr_spill_count: 0
    .wavefront_size: 32
    .workgroup_processor_mode: 1
  - .args:
      - .offset:         0
        .size:           64
        .value_kind:     by_value
    .group_segment_fixed_size: 0
    .kernarg_segment_align: 8
    .kernarg_segment_size: 64
    .language:       OpenCL C
    .language_version:
      - 2
      - 0
    .max_flat_workgroup_size: 256
    .name:           _ZN7rocprim17ROCPRIM_400000_NS6detail17trampoline_kernelINS0_14default_configENS1_35adjacent_difference_config_selectorILb1EyEEZNS1_24adjacent_difference_implIS3_Lb1ELb0EPyN6thrust23THRUST_200600_302600_NS16discard_iteratorINS9_11use_defaultEEENS9_5minusIyEEEE10hipError_tPvRmT2_T3_mT4_P12ihipStream_tbEUlT_E_NS1_11comp_targetILNS1_3genE5ELNS1_11target_archE942ELNS1_3gpuE9ELNS1_3repE0EEENS1_30default_config_static_selectorELNS0_4arch9wavefront6targetE0EEEvT1_
    .private_segment_fixed_size: 0
    .sgpr_count:     0
    .sgpr_spill_count: 0
    .symbol:         _ZN7rocprim17ROCPRIM_400000_NS6detail17trampoline_kernelINS0_14default_configENS1_35adjacent_difference_config_selectorILb1EyEEZNS1_24adjacent_difference_implIS3_Lb1ELb0EPyN6thrust23THRUST_200600_302600_NS16discard_iteratorINS9_11use_defaultEEENS9_5minusIyEEEE10hipError_tPvRmT2_T3_mT4_P12ihipStream_tbEUlT_E_NS1_11comp_targetILNS1_3genE5ELNS1_11target_archE942ELNS1_3gpuE9ELNS1_3repE0EEENS1_30default_config_static_selectorELNS0_4arch9wavefront6targetE0EEEvT1_.kd
    .uniform_work_group_size: 1
    .uses_dynamic_stack: false
    .vgpr_count:     0
    .vgpr_spill_count: 0
    .wavefront_size: 32
    .workgroup_processor_mode: 1
  - .args:
      - .offset:         0
        .size:           64
        .value_kind:     by_value
    .group_segment_fixed_size: 0
    .kernarg_segment_align: 8
    .kernarg_segment_size: 64
    .language:       OpenCL C
    .language_version:
      - 2
      - 0
    .max_flat_workgroup_size: 512
    .name:           _ZN7rocprim17ROCPRIM_400000_NS6detail17trampoline_kernelINS0_14default_configENS1_35adjacent_difference_config_selectorILb1EyEEZNS1_24adjacent_difference_implIS3_Lb1ELb0EPyN6thrust23THRUST_200600_302600_NS16discard_iteratorINS9_11use_defaultEEENS9_5minusIyEEEE10hipError_tPvRmT2_T3_mT4_P12ihipStream_tbEUlT_E_NS1_11comp_targetILNS1_3genE4ELNS1_11target_archE910ELNS1_3gpuE8ELNS1_3repE0EEENS1_30default_config_static_selectorELNS0_4arch9wavefront6targetE0EEEvT1_
    .private_segment_fixed_size: 0
    .sgpr_count:     0
    .sgpr_spill_count: 0
    .symbol:         _ZN7rocprim17ROCPRIM_400000_NS6detail17trampoline_kernelINS0_14default_configENS1_35adjacent_difference_config_selectorILb1EyEEZNS1_24adjacent_difference_implIS3_Lb1ELb0EPyN6thrust23THRUST_200600_302600_NS16discard_iteratorINS9_11use_defaultEEENS9_5minusIyEEEE10hipError_tPvRmT2_T3_mT4_P12ihipStream_tbEUlT_E_NS1_11comp_targetILNS1_3genE4ELNS1_11target_archE910ELNS1_3gpuE8ELNS1_3repE0EEENS1_30default_config_static_selectorELNS0_4arch9wavefront6targetE0EEEvT1_.kd
    .uniform_work_group_size: 1
    .uses_dynamic_stack: false
    .vgpr_count:     0
    .vgpr_spill_count: 0
    .wavefront_size: 32
    .workgroup_processor_mode: 1
  - .args:
      - .offset:         0
        .size:           64
        .value_kind:     by_value
    .group_segment_fixed_size: 0
    .kernarg_segment_align: 8
    .kernarg_segment_size: 64
    .language:       OpenCL C
    .language_version:
      - 2
      - 0
    .max_flat_workgroup_size: 512
    .name:           _ZN7rocprim17ROCPRIM_400000_NS6detail17trampoline_kernelINS0_14default_configENS1_35adjacent_difference_config_selectorILb1EyEEZNS1_24adjacent_difference_implIS3_Lb1ELb0EPyN6thrust23THRUST_200600_302600_NS16discard_iteratorINS9_11use_defaultEEENS9_5minusIyEEEE10hipError_tPvRmT2_T3_mT4_P12ihipStream_tbEUlT_E_NS1_11comp_targetILNS1_3genE3ELNS1_11target_archE908ELNS1_3gpuE7ELNS1_3repE0EEENS1_30default_config_static_selectorELNS0_4arch9wavefront6targetE0EEEvT1_
    .private_segment_fixed_size: 0
    .sgpr_count:     0
    .sgpr_spill_count: 0
    .symbol:         _ZN7rocprim17ROCPRIM_400000_NS6detail17trampoline_kernelINS0_14default_configENS1_35adjacent_difference_config_selectorILb1EyEEZNS1_24adjacent_difference_implIS3_Lb1ELb0EPyN6thrust23THRUST_200600_302600_NS16discard_iteratorINS9_11use_defaultEEENS9_5minusIyEEEE10hipError_tPvRmT2_T3_mT4_P12ihipStream_tbEUlT_E_NS1_11comp_targetILNS1_3genE3ELNS1_11target_archE908ELNS1_3gpuE7ELNS1_3repE0EEENS1_30default_config_static_selectorELNS0_4arch9wavefront6targetE0EEEvT1_.kd
    .uniform_work_group_size: 1
    .uses_dynamic_stack: false
    .vgpr_count:     0
    .vgpr_spill_count: 0
    .wavefront_size: 32
    .workgroup_processor_mode: 1
  - .args:
      - .offset:         0
        .size:           64
        .value_kind:     by_value
    .group_segment_fixed_size: 0
    .kernarg_segment_align: 8
    .kernarg_segment_size: 64
    .language:       OpenCL C
    .language_version:
      - 2
      - 0
    .max_flat_workgroup_size: 128
    .name:           _ZN7rocprim17ROCPRIM_400000_NS6detail17trampoline_kernelINS0_14default_configENS1_35adjacent_difference_config_selectorILb1EyEEZNS1_24adjacent_difference_implIS3_Lb1ELb0EPyN6thrust23THRUST_200600_302600_NS16discard_iteratorINS9_11use_defaultEEENS9_5minusIyEEEE10hipError_tPvRmT2_T3_mT4_P12ihipStream_tbEUlT_E_NS1_11comp_targetILNS1_3genE2ELNS1_11target_archE906ELNS1_3gpuE6ELNS1_3repE0EEENS1_30default_config_static_selectorELNS0_4arch9wavefront6targetE0EEEvT1_
    .private_segment_fixed_size: 0
    .sgpr_count:     0
    .sgpr_spill_count: 0
    .symbol:         _ZN7rocprim17ROCPRIM_400000_NS6detail17trampoline_kernelINS0_14default_configENS1_35adjacent_difference_config_selectorILb1EyEEZNS1_24adjacent_difference_implIS3_Lb1ELb0EPyN6thrust23THRUST_200600_302600_NS16discard_iteratorINS9_11use_defaultEEENS9_5minusIyEEEE10hipError_tPvRmT2_T3_mT4_P12ihipStream_tbEUlT_E_NS1_11comp_targetILNS1_3genE2ELNS1_11target_archE906ELNS1_3gpuE6ELNS1_3repE0EEENS1_30default_config_static_selectorELNS0_4arch9wavefront6targetE0EEEvT1_.kd
    .uniform_work_group_size: 1
    .uses_dynamic_stack: false
    .vgpr_count:     0
    .vgpr_spill_count: 0
    .wavefront_size: 32
    .workgroup_processor_mode: 1
  - .args:
      - .offset:         0
        .size:           64
        .value_kind:     by_value
    .group_segment_fixed_size: 29696
    .kernarg_segment_align: 8
    .kernarg_segment_size: 64
    .language:       OpenCL C
    .language_version:
      - 2
      - 0
    .max_flat_workgroup_size: 128
    .name:           _ZN7rocprim17ROCPRIM_400000_NS6detail17trampoline_kernelINS0_14default_configENS1_35adjacent_difference_config_selectorILb1EyEEZNS1_24adjacent_difference_implIS3_Lb1ELb0EPyN6thrust23THRUST_200600_302600_NS16discard_iteratorINS9_11use_defaultEEENS9_5minusIyEEEE10hipError_tPvRmT2_T3_mT4_P12ihipStream_tbEUlT_E_NS1_11comp_targetILNS1_3genE9ELNS1_11target_archE1100ELNS1_3gpuE3ELNS1_3repE0EEENS1_30default_config_static_selectorELNS0_4arch9wavefront6targetE0EEEvT1_
    .private_segment_fixed_size: 0
    .sgpr_count:     20
    .sgpr_spill_count: 0
    .symbol:         _ZN7rocprim17ROCPRIM_400000_NS6detail17trampoline_kernelINS0_14default_configENS1_35adjacent_difference_config_selectorILb1EyEEZNS1_24adjacent_difference_implIS3_Lb1ELb0EPyN6thrust23THRUST_200600_302600_NS16discard_iteratorINS9_11use_defaultEEENS9_5minusIyEEEE10hipError_tPvRmT2_T3_mT4_P12ihipStream_tbEUlT_E_NS1_11comp_targetILNS1_3genE9ELNS1_11target_archE1100ELNS1_3gpuE3ELNS1_3repE0EEENS1_30default_config_static_selectorELNS0_4arch9wavefront6targetE0EEEvT1_.kd
    .uniform_work_group_size: 1
    .uses_dynamic_stack: false
    .vgpr_count:     120
    .vgpr_spill_count: 0
    .wavefront_size: 32
    .workgroup_processor_mode: 1
  - .args:
      - .offset:         0
        .size:           64
        .value_kind:     by_value
    .group_segment_fixed_size: 0
    .kernarg_segment_align: 8
    .kernarg_segment_size: 64
    .language:       OpenCL C
    .language_version:
      - 2
      - 0
    .max_flat_workgroup_size: 32
    .name:           _ZN7rocprim17ROCPRIM_400000_NS6detail17trampoline_kernelINS0_14default_configENS1_35adjacent_difference_config_selectorILb1EyEEZNS1_24adjacent_difference_implIS3_Lb1ELb0EPyN6thrust23THRUST_200600_302600_NS16discard_iteratorINS9_11use_defaultEEENS9_5minusIyEEEE10hipError_tPvRmT2_T3_mT4_P12ihipStream_tbEUlT_E_NS1_11comp_targetILNS1_3genE8ELNS1_11target_archE1030ELNS1_3gpuE2ELNS1_3repE0EEENS1_30default_config_static_selectorELNS0_4arch9wavefront6targetE0EEEvT1_
    .private_segment_fixed_size: 0
    .sgpr_count:     0
    .sgpr_spill_count: 0
    .symbol:         _ZN7rocprim17ROCPRIM_400000_NS6detail17trampoline_kernelINS0_14default_configENS1_35adjacent_difference_config_selectorILb1EyEEZNS1_24adjacent_difference_implIS3_Lb1ELb0EPyN6thrust23THRUST_200600_302600_NS16discard_iteratorINS9_11use_defaultEEENS9_5minusIyEEEE10hipError_tPvRmT2_T3_mT4_P12ihipStream_tbEUlT_E_NS1_11comp_targetILNS1_3genE8ELNS1_11target_archE1030ELNS1_3gpuE2ELNS1_3repE0EEENS1_30default_config_static_selectorELNS0_4arch9wavefront6targetE0EEEvT1_.kd
    .uniform_work_group_size: 1
    .uses_dynamic_stack: false
    .vgpr_count:     0
    .vgpr_spill_count: 0
    .wavefront_size: 32
    .workgroup_processor_mode: 1
  - .args:
      - .offset:         0
        .size:           56
        .value_kind:     by_value
    .group_segment_fixed_size: 0
    .kernarg_segment_align: 8
    .kernarg_segment_size: 56
    .language:       OpenCL C
    .language_version:
      - 2
      - 0
    .max_flat_workgroup_size: 128
    .name:           _ZN7rocprim17ROCPRIM_400000_NS6detail17trampoline_kernelINS0_14default_configENS1_25transform_config_selectorIjLb0EEEZNS1_14transform_implILb0ES3_S5_NS0_18transform_iteratorINS0_17counting_iteratorImlEEZNS1_24adjacent_difference_implIS3_Lb1ELb0EPjN6thrust23THRUST_200600_302600_NS16discard_iteratorINSD_11use_defaultEEENSD_5minusIjEEEE10hipError_tPvRmT2_T3_mT4_P12ihipStream_tbEUlmE_jEESB_NS0_8identityIvEEEESJ_SM_SN_mSO_SQ_bEUlT_E_NS1_11comp_targetILNS1_3genE0ELNS1_11target_archE4294967295ELNS1_3gpuE0ELNS1_3repE0EEENS1_30default_config_static_selectorELNS0_4arch9wavefront6targetE0EEEvT1_
    .private_segment_fixed_size: 0
    .sgpr_count:     0
    .sgpr_spill_count: 0
    .symbol:         _ZN7rocprim17ROCPRIM_400000_NS6detail17trampoline_kernelINS0_14default_configENS1_25transform_config_selectorIjLb0EEEZNS1_14transform_implILb0ES3_S5_NS0_18transform_iteratorINS0_17counting_iteratorImlEEZNS1_24adjacent_difference_implIS3_Lb1ELb0EPjN6thrust23THRUST_200600_302600_NS16discard_iteratorINSD_11use_defaultEEENSD_5minusIjEEEE10hipError_tPvRmT2_T3_mT4_P12ihipStream_tbEUlmE_jEESB_NS0_8identityIvEEEESJ_SM_SN_mSO_SQ_bEUlT_E_NS1_11comp_targetILNS1_3genE0ELNS1_11target_archE4294967295ELNS1_3gpuE0ELNS1_3repE0EEENS1_30default_config_static_selectorELNS0_4arch9wavefront6targetE0EEEvT1_.kd
    .uniform_work_group_size: 1
    .uses_dynamic_stack: false
    .vgpr_count:     0
    .vgpr_spill_count: 0
    .wavefront_size: 32
    .workgroup_processor_mode: 1
  - .args:
      - .offset:         0
        .size:           56
        .value_kind:     by_value
    .group_segment_fixed_size: 0
    .kernarg_segment_align: 8
    .kernarg_segment_size: 56
    .language:       OpenCL C
    .language_version:
      - 2
      - 0
    .max_flat_workgroup_size: 512
    .name:           _ZN7rocprim17ROCPRIM_400000_NS6detail17trampoline_kernelINS0_14default_configENS1_25transform_config_selectorIjLb0EEEZNS1_14transform_implILb0ES3_S5_NS0_18transform_iteratorINS0_17counting_iteratorImlEEZNS1_24adjacent_difference_implIS3_Lb1ELb0EPjN6thrust23THRUST_200600_302600_NS16discard_iteratorINSD_11use_defaultEEENSD_5minusIjEEEE10hipError_tPvRmT2_T3_mT4_P12ihipStream_tbEUlmE_jEESB_NS0_8identityIvEEEESJ_SM_SN_mSO_SQ_bEUlT_E_NS1_11comp_targetILNS1_3genE5ELNS1_11target_archE942ELNS1_3gpuE9ELNS1_3repE0EEENS1_30default_config_static_selectorELNS0_4arch9wavefront6targetE0EEEvT1_
    .private_segment_fixed_size: 0
    .sgpr_count:     0
    .sgpr_spill_count: 0
    .symbol:         _ZN7rocprim17ROCPRIM_400000_NS6detail17trampoline_kernelINS0_14default_configENS1_25transform_config_selectorIjLb0EEEZNS1_14transform_implILb0ES3_S5_NS0_18transform_iteratorINS0_17counting_iteratorImlEEZNS1_24adjacent_difference_implIS3_Lb1ELb0EPjN6thrust23THRUST_200600_302600_NS16discard_iteratorINSD_11use_defaultEEENSD_5minusIjEEEE10hipError_tPvRmT2_T3_mT4_P12ihipStream_tbEUlmE_jEESB_NS0_8identityIvEEEESJ_SM_SN_mSO_SQ_bEUlT_E_NS1_11comp_targetILNS1_3genE5ELNS1_11target_archE942ELNS1_3gpuE9ELNS1_3repE0EEENS1_30default_config_static_selectorELNS0_4arch9wavefront6targetE0EEEvT1_.kd
    .uniform_work_group_size: 1
    .uses_dynamic_stack: false
    .vgpr_count:     0
    .vgpr_spill_count: 0
    .wavefront_size: 32
    .workgroup_processor_mode: 1
  - .args:
      - .offset:         0
        .size:           56
        .value_kind:     by_value
    .group_segment_fixed_size: 0
    .kernarg_segment_align: 8
    .kernarg_segment_size: 56
    .language:       OpenCL C
    .language_version:
      - 2
      - 0
    .max_flat_workgroup_size: 1024
    .name:           _ZN7rocprim17ROCPRIM_400000_NS6detail17trampoline_kernelINS0_14default_configENS1_25transform_config_selectorIjLb0EEEZNS1_14transform_implILb0ES3_S5_NS0_18transform_iteratorINS0_17counting_iteratorImlEEZNS1_24adjacent_difference_implIS3_Lb1ELb0EPjN6thrust23THRUST_200600_302600_NS16discard_iteratorINSD_11use_defaultEEENSD_5minusIjEEEE10hipError_tPvRmT2_T3_mT4_P12ihipStream_tbEUlmE_jEESB_NS0_8identityIvEEEESJ_SM_SN_mSO_SQ_bEUlT_E_NS1_11comp_targetILNS1_3genE4ELNS1_11target_archE910ELNS1_3gpuE8ELNS1_3repE0EEENS1_30default_config_static_selectorELNS0_4arch9wavefront6targetE0EEEvT1_
    .private_segment_fixed_size: 0
    .sgpr_count:     0
    .sgpr_spill_count: 0
    .symbol:         _ZN7rocprim17ROCPRIM_400000_NS6detail17trampoline_kernelINS0_14default_configENS1_25transform_config_selectorIjLb0EEEZNS1_14transform_implILb0ES3_S5_NS0_18transform_iteratorINS0_17counting_iteratorImlEEZNS1_24adjacent_difference_implIS3_Lb1ELb0EPjN6thrust23THRUST_200600_302600_NS16discard_iteratorINSD_11use_defaultEEENSD_5minusIjEEEE10hipError_tPvRmT2_T3_mT4_P12ihipStream_tbEUlmE_jEESB_NS0_8identityIvEEEESJ_SM_SN_mSO_SQ_bEUlT_E_NS1_11comp_targetILNS1_3genE4ELNS1_11target_archE910ELNS1_3gpuE8ELNS1_3repE0EEENS1_30default_config_static_selectorELNS0_4arch9wavefront6targetE0EEEvT1_.kd
    .uniform_work_group_size: 1
    .uses_dynamic_stack: false
    .vgpr_count:     0
    .vgpr_spill_count: 0
    .wavefront_size: 32
    .workgroup_processor_mode: 1
  - .args:
      - .offset:         0
        .size:           56
        .value_kind:     by_value
    .group_segment_fixed_size: 0
    .kernarg_segment_align: 8
    .kernarg_segment_size: 56
    .language:       OpenCL C
    .language_version:
      - 2
      - 0
    .max_flat_workgroup_size: 128
    .name:           _ZN7rocprim17ROCPRIM_400000_NS6detail17trampoline_kernelINS0_14default_configENS1_25transform_config_selectorIjLb0EEEZNS1_14transform_implILb0ES3_S5_NS0_18transform_iteratorINS0_17counting_iteratorImlEEZNS1_24adjacent_difference_implIS3_Lb1ELb0EPjN6thrust23THRUST_200600_302600_NS16discard_iteratorINSD_11use_defaultEEENSD_5minusIjEEEE10hipError_tPvRmT2_T3_mT4_P12ihipStream_tbEUlmE_jEESB_NS0_8identityIvEEEESJ_SM_SN_mSO_SQ_bEUlT_E_NS1_11comp_targetILNS1_3genE3ELNS1_11target_archE908ELNS1_3gpuE7ELNS1_3repE0EEENS1_30default_config_static_selectorELNS0_4arch9wavefront6targetE0EEEvT1_
    .private_segment_fixed_size: 0
    .sgpr_count:     0
    .sgpr_spill_count: 0
    .symbol:         _ZN7rocprim17ROCPRIM_400000_NS6detail17trampoline_kernelINS0_14default_configENS1_25transform_config_selectorIjLb0EEEZNS1_14transform_implILb0ES3_S5_NS0_18transform_iteratorINS0_17counting_iteratorImlEEZNS1_24adjacent_difference_implIS3_Lb1ELb0EPjN6thrust23THRUST_200600_302600_NS16discard_iteratorINSD_11use_defaultEEENSD_5minusIjEEEE10hipError_tPvRmT2_T3_mT4_P12ihipStream_tbEUlmE_jEESB_NS0_8identityIvEEEESJ_SM_SN_mSO_SQ_bEUlT_E_NS1_11comp_targetILNS1_3genE3ELNS1_11target_archE908ELNS1_3gpuE7ELNS1_3repE0EEENS1_30default_config_static_selectorELNS0_4arch9wavefront6targetE0EEEvT1_.kd
    .uniform_work_group_size: 1
    .uses_dynamic_stack: false
    .vgpr_count:     0
    .vgpr_spill_count: 0
    .wavefront_size: 32
    .workgroup_processor_mode: 1
  - .args:
      - .offset:         0
        .size:           56
        .value_kind:     by_value
    .group_segment_fixed_size: 0
    .kernarg_segment_align: 8
    .kernarg_segment_size: 56
    .language:       OpenCL C
    .language_version:
      - 2
      - 0
    .max_flat_workgroup_size: 1024
    .name:           _ZN7rocprim17ROCPRIM_400000_NS6detail17trampoline_kernelINS0_14default_configENS1_25transform_config_selectorIjLb0EEEZNS1_14transform_implILb0ES3_S5_NS0_18transform_iteratorINS0_17counting_iteratorImlEEZNS1_24adjacent_difference_implIS3_Lb1ELb0EPjN6thrust23THRUST_200600_302600_NS16discard_iteratorINSD_11use_defaultEEENSD_5minusIjEEEE10hipError_tPvRmT2_T3_mT4_P12ihipStream_tbEUlmE_jEESB_NS0_8identityIvEEEESJ_SM_SN_mSO_SQ_bEUlT_E_NS1_11comp_targetILNS1_3genE2ELNS1_11target_archE906ELNS1_3gpuE6ELNS1_3repE0EEENS1_30default_config_static_selectorELNS0_4arch9wavefront6targetE0EEEvT1_
    .private_segment_fixed_size: 0
    .sgpr_count:     0
    .sgpr_spill_count: 0
    .symbol:         _ZN7rocprim17ROCPRIM_400000_NS6detail17trampoline_kernelINS0_14default_configENS1_25transform_config_selectorIjLb0EEEZNS1_14transform_implILb0ES3_S5_NS0_18transform_iteratorINS0_17counting_iteratorImlEEZNS1_24adjacent_difference_implIS3_Lb1ELb0EPjN6thrust23THRUST_200600_302600_NS16discard_iteratorINSD_11use_defaultEEENSD_5minusIjEEEE10hipError_tPvRmT2_T3_mT4_P12ihipStream_tbEUlmE_jEESB_NS0_8identityIvEEEESJ_SM_SN_mSO_SQ_bEUlT_E_NS1_11comp_targetILNS1_3genE2ELNS1_11target_archE906ELNS1_3gpuE6ELNS1_3repE0EEENS1_30default_config_static_selectorELNS0_4arch9wavefront6targetE0EEEvT1_.kd
    .uniform_work_group_size: 1
    .uses_dynamic_stack: false
    .vgpr_count:     0
    .vgpr_spill_count: 0
    .wavefront_size: 32
    .workgroup_processor_mode: 1
  - .args:
      - .offset:         0
        .size:           56
        .value_kind:     by_value
    .group_segment_fixed_size: 0
    .kernarg_segment_align: 8
    .kernarg_segment_size: 56
    .language:       OpenCL C
    .language_version:
      - 2
      - 0
    .max_flat_workgroup_size: 1024
    .name:           _ZN7rocprim17ROCPRIM_400000_NS6detail17trampoline_kernelINS0_14default_configENS1_25transform_config_selectorIjLb0EEEZNS1_14transform_implILb0ES3_S5_NS0_18transform_iteratorINS0_17counting_iteratorImlEEZNS1_24adjacent_difference_implIS3_Lb1ELb0EPjN6thrust23THRUST_200600_302600_NS16discard_iteratorINSD_11use_defaultEEENSD_5minusIjEEEE10hipError_tPvRmT2_T3_mT4_P12ihipStream_tbEUlmE_jEESB_NS0_8identityIvEEEESJ_SM_SN_mSO_SQ_bEUlT_E_NS1_11comp_targetILNS1_3genE10ELNS1_11target_archE1201ELNS1_3gpuE5ELNS1_3repE0EEENS1_30default_config_static_selectorELNS0_4arch9wavefront6targetE0EEEvT1_
    .private_segment_fixed_size: 0
    .sgpr_count:     0
    .sgpr_spill_count: 0
    .symbol:         _ZN7rocprim17ROCPRIM_400000_NS6detail17trampoline_kernelINS0_14default_configENS1_25transform_config_selectorIjLb0EEEZNS1_14transform_implILb0ES3_S5_NS0_18transform_iteratorINS0_17counting_iteratorImlEEZNS1_24adjacent_difference_implIS3_Lb1ELb0EPjN6thrust23THRUST_200600_302600_NS16discard_iteratorINSD_11use_defaultEEENSD_5minusIjEEEE10hipError_tPvRmT2_T3_mT4_P12ihipStream_tbEUlmE_jEESB_NS0_8identityIvEEEESJ_SM_SN_mSO_SQ_bEUlT_E_NS1_11comp_targetILNS1_3genE10ELNS1_11target_archE1201ELNS1_3gpuE5ELNS1_3repE0EEENS1_30default_config_static_selectorELNS0_4arch9wavefront6targetE0EEEvT1_.kd
    .uniform_work_group_size: 1
    .uses_dynamic_stack: false
    .vgpr_count:     0
    .vgpr_spill_count: 0
    .wavefront_size: 32
    .workgroup_processor_mode: 1
  - .args:
      - .offset:         0
        .size:           56
        .value_kind:     by_value
    .group_segment_fixed_size: 0
    .kernarg_segment_align: 8
    .kernarg_segment_size: 56
    .language:       OpenCL C
    .language_version:
      - 2
      - 0
    .max_flat_workgroup_size: 512
    .name:           _ZN7rocprim17ROCPRIM_400000_NS6detail17trampoline_kernelINS0_14default_configENS1_25transform_config_selectorIjLb0EEEZNS1_14transform_implILb0ES3_S5_NS0_18transform_iteratorINS0_17counting_iteratorImlEEZNS1_24adjacent_difference_implIS3_Lb1ELb0EPjN6thrust23THRUST_200600_302600_NS16discard_iteratorINSD_11use_defaultEEENSD_5minusIjEEEE10hipError_tPvRmT2_T3_mT4_P12ihipStream_tbEUlmE_jEESB_NS0_8identityIvEEEESJ_SM_SN_mSO_SQ_bEUlT_E_NS1_11comp_targetILNS1_3genE10ELNS1_11target_archE1200ELNS1_3gpuE4ELNS1_3repE0EEENS1_30default_config_static_selectorELNS0_4arch9wavefront6targetE0EEEvT1_
    .private_segment_fixed_size: 0
    .sgpr_count:     0
    .sgpr_spill_count: 0
    .symbol:         _ZN7rocprim17ROCPRIM_400000_NS6detail17trampoline_kernelINS0_14default_configENS1_25transform_config_selectorIjLb0EEEZNS1_14transform_implILb0ES3_S5_NS0_18transform_iteratorINS0_17counting_iteratorImlEEZNS1_24adjacent_difference_implIS3_Lb1ELb0EPjN6thrust23THRUST_200600_302600_NS16discard_iteratorINSD_11use_defaultEEENSD_5minusIjEEEE10hipError_tPvRmT2_T3_mT4_P12ihipStream_tbEUlmE_jEESB_NS0_8identityIvEEEESJ_SM_SN_mSO_SQ_bEUlT_E_NS1_11comp_targetILNS1_3genE10ELNS1_11target_archE1200ELNS1_3gpuE4ELNS1_3repE0EEENS1_30default_config_static_selectorELNS0_4arch9wavefront6targetE0EEEvT1_.kd
    .uniform_work_group_size: 1
    .uses_dynamic_stack: false
    .vgpr_count:     0
    .vgpr_spill_count: 0
    .wavefront_size: 32
    .workgroup_processor_mode: 1
  - .args:
      - .offset:         0
        .size:           56
        .value_kind:     by_value
      - .offset:         56
        .size:           4
        .value_kind:     hidden_block_count_x
      - .offset:         60
        .size:           4
        .value_kind:     hidden_block_count_y
      - .offset:         64
        .size:           4
        .value_kind:     hidden_block_count_z
      - .offset:         68
        .size:           2
        .value_kind:     hidden_group_size_x
      - .offset:         70
        .size:           2
        .value_kind:     hidden_group_size_y
      - .offset:         72
        .size:           2
        .value_kind:     hidden_group_size_z
      - .offset:         74
        .size:           2
        .value_kind:     hidden_remainder_x
      - .offset:         76
        .size:           2
        .value_kind:     hidden_remainder_y
      - .offset:         78
        .size:           2
        .value_kind:     hidden_remainder_z
      - .offset:         96
        .size:           8
        .value_kind:     hidden_global_offset_x
      - .offset:         104
        .size:           8
        .value_kind:     hidden_global_offset_y
      - .offset:         112
        .size:           8
        .value_kind:     hidden_global_offset_z
      - .offset:         120
        .size:           2
        .value_kind:     hidden_grid_dims
    .group_segment_fixed_size: 0
    .kernarg_segment_align: 8
    .kernarg_segment_size: 312
    .language:       OpenCL C
    .language_version:
      - 2
      - 0
    .max_flat_workgroup_size: 64
    .name:           _ZN7rocprim17ROCPRIM_400000_NS6detail17trampoline_kernelINS0_14default_configENS1_25transform_config_selectorIjLb0EEEZNS1_14transform_implILb0ES3_S5_NS0_18transform_iteratorINS0_17counting_iteratorImlEEZNS1_24adjacent_difference_implIS3_Lb1ELb0EPjN6thrust23THRUST_200600_302600_NS16discard_iteratorINSD_11use_defaultEEENSD_5minusIjEEEE10hipError_tPvRmT2_T3_mT4_P12ihipStream_tbEUlmE_jEESB_NS0_8identityIvEEEESJ_SM_SN_mSO_SQ_bEUlT_E_NS1_11comp_targetILNS1_3genE9ELNS1_11target_archE1100ELNS1_3gpuE3ELNS1_3repE0EEENS1_30default_config_static_selectorELNS0_4arch9wavefront6targetE0EEEvT1_
    .private_segment_fixed_size: 0
    .sgpr_count:     18
    .sgpr_spill_count: 0
    .symbol:         _ZN7rocprim17ROCPRIM_400000_NS6detail17trampoline_kernelINS0_14default_configENS1_25transform_config_selectorIjLb0EEEZNS1_14transform_implILb0ES3_S5_NS0_18transform_iteratorINS0_17counting_iteratorImlEEZNS1_24adjacent_difference_implIS3_Lb1ELb0EPjN6thrust23THRUST_200600_302600_NS16discard_iteratorINSD_11use_defaultEEENSD_5minusIjEEEE10hipError_tPvRmT2_T3_mT4_P12ihipStream_tbEUlmE_jEESB_NS0_8identityIvEEEESJ_SM_SN_mSO_SQ_bEUlT_E_NS1_11comp_targetILNS1_3genE9ELNS1_11target_archE1100ELNS1_3gpuE3ELNS1_3repE0EEENS1_30default_config_static_selectorELNS0_4arch9wavefront6targetE0EEEvT1_.kd
    .uniform_work_group_size: 1
    .uses_dynamic_stack: false
    .vgpr_count:     6
    .vgpr_spill_count: 0
    .wavefront_size: 32
    .workgroup_processor_mode: 1
  - .args:
      - .offset:         0
        .size:           56
        .value_kind:     by_value
    .group_segment_fixed_size: 0
    .kernarg_segment_align: 8
    .kernarg_segment_size: 56
    .language:       OpenCL C
    .language_version:
      - 2
      - 0
    .max_flat_workgroup_size: 256
    .name:           _ZN7rocprim17ROCPRIM_400000_NS6detail17trampoline_kernelINS0_14default_configENS1_25transform_config_selectorIjLb0EEEZNS1_14transform_implILb0ES3_S5_NS0_18transform_iteratorINS0_17counting_iteratorImlEEZNS1_24adjacent_difference_implIS3_Lb1ELb0EPjN6thrust23THRUST_200600_302600_NS16discard_iteratorINSD_11use_defaultEEENSD_5minusIjEEEE10hipError_tPvRmT2_T3_mT4_P12ihipStream_tbEUlmE_jEESB_NS0_8identityIvEEEESJ_SM_SN_mSO_SQ_bEUlT_E_NS1_11comp_targetILNS1_3genE8ELNS1_11target_archE1030ELNS1_3gpuE2ELNS1_3repE0EEENS1_30default_config_static_selectorELNS0_4arch9wavefront6targetE0EEEvT1_
    .private_segment_fixed_size: 0
    .sgpr_count:     0
    .sgpr_spill_count: 0
    .symbol:         _ZN7rocprim17ROCPRIM_400000_NS6detail17trampoline_kernelINS0_14default_configENS1_25transform_config_selectorIjLb0EEEZNS1_14transform_implILb0ES3_S5_NS0_18transform_iteratorINS0_17counting_iteratorImlEEZNS1_24adjacent_difference_implIS3_Lb1ELb0EPjN6thrust23THRUST_200600_302600_NS16discard_iteratorINSD_11use_defaultEEENSD_5minusIjEEEE10hipError_tPvRmT2_T3_mT4_P12ihipStream_tbEUlmE_jEESB_NS0_8identityIvEEEESJ_SM_SN_mSO_SQ_bEUlT_E_NS1_11comp_targetILNS1_3genE8ELNS1_11target_archE1030ELNS1_3gpuE2ELNS1_3repE0EEENS1_30default_config_static_selectorELNS0_4arch9wavefront6targetE0EEEvT1_.kd
    .uniform_work_group_size: 1
    .uses_dynamic_stack: false
    .vgpr_count:     0
    .vgpr_spill_count: 0
    .wavefront_size: 32
    .workgroup_processor_mode: 1
  - .args:
      - .offset:         0
        .size:           64
        .value_kind:     by_value
    .group_segment_fixed_size: 0
    .kernarg_segment_align: 8
    .kernarg_segment_size: 64
    .language:       OpenCL C
    .language_version:
      - 2
      - 0
    .max_flat_workgroup_size: 1024
    .name:           _ZN7rocprim17ROCPRIM_400000_NS6detail17trampoline_kernelINS0_14default_configENS1_35adjacent_difference_config_selectorILb1EjEEZNS1_24adjacent_difference_implIS3_Lb1ELb0EPjN6thrust23THRUST_200600_302600_NS16discard_iteratorINS9_11use_defaultEEENS9_5minusIjEEEE10hipError_tPvRmT2_T3_mT4_P12ihipStream_tbEUlT_E_NS1_11comp_targetILNS1_3genE0ELNS1_11target_archE4294967295ELNS1_3gpuE0ELNS1_3repE0EEENS1_30default_config_static_selectorELNS0_4arch9wavefront6targetE0EEEvT1_
    .private_segment_fixed_size: 0
    .sgpr_count:     0
    .sgpr_spill_count: 0
    .symbol:         _ZN7rocprim17ROCPRIM_400000_NS6detail17trampoline_kernelINS0_14default_configENS1_35adjacent_difference_config_selectorILb1EjEEZNS1_24adjacent_difference_implIS3_Lb1ELb0EPjN6thrust23THRUST_200600_302600_NS16discard_iteratorINS9_11use_defaultEEENS9_5minusIjEEEE10hipError_tPvRmT2_T3_mT4_P12ihipStream_tbEUlT_E_NS1_11comp_targetILNS1_3genE0ELNS1_11target_archE4294967295ELNS1_3gpuE0ELNS1_3repE0EEENS1_30default_config_static_selectorELNS0_4arch9wavefront6targetE0EEEvT1_.kd
    .uniform_work_group_size: 1
    .uses_dynamic_stack: false
    .vgpr_count:     0
    .vgpr_spill_count: 0
    .wavefront_size: 32
    .workgroup_processor_mode: 1
  - .args:
      - .offset:         0
        .size:           64
        .value_kind:     by_value
    .group_segment_fixed_size: 0
    .kernarg_segment_align: 8
    .kernarg_segment_size: 64
    .language:       OpenCL C
    .language_version:
      - 2
      - 0
    .max_flat_workgroup_size: 32
    .name:           _ZN7rocprim17ROCPRIM_400000_NS6detail17trampoline_kernelINS0_14default_configENS1_35adjacent_difference_config_selectorILb1EjEEZNS1_24adjacent_difference_implIS3_Lb1ELb0EPjN6thrust23THRUST_200600_302600_NS16discard_iteratorINS9_11use_defaultEEENS9_5minusIjEEEE10hipError_tPvRmT2_T3_mT4_P12ihipStream_tbEUlT_E_NS1_11comp_targetILNS1_3genE10ELNS1_11target_archE1201ELNS1_3gpuE5ELNS1_3repE0EEENS1_30default_config_static_selectorELNS0_4arch9wavefront6targetE0EEEvT1_
    .private_segment_fixed_size: 0
    .sgpr_count:     0
    .sgpr_spill_count: 0
    .symbol:         _ZN7rocprim17ROCPRIM_400000_NS6detail17trampoline_kernelINS0_14default_configENS1_35adjacent_difference_config_selectorILb1EjEEZNS1_24adjacent_difference_implIS3_Lb1ELb0EPjN6thrust23THRUST_200600_302600_NS16discard_iteratorINS9_11use_defaultEEENS9_5minusIjEEEE10hipError_tPvRmT2_T3_mT4_P12ihipStream_tbEUlT_E_NS1_11comp_targetILNS1_3genE10ELNS1_11target_archE1201ELNS1_3gpuE5ELNS1_3repE0EEENS1_30default_config_static_selectorELNS0_4arch9wavefront6targetE0EEEvT1_.kd
    .uniform_work_group_size: 1
    .uses_dynamic_stack: false
    .vgpr_count:     0
    .vgpr_spill_count: 0
    .wavefront_size: 32
    .workgroup_processor_mode: 1
  - .args:
      - .offset:         0
        .size:           64
        .value_kind:     by_value
    .group_segment_fixed_size: 0
    .kernarg_segment_align: 8
    .kernarg_segment_size: 64
    .language:       OpenCL C
    .language_version:
      - 2
      - 0
    .max_flat_workgroup_size: 512
    .name:           _ZN7rocprim17ROCPRIM_400000_NS6detail17trampoline_kernelINS0_14default_configENS1_35adjacent_difference_config_selectorILb1EjEEZNS1_24adjacent_difference_implIS3_Lb1ELb0EPjN6thrust23THRUST_200600_302600_NS16discard_iteratorINS9_11use_defaultEEENS9_5minusIjEEEE10hipError_tPvRmT2_T3_mT4_P12ihipStream_tbEUlT_E_NS1_11comp_targetILNS1_3genE5ELNS1_11target_archE942ELNS1_3gpuE9ELNS1_3repE0EEENS1_30default_config_static_selectorELNS0_4arch9wavefront6targetE0EEEvT1_
    .private_segment_fixed_size: 0
    .sgpr_count:     0
    .sgpr_spill_count: 0
    .symbol:         _ZN7rocprim17ROCPRIM_400000_NS6detail17trampoline_kernelINS0_14default_configENS1_35adjacent_difference_config_selectorILb1EjEEZNS1_24adjacent_difference_implIS3_Lb1ELb0EPjN6thrust23THRUST_200600_302600_NS16discard_iteratorINS9_11use_defaultEEENS9_5minusIjEEEE10hipError_tPvRmT2_T3_mT4_P12ihipStream_tbEUlT_E_NS1_11comp_targetILNS1_3genE5ELNS1_11target_archE942ELNS1_3gpuE9ELNS1_3repE0EEENS1_30default_config_static_selectorELNS0_4arch9wavefront6targetE0EEEvT1_.kd
    .uniform_work_group_size: 1
    .uses_dynamic_stack: false
    .vgpr_count:     0
    .vgpr_spill_count: 0
    .wavefront_size: 32
    .workgroup_processor_mode: 1
  - .args:
      - .offset:         0
        .size:           64
        .value_kind:     by_value
    .group_segment_fixed_size: 0
    .kernarg_segment_align: 8
    .kernarg_segment_size: 64
    .language:       OpenCL C
    .language_version:
      - 2
      - 0
    .max_flat_workgroup_size: 512
    .name:           _ZN7rocprim17ROCPRIM_400000_NS6detail17trampoline_kernelINS0_14default_configENS1_35adjacent_difference_config_selectorILb1EjEEZNS1_24adjacent_difference_implIS3_Lb1ELb0EPjN6thrust23THRUST_200600_302600_NS16discard_iteratorINS9_11use_defaultEEENS9_5minusIjEEEE10hipError_tPvRmT2_T3_mT4_P12ihipStream_tbEUlT_E_NS1_11comp_targetILNS1_3genE4ELNS1_11target_archE910ELNS1_3gpuE8ELNS1_3repE0EEENS1_30default_config_static_selectorELNS0_4arch9wavefront6targetE0EEEvT1_
    .private_segment_fixed_size: 0
    .sgpr_count:     0
    .sgpr_spill_count: 0
    .symbol:         _ZN7rocprim17ROCPRIM_400000_NS6detail17trampoline_kernelINS0_14default_configENS1_35adjacent_difference_config_selectorILb1EjEEZNS1_24adjacent_difference_implIS3_Lb1ELb0EPjN6thrust23THRUST_200600_302600_NS16discard_iteratorINS9_11use_defaultEEENS9_5minusIjEEEE10hipError_tPvRmT2_T3_mT4_P12ihipStream_tbEUlT_E_NS1_11comp_targetILNS1_3genE4ELNS1_11target_archE910ELNS1_3gpuE8ELNS1_3repE0EEENS1_30default_config_static_selectorELNS0_4arch9wavefront6targetE0EEEvT1_.kd
    .uniform_work_group_size: 1
    .uses_dynamic_stack: false
    .vgpr_count:     0
    .vgpr_spill_count: 0
    .wavefront_size: 32
    .workgroup_processor_mode: 1
  - .args:
      - .offset:         0
        .size:           64
        .value_kind:     by_value
    .group_segment_fixed_size: 0
    .kernarg_segment_align: 8
    .kernarg_segment_size: 64
    .language:       OpenCL C
    .language_version:
      - 2
      - 0
    .max_flat_workgroup_size: 1024
    .name:           _ZN7rocprim17ROCPRIM_400000_NS6detail17trampoline_kernelINS0_14default_configENS1_35adjacent_difference_config_selectorILb1EjEEZNS1_24adjacent_difference_implIS3_Lb1ELb0EPjN6thrust23THRUST_200600_302600_NS16discard_iteratorINS9_11use_defaultEEENS9_5minusIjEEEE10hipError_tPvRmT2_T3_mT4_P12ihipStream_tbEUlT_E_NS1_11comp_targetILNS1_3genE3ELNS1_11target_archE908ELNS1_3gpuE7ELNS1_3repE0EEENS1_30default_config_static_selectorELNS0_4arch9wavefront6targetE0EEEvT1_
    .private_segment_fixed_size: 0
    .sgpr_count:     0
    .sgpr_spill_count: 0
    .symbol:         _ZN7rocprim17ROCPRIM_400000_NS6detail17trampoline_kernelINS0_14default_configENS1_35adjacent_difference_config_selectorILb1EjEEZNS1_24adjacent_difference_implIS3_Lb1ELb0EPjN6thrust23THRUST_200600_302600_NS16discard_iteratorINS9_11use_defaultEEENS9_5minusIjEEEE10hipError_tPvRmT2_T3_mT4_P12ihipStream_tbEUlT_E_NS1_11comp_targetILNS1_3genE3ELNS1_11target_archE908ELNS1_3gpuE7ELNS1_3repE0EEENS1_30default_config_static_selectorELNS0_4arch9wavefront6targetE0EEEvT1_.kd
    .uniform_work_group_size: 1
    .uses_dynamic_stack: false
    .vgpr_count:     0
    .vgpr_spill_count: 0
    .wavefront_size: 32
    .workgroup_processor_mode: 1
  - .args:
      - .offset:         0
        .size:           64
        .value_kind:     by_value
    .group_segment_fixed_size: 0
    .kernarg_segment_align: 8
    .kernarg_segment_size: 64
    .language:       OpenCL C
    .language_version:
      - 2
      - 0
    .max_flat_workgroup_size: 256
    .name:           _ZN7rocprim17ROCPRIM_400000_NS6detail17trampoline_kernelINS0_14default_configENS1_35adjacent_difference_config_selectorILb1EjEEZNS1_24adjacent_difference_implIS3_Lb1ELb0EPjN6thrust23THRUST_200600_302600_NS16discard_iteratorINS9_11use_defaultEEENS9_5minusIjEEEE10hipError_tPvRmT2_T3_mT4_P12ihipStream_tbEUlT_E_NS1_11comp_targetILNS1_3genE2ELNS1_11target_archE906ELNS1_3gpuE6ELNS1_3repE0EEENS1_30default_config_static_selectorELNS0_4arch9wavefront6targetE0EEEvT1_
    .private_segment_fixed_size: 0
    .sgpr_count:     0
    .sgpr_spill_count: 0
    .symbol:         _ZN7rocprim17ROCPRIM_400000_NS6detail17trampoline_kernelINS0_14default_configENS1_35adjacent_difference_config_selectorILb1EjEEZNS1_24adjacent_difference_implIS3_Lb1ELb0EPjN6thrust23THRUST_200600_302600_NS16discard_iteratorINS9_11use_defaultEEENS9_5minusIjEEEE10hipError_tPvRmT2_T3_mT4_P12ihipStream_tbEUlT_E_NS1_11comp_targetILNS1_3genE2ELNS1_11target_archE906ELNS1_3gpuE6ELNS1_3repE0EEENS1_30default_config_static_selectorELNS0_4arch9wavefront6targetE0EEEvT1_.kd
    .uniform_work_group_size: 1
    .uses_dynamic_stack: false
    .vgpr_count:     0
    .vgpr_spill_count: 0
    .wavefront_size: 32
    .workgroup_processor_mode: 1
  - .args:
      - .offset:         0
        .size:           64
        .value_kind:     by_value
    .group_segment_fixed_size: 14848
    .kernarg_segment_align: 8
    .kernarg_segment_size: 64
    .language:       OpenCL C
    .language_version:
      - 2
      - 0
    .max_flat_workgroup_size: 128
    .name:           _ZN7rocprim17ROCPRIM_400000_NS6detail17trampoline_kernelINS0_14default_configENS1_35adjacent_difference_config_selectorILb1EjEEZNS1_24adjacent_difference_implIS3_Lb1ELb0EPjN6thrust23THRUST_200600_302600_NS16discard_iteratorINS9_11use_defaultEEENS9_5minusIjEEEE10hipError_tPvRmT2_T3_mT4_P12ihipStream_tbEUlT_E_NS1_11comp_targetILNS1_3genE9ELNS1_11target_archE1100ELNS1_3gpuE3ELNS1_3repE0EEENS1_30default_config_static_selectorELNS0_4arch9wavefront6targetE0EEEvT1_
    .private_segment_fixed_size: 0
    .sgpr_count:     34
    .sgpr_spill_count: 0
    .symbol:         _ZN7rocprim17ROCPRIM_400000_NS6detail17trampoline_kernelINS0_14default_configENS1_35adjacent_difference_config_selectorILb1EjEEZNS1_24adjacent_difference_implIS3_Lb1ELb0EPjN6thrust23THRUST_200600_302600_NS16discard_iteratorINS9_11use_defaultEEENS9_5minusIjEEEE10hipError_tPvRmT2_T3_mT4_P12ihipStream_tbEUlT_E_NS1_11comp_targetILNS1_3genE9ELNS1_11target_archE1100ELNS1_3gpuE3ELNS1_3repE0EEENS1_30default_config_static_selectorELNS0_4arch9wavefront6targetE0EEEvT1_.kd
    .uniform_work_group_size: 1
    .uses_dynamic_stack: false
    .vgpr_count:     63
    .vgpr_spill_count: 0
    .wavefront_size: 32
    .workgroup_processor_mode: 1
  - .args:
      - .offset:         0
        .size:           64
        .value_kind:     by_value
    .group_segment_fixed_size: 0
    .kernarg_segment_align: 8
    .kernarg_segment_size: 64
    .language:       OpenCL C
    .language_version:
      - 2
      - 0
    .max_flat_workgroup_size: 32
    .name:           _ZN7rocprim17ROCPRIM_400000_NS6detail17trampoline_kernelINS0_14default_configENS1_35adjacent_difference_config_selectorILb1EjEEZNS1_24adjacent_difference_implIS3_Lb1ELb0EPjN6thrust23THRUST_200600_302600_NS16discard_iteratorINS9_11use_defaultEEENS9_5minusIjEEEE10hipError_tPvRmT2_T3_mT4_P12ihipStream_tbEUlT_E_NS1_11comp_targetILNS1_3genE8ELNS1_11target_archE1030ELNS1_3gpuE2ELNS1_3repE0EEENS1_30default_config_static_selectorELNS0_4arch9wavefront6targetE0EEEvT1_
    .private_segment_fixed_size: 0
    .sgpr_count:     0
    .sgpr_spill_count: 0
    .symbol:         _ZN7rocprim17ROCPRIM_400000_NS6detail17trampoline_kernelINS0_14default_configENS1_35adjacent_difference_config_selectorILb1EjEEZNS1_24adjacent_difference_implIS3_Lb1ELb0EPjN6thrust23THRUST_200600_302600_NS16discard_iteratorINS9_11use_defaultEEENS9_5minusIjEEEE10hipError_tPvRmT2_T3_mT4_P12ihipStream_tbEUlT_E_NS1_11comp_targetILNS1_3genE8ELNS1_11target_archE1030ELNS1_3gpuE2ELNS1_3repE0EEENS1_30default_config_static_selectorELNS0_4arch9wavefront6targetE0EEEvT1_.kd
    .uniform_work_group_size: 1
    .uses_dynamic_stack: false
    .vgpr_count:     0
    .vgpr_spill_count: 0
    .wavefront_size: 32
    .workgroup_processor_mode: 1
  - .args:
      - .offset:         0
        .size:           56
        .value_kind:     by_value
    .group_segment_fixed_size: 0
    .kernarg_segment_align: 8
    .kernarg_segment_size: 56
    .language:       OpenCL C
    .language_version:
      - 2
      - 0
    .max_flat_workgroup_size: 128
    .name:           _ZN7rocprim17ROCPRIM_400000_NS6detail17trampoline_kernelINS0_14default_configENS1_25transform_config_selectorItLb0EEEZNS1_14transform_implILb0ES3_S5_NS0_18transform_iteratorINS0_17counting_iteratorImlEEZNS1_24adjacent_difference_implIS3_Lb1ELb0EPtN6thrust23THRUST_200600_302600_NS16discard_iteratorINSD_11use_defaultEEENSD_5minusItEEEE10hipError_tPvRmT2_T3_mT4_P12ihipStream_tbEUlmE_tEESB_NS0_8identityIvEEEESJ_SM_SN_mSO_SQ_bEUlT_E_NS1_11comp_targetILNS1_3genE0ELNS1_11target_archE4294967295ELNS1_3gpuE0ELNS1_3repE0EEENS1_30default_config_static_selectorELNS0_4arch9wavefront6targetE0EEEvT1_
    .private_segment_fixed_size: 0
    .sgpr_count:     0
    .sgpr_spill_count: 0
    .symbol:         _ZN7rocprim17ROCPRIM_400000_NS6detail17trampoline_kernelINS0_14default_configENS1_25transform_config_selectorItLb0EEEZNS1_14transform_implILb0ES3_S5_NS0_18transform_iteratorINS0_17counting_iteratorImlEEZNS1_24adjacent_difference_implIS3_Lb1ELb0EPtN6thrust23THRUST_200600_302600_NS16discard_iteratorINSD_11use_defaultEEENSD_5minusItEEEE10hipError_tPvRmT2_T3_mT4_P12ihipStream_tbEUlmE_tEESB_NS0_8identityIvEEEESJ_SM_SN_mSO_SQ_bEUlT_E_NS1_11comp_targetILNS1_3genE0ELNS1_11target_archE4294967295ELNS1_3gpuE0ELNS1_3repE0EEENS1_30default_config_static_selectorELNS0_4arch9wavefront6targetE0EEEvT1_.kd
    .uniform_work_group_size: 1
    .uses_dynamic_stack: false
    .vgpr_count:     0
    .vgpr_spill_count: 0
    .wavefront_size: 32
    .workgroup_processor_mode: 1
  - .args:
      - .offset:         0
        .size:           56
        .value_kind:     by_value
    .group_segment_fixed_size: 0
    .kernarg_segment_align: 8
    .kernarg_segment_size: 56
    .language:       OpenCL C
    .language_version:
      - 2
      - 0
    .max_flat_workgroup_size: 256
    .name:           _ZN7rocprim17ROCPRIM_400000_NS6detail17trampoline_kernelINS0_14default_configENS1_25transform_config_selectorItLb0EEEZNS1_14transform_implILb0ES3_S5_NS0_18transform_iteratorINS0_17counting_iteratorImlEEZNS1_24adjacent_difference_implIS3_Lb1ELb0EPtN6thrust23THRUST_200600_302600_NS16discard_iteratorINSD_11use_defaultEEENSD_5minusItEEEE10hipError_tPvRmT2_T3_mT4_P12ihipStream_tbEUlmE_tEESB_NS0_8identityIvEEEESJ_SM_SN_mSO_SQ_bEUlT_E_NS1_11comp_targetILNS1_3genE5ELNS1_11target_archE942ELNS1_3gpuE9ELNS1_3repE0EEENS1_30default_config_static_selectorELNS0_4arch9wavefront6targetE0EEEvT1_
    .private_segment_fixed_size: 0
    .sgpr_count:     0
    .sgpr_spill_count: 0
    .symbol:         _ZN7rocprim17ROCPRIM_400000_NS6detail17trampoline_kernelINS0_14default_configENS1_25transform_config_selectorItLb0EEEZNS1_14transform_implILb0ES3_S5_NS0_18transform_iteratorINS0_17counting_iteratorImlEEZNS1_24adjacent_difference_implIS3_Lb1ELb0EPtN6thrust23THRUST_200600_302600_NS16discard_iteratorINSD_11use_defaultEEENSD_5minusItEEEE10hipError_tPvRmT2_T3_mT4_P12ihipStream_tbEUlmE_tEESB_NS0_8identityIvEEEESJ_SM_SN_mSO_SQ_bEUlT_E_NS1_11comp_targetILNS1_3genE5ELNS1_11target_archE942ELNS1_3gpuE9ELNS1_3repE0EEENS1_30default_config_static_selectorELNS0_4arch9wavefront6targetE0EEEvT1_.kd
    .uniform_work_group_size: 1
    .uses_dynamic_stack: false
    .vgpr_count:     0
    .vgpr_spill_count: 0
    .wavefront_size: 32
    .workgroup_processor_mode: 1
  - .args:
      - .offset:         0
        .size:           56
        .value_kind:     by_value
    .group_segment_fixed_size: 0
    .kernarg_segment_align: 8
    .kernarg_segment_size: 56
    .language:       OpenCL C
    .language_version:
      - 2
      - 0
    .max_flat_workgroup_size: 64
    .name:           _ZN7rocprim17ROCPRIM_400000_NS6detail17trampoline_kernelINS0_14default_configENS1_25transform_config_selectorItLb0EEEZNS1_14transform_implILb0ES3_S5_NS0_18transform_iteratorINS0_17counting_iteratorImlEEZNS1_24adjacent_difference_implIS3_Lb1ELb0EPtN6thrust23THRUST_200600_302600_NS16discard_iteratorINSD_11use_defaultEEENSD_5minusItEEEE10hipError_tPvRmT2_T3_mT4_P12ihipStream_tbEUlmE_tEESB_NS0_8identityIvEEEESJ_SM_SN_mSO_SQ_bEUlT_E_NS1_11comp_targetILNS1_3genE4ELNS1_11target_archE910ELNS1_3gpuE8ELNS1_3repE0EEENS1_30default_config_static_selectorELNS0_4arch9wavefront6targetE0EEEvT1_
    .private_segment_fixed_size: 0
    .sgpr_count:     0
    .sgpr_spill_count: 0
    .symbol:         _ZN7rocprim17ROCPRIM_400000_NS6detail17trampoline_kernelINS0_14default_configENS1_25transform_config_selectorItLb0EEEZNS1_14transform_implILb0ES3_S5_NS0_18transform_iteratorINS0_17counting_iteratorImlEEZNS1_24adjacent_difference_implIS3_Lb1ELb0EPtN6thrust23THRUST_200600_302600_NS16discard_iteratorINSD_11use_defaultEEENSD_5minusItEEEE10hipError_tPvRmT2_T3_mT4_P12ihipStream_tbEUlmE_tEESB_NS0_8identityIvEEEESJ_SM_SN_mSO_SQ_bEUlT_E_NS1_11comp_targetILNS1_3genE4ELNS1_11target_archE910ELNS1_3gpuE8ELNS1_3repE0EEENS1_30default_config_static_selectorELNS0_4arch9wavefront6targetE0EEEvT1_.kd
    .uniform_work_group_size: 1
    .uses_dynamic_stack: false
    .vgpr_count:     0
    .vgpr_spill_count: 0
    .wavefront_size: 32
    .workgroup_processor_mode: 1
  - .args:
      - .offset:         0
        .size:           56
        .value_kind:     by_value
    .group_segment_fixed_size: 0
    .kernarg_segment_align: 8
    .kernarg_segment_size: 56
    .language:       OpenCL C
    .language_version:
      - 2
      - 0
    .max_flat_workgroup_size: 128
    .name:           _ZN7rocprim17ROCPRIM_400000_NS6detail17trampoline_kernelINS0_14default_configENS1_25transform_config_selectorItLb0EEEZNS1_14transform_implILb0ES3_S5_NS0_18transform_iteratorINS0_17counting_iteratorImlEEZNS1_24adjacent_difference_implIS3_Lb1ELb0EPtN6thrust23THRUST_200600_302600_NS16discard_iteratorINSD_11use_defaultEEENSD_5minusItEEEE10hipError_tPvRmT2_T3_mT4_P12ihipStream_tbEUlmE_tEESB_NS0_8identityIvEEEESJ_SM_SN_mSO_SQ_bEUlT_E_NS1_11comp_targetILNS1_3genE3ELNS1_11target_archE908ELNS1_3gpuE7ELNS1_3repE0EEENS1_30default_config_static_selectorELNS0_4arch9wavefront6targetE0EEEvT1_
    .private_segment_fixed_size: 0
    .sgpr_count:     0
    .sgpr_spill_count: 0
    .symbol:         _ZN7rocprim17ROCPRIM_400000_NS6detail17trampoline_kernelINS0_14default_configENS1_25transform_config_selectorItLb0EEEZNS1_14transform_implILb0ES3_S5_NS0_18transform_iteratorINS0_17counting_iteratorImlEEZNS1_24adjacent_difference_implIS3_Lb1ELb0EPtN6thrust23THRUST_200600_302600_NS16discard_iteratorINSD_11use_defaultEEENSD_5minusItEEEE10hipError_tPvRmT2_T3_mT4_P12ihipStream_tbEUlmE_tEESB_NS0_8identityIvEEEESJ_SM_SN_mSO_SQ_bEUlT_E_NS1_11comp_targetILNS1_3genE3ELNS1_11target_archE908ELNS1_3gpuE7ELNS1_3repE0EEENS1_30default_config_static_selectorELNS0_4arch9wavefront6targetE0EEEvT1_.kd
    .uniform_work_group_size: 1
    .uses_dynamic_stack: false
    .vgpr_count:     0
    .vgpr_spill_count: 0
    .wavefront_size: 32
    .workgroup_processor_mode: 1
  - .args:
      - .offset:         0
        .size:           56
        .value_kind:     by_value
    .group_segment_fixed_size: 0
    .kernarg_segment_align: 8
    .kernarg_segment_size: 56
    .language:       OpenCL C
    .language_version:
      - 2
      - 0
    .max_flat_workgroup_size: 512
    .name:           _ZN7rocprim17ROCPRIM_400000_NS6detail17trampoline_kernelINS0_14default_configENS1_25transform_config_selectorItLb0EEEZNS1_14transform_implILb0ES3_S5_NS0_18transform_iteratorINS0_17counting_iteratorImlEEZNS1_24adjacent_difference_implIS3_Lb1ELb0EPtN6thrust23THRUST_200600_302600_NS16discard_iteratorINSD_11use_defaultEEENSD_5minusItEEEE10hipError_tPvRmT2_T3_mT4_P12ihipStream_tbEUlmE_tEESB_NS0_8identityIvEEEESJ_SM_SN_mSO_SQ_bEUlT_E_NS1_11comp_targetILNS1_3genE2ELNS1_11target_archE906ELNS1_3gpuE6ELNS1_3repE0EEENS1_30default_config_static_selectorELNS0_4arch9wavefront6targetE0EEEvT1_
    .private_segment_fixed_size: 0
    .sgpr_count:     0
    .sgpr_spill_count: 0
    .symbol:         _ZN7rocprim17ROCPRIM_400000_NS6detail17trampoline_kernelINS0_14default_configENS1_25transform_config_selectorItLb0EEEZNS1_14transform_implILb0ES3_S5_NS0_18transform_iteratorINS0_17counting_iteratorImlEEZNS1_24adjacent_difference_implIS3_Lb1ELb0EPtN6thrust23THRUST_200600_302600_NS16discard_iteratorINSD_11use_defaultEEENSD_5minusItEEEE10hipError_tPvRmT2_T3_mT4_P12ihipStream_tbEUlmE_tEESB_NS0_8identityIvEEEESJ_SM_SN_mSO_SQ_bEUlT_E_NS1_11comp_targetILNS1_3genE2ELNS1_11target_archE906ELNS1_3gpuE6ELNS1_3repE0EEENS1_30default_config_static_selectorELNS0_4arch9wavefront6targetE0EEEvT1_.kd
    .uniform_work_group_size: 1
    .uses_dynamic_stack: false
    .vgpr_count:     0
    .vgpr_spill_count: 0
    .wavefront_size: 32
    .workgroup_processor_mode: 1
  - .args:
      - .offset:         0
        .size:           56
        .value_kind:     by_value
    .group_segment_fixed_size: 0
    .kernarg_segment_align: 8
    .kernarg_segment_size: 56
    .language:       OpenCL C
    .language_version:
      - 2
      - 0
    .max_flat_workgroup_size: 1024
    .name:           _ZN7rocprim17ROCPRIM_400000_NS6detail17trampoline_kernelINS0_14default_configENS1_25transform_config_selectorItLb0EEEZNS1_14transform_implILb0ES3_S5_NS0_18transform_iteratorINS0_17counting_iteratorImlEEZNS1_24adjacent_difference_implIS3_Lb1ELb0EPtN6thrust23THRUST_200600_302600_NS16discard_iteratorINSD_11use_defaultEEENSD_5minusItEEEE10hipError_tPvRmT2_T3_mT4_P12ihipStream_tbEUlmE_tEESB_NS0_8identityIvEEEESJ_SM_SN_mSO_SQ_bEUlT_E_NS1_11comp_targetILNS1_3genE10ELNS1_11target_archE1201ELNS1_3gpuE5ELNS1_3repE0EEENS1_30default_config_static_selectorELNS0_4arch9wavefront6targetE0EEEvT1_
    .private_segment_fixed_size: 0
    .sgpr_count:     0
    .sgpr_spill_count: 0
    .symbol:         _ZN7rocprim17ROCPRIM_400000_NS6detail17trampoline_kernelINS0_14default_configENS1_25transform_config_selectorItLb0EEEZNS1_14transform_implILb0ES3_S5_NS0_18transform_iteratorINS0_17counting_iteratorImlEEZNS1_24adjacent_difference_implIS3_Lb1ELb0EPtN6thrust23THRUST_200600_302600_NS16discard_iteratorINSD_11use_defaultEEENSD_5minusItEEEE10hipError_tPvRmT2_T3_mT4_P12ihipStream_tbEUlmE_tEESB_NS0_8identityIvEEEESJ_SM_SN_mSO_SQ_bEUlT_E_NS1_11comp_targetILNS1_3genE10ELNS1_11target_archE1201ELNS1_3gpuE5ELNS1_3repE0EEENS1_30default_config_static_selectorELNS0_4arch9wavefront6targetE0EEEvT1_.kd
    .uniform_work_group_size: 1
    .uses_dynamic_stack: false
    .vgpr_count:     0
    .vgpr_spill_count: 0
    .wavefront_size: 32
    .workgroup_processor_mode: 1
  - .args:
      - .offset:         0
        .size:           56
        .value_kind:     by_value
    .group_segment_fixed_size: 0
    .kernarg_segment_align: 8
    .kernarg_segment_size: 56
    .language:       OpenCL C
    .language_version:
      - 2
      - 0
    .max_flat_workgroup_size: 512
    .name:           _ZN7rocprim17ROCPRIM_400000_NS6detail17trampoline_kernelINS0_14default_configENS1_25transform_config_selectorItLb0EEEZNS1_14transform_implILb0ES3_S5_NS0_18transform_iteratorINS0_17counting_iteratorImlEEZNS1_24adjacent_difference_implIS3_Lb1ELb0EPtN6thrust23THRUST_200600_302600_NS16discard_iteratorINSD_11use_defaultEEENSD_5minusItEEEE10hipError_tPvRmT2_T3_mT4_P12ihipStream_tbEUlmE_tEESB_NS0_8identityIvEEEESJ_SM_SN_mSO_SQ_bEUlT_E_NS1_11comp_targetILNS1_3genE10ELNS1_11target_archE1200ELNS1_3gpuE4ELNS1_3repE0EEENS1_30default_config_static_selectorELNS0_4arch9wavefront6targetE0EEEvT1_
    .private_segment_fixed_size: 0
    .sgpr_count:     0
    .sgpr_spill_count: 0
    .symbol:         _ZN7rocprim17ROCPRIM_400000_NS6detail17trampoline_kernelINS0_14default_configENS1_25transform_config_selectorItLb0EEEZNS1_14transform_implILb0ES3_S5_NS0_18transform_iteratorINS0_17counting_iteratorImlEEZNS1_24adjacent_difference_implIS3_Lb1ELb0EPtN6thrust23THRUST_200600_302600_NS16discard_iteratorINSD_11use_defaultEEENSD_5minusItEEEE10hipError_tPvRmT2_T3_mT4_P12ihipStream_tbEUlmE_tEESB_NS0_8identityIvEEEESJ_SM_SN_mSO_SQ_bEUlT_E_NS1_11comp_targetILNS1_3genE10ELNS1_11target_archE1200ELNS1_3gpuE4ELNS1_3repE0EEENS1_30default_config_static_selectorELNS0_4arch9wavefront6targetE0EEEvT1_.kd
    .uniform_work_group_size: 1
    .uses_dynamic_stack: false
    .vgpr_count:     0
    .vgpr_spill_count: 0
    .wavefront_size: 32
    .workgroup_processor_mode: 1
  - .args:
      - .offset:         0
        .size:           56
        .value_kind:     by_value
      - .offset:         56
        .size:           4
        .value_kind:     hidden_block_count_x
      - .offset:         60
        .size:           4
        .value_kind:     hidden_block_count_y
      - .offset:         64
        .size:           4
        .value_kind:     hidden_block_count_z
      - .offset:         68
        .size:           2
        .value_kind:     hidden_group_size_x
      - .offset:         70
        .size:           2
        .value_kind:     hidden_group_size_y
      - .offset:         72
        .size:           2
        .value_kind:     hidden_group_size_z
      - .offset:         74
        .size:           2
        .value_kind:     hidden_remainder_x
      - .offset:         76
        .size:           2
        .value_kind:     hidden_remainder_y
      - .offset:         78
        .size:           2
        .value_kind:     hidden_remainder_z
      - .offset:         96
        .size:           8
        .value_kind:     hidden_global_offset_x
      - .offset:         104
        .size:           8
        .value_kind:     hidden_global_offset_y
      - .offset:         112
        .size:           8
        .value_kind:     hidden_global_offset_z
      - .offset:         120
        .size:           2
        .value_kind:     hidden_grid_dims
    .group_segment_fixed_size: 0
    .kernarg_segment_align: 8
    .kernarg_segment_size: 312
    .language:       OpenCL C
    .language_version:
      - 2
      - 0
    .max_flat_workgroup_size: 1024
    .name:           _ZN7rocprim17ROCPRIM_400000_NS6detail17trampoline_kernelINS0_14default_configENS1_25transform_config_selectorItLb0EEEZNS1_14transform_implILb0ES3_S5_NS0_18transform_iteratorINS0_17counting_iteratorImlEEZNS1_24adjacent_difference_implIS3_Lb1ELb0EPtN6thrust23THRUST_200600_302600_NS16discard_iteratorINSD_11use_defaultEEENSD_5minusItEEEE10hipError_tPvRmT2_T3_mT4_P12ihipStream_tbEUlmE_tEESB_NS0_8identityIvEEEESJ_SM_SN_mSO_SQ_bEUlT_E_NS1_11comp_targetILNS1_3genE9ELNS1_11target_archE1100ELNS1_3gpuE3ELNS1_3repE0EEENS1_30default_config_static_selectorELNS0_4arch9wavefront6targetE0EEEvT1_
    .private_segment_fixed_size: 0
    .sgpr_count:     20
    .sgpr_spill_count: 0
    .symbol:         _ZN7rocprim17ROCPRIM_400000_NS6detail17trampoline_kernelINS0_14default_configENS1_25transform_config_selectorItLb0EEEZNS1_14transform_implILb0ES3_S5_NS0_18transform_iteratorINS0_17counting_iteratorImlEEZNS1_24adjacent_difference_implIS3_Lb1ELb0EPtN6thrust23THRUST_200600_302600_NS16discard_iteratorINSD_11use_defaultEEENSD_5minusItEEEE10hipError_tPvRmT2_T3_mT4_P12ihipStream_tbEUlmE_tEESB_NS0_8identityIvEEEESJ_SM_SN_mSO_SQ_bEUlT_E_NS1_11comp_targetILNS1_3genE9ELNS1_11target_archE1100ELNS1_3gpuE3ELNS1_3repE0EEENS1_30default_config_static_selectorELNS0_4arch9wavefront6targetE0EEEvT1_.kd
    .uniform_work_group_size: 1
    .uses_dynamic_stack: false
    .vgpr_count:     8
    .vgpr_spill_count: 0
    .wavefront_size: 32
    .workgroup_processor_mode: 1
  - .args:
      - .offset:         0
        .size:           56
        .value_kind:     by_value
    .group_segment_fixed_size: 0
    .kernarg_segment_align: 8
    .kernarg_segment_size: 56
    .language:       OpenCL C
    .language_version:
      - 2
      - 0
    .max_flat_workgroup_size: 1024
    .name:           _ZN7rocprim17ROCPRIM_400000_NS6detail17trampoline_kernelINS0_14default_configENS1_25transform_config_selectorItLb0EEEZNS1_14transform_implILb0ES3_S5_NS0_18transform_iteratorINS0_17counting_iteratorImlEEZNS1_24adjacent_difference_implIS3_Lb1ELb0EPtN6thrust23THRUST_200600_302600_NS16discard_iteratorINSD_11use_defaultEEENSD_5minusItEEEE10hipError_tPvRmT2_T3_mT4_P12ihipStream_tbEUlmE_tEESB_NS0_8identityIvEEEESJ_SM_SN_mSO_SQ_bEUlT_E_NS1_11comp_targetILNS1_3genE8ELNS1_11target_archE1030ELNS1_3gpuE2ELNS1_3repE0EEENS1_30default_config_static_selectorELNS0_4arch9wavefront6targetE0EEEvT1_
    .private_segment_fixed_size: 0
    .sgpr_count:     0
    .sgpr_spill_count: 0
    .symbol:         _ZN7rocprim17ROCPRIM_400000_NS6detail17trampoline_kernelINS0_14default_configENS1_25transform_config_selectorItLb0EEEZNS1_14transform_implILb0ES3_S5_NS0_18transform_iteratorINS0_17counting_iteratorImlEEZNS1_24adjacent_difference_implIS3_Lb1ELb0EPtN6thrust23THRUST_200600_302600_NS16discard_iteratorINSD_11use_defaultEEENSD_5minusItEEEE10hipError_tPvRmT2_T3_mT4_P12ihipStream_tbEUlmE_tEESB_NS0_8identityIvEEEESJ_SM_SN_mSO_SQ_bEUlT_E_NS1_11comp_targetILNS1_3genE8ELNS1_11target_archE1030ELNS1_3gpuE2ELNS1_3repE0EEENS1_30default_config_static_selectorELNS0_4arch9wavefront6targetE0EEEvT1_.kd
    .uniform_work_group_size: 1
    .uses_dynamic_stack: false
    .vgpr_count:     0
    .vgpr_spill_count: 0
    .wavefront_size: 32
    .workgroup_processor_mode: 1
  - .args:
      - .offset:         0
        .size:           64
        .value_kind:     by_value
    .group_segment_fixed_size: 0
    .kernarg_segment_align: 8
    .kernarg_segment_size: 64
    .language:       OpenCL C
    .language_version:
      - 2
      - 0
    .max_flat_workgroup_size: 32
    .name:           _ZN7rocprim17ROCPRIM_400000_NS6detail17trampoline_kernelINS0_14default_configENS1_35adjacent_difference_config_selectorILb1EtEEZNS1_24adjacent_difference_implIS3_Lb1ELb0EPtN6thrust23THRUST_200600_302600_NS16discard_iteratorINS9_11use_defaultEEENS9_5minusItEEEE10hipError_tPvRmT2_T3_mT4_P12ihipStream_tbEUlT_E_NS1_11comp_targetILNS1_3genE0ELNS1_11target_archE4294967295ELNS1_3gpuE0ELNS1_3repE0EEENS1_30default_config_static_selectorELNS0_4arch9wavefront6targetE0EEEvT1_
    .private_segment_fixed_size: 0
    .sgpr_count:     0
    .sgpr_spill_count: 0
    .symbol:         _ZN7rocprim17ROCPRIM_400000_NS6detail17trampoline_kernelINS0_14default_configENS1_35adjacent_difference_config_selectorILb1EtEEZNS1_24adjacent_difference_implIS3_Lb1ELb0EPtN6thrust23THRUST_200600_302600_NS16discard_iteratorINS9_11use_defaultEEENS9_5minusItEEEE10hipError_tPvRmT2_T3_mT4_P12ihipStream_tbEUlT_E_NS1_11comp_targetILNS1_3genE0ELNS1_11target_archE4294967295ELNS1_3gpuE0ELNS1_3repE0EEENS1_30default_config_static_selectorELNS0_4arch9wavefront6targetE0EEEvT1_.kd
    .uniform_work_group_size: 1
    .uses_dynamic_stack: false
    .vgpr_count:     0
    .vgpr_spill_count: 0
    .wavefront_size: 32
    .workgroup_processor_mode: 1
  - .args:
      - .offset:         0
        .size:           64
        .value_kind:     by_value
    .group_segment_fixed_size: 0
    .kernarg_segment_align: 8
    .kernarg_segment_size: 64
    .language:       OpenCL C
    .language_version:
      - 2
      - 0
    .max_flat_workgroup_size: 512
    .name:           _ZN7rocprim17ROCPRIM_400000_NS6detail17trampoline_kernelINS0_14default_configENS1_35adjacent_difference_config_selectorILb1EtEEZNS1_24adjacent_difference_implIS3_Lb1ELb0EPtN6thrust23THRUST_200600_302600_NS16discard_iteratorINS9_11use_defaultEEENS9_5minusItEEEE10hipError_tPvRmT2_T3_mT4_P12ihipStream_tbEUlT_E_NS1_11comp_targetILNS1_3genE10ELNS1_11target_archE1201ELNS1_3gpuE5ELNS1_3repE0EEENS1_30default_config_static_selectorELNS0_4arch9wavefront6targetE0EEEvT1_
    .private_segment_fixed_size: 0
    .sgpr_count:     0
    .sgpr_spill_count: 0
    .symbol:         _ZN7rocprim17ROCPRIM_400000_NS6detail17trampoline_kernelINS0_14default_configENS1_35adjacent_difference_config_selectorILb1EtEEZNS1_24adjacent_difference_implIS3_Lb1ELb0EPtN6thrust23THRUST_200600_302600_NS16discard_iteratorINS9_11use_defaultEEENS9_5minusItEEEE10hipError_tPvRmT2_T3_mT4_P12ihipStream_tbEUlT_E_NS1_11comp_targetILNS1_3genE10ELNS1_11target_archE1201ELNS1_3gpuE5ELNS1_3repE0EEENS1_30default_config_static_selectorELNS0_4arch9wavefront6targetE0EEEvT1_.kd
    .uniform_work_group_size: 1
    .uses_dynamic_stack: false
    .vgpr_count:     0
    .vgpr_spill_count: 0
    .wavefront_size: 32
    .workgroup_processor_mode: 1
  - .args:
      - .offset:         0
        .size:           64
        .value_kind:     by_value
    .group_segment_fixed_size: 0
    .kernarg_segment_align: 8
    .kernarg_segment_size: 64
    .language:       OpenCL C
    .language_version:
      - 2
      - 0
    .max_flat_workgroup_size: 64
    .name:           _ZN7rocprim17ROCPRIM_400000_NS6detail17trampoline_kernelINS0_14default_configENS1_35adjacent_difference_config_selectorILb1EtEEZNS1_24adjacent_difference_implIS3_Lb1ELb0EPtN6thrust23THRUST_200600_302600_NS16discard_iteratorINS9_11use_defaultEEENS9_5minusItEEEE10hipError_tPvRmT2_T3_mT4_P12ihipStream_tbEUlT_E_NS1_11comp_targetILNS1_3genE5ELNS1_11target_archE942ELNS1_3gpuE9ELNS1_3repE0EEENS1_30default_config_static_selectorELNS0_4arch9wavefront6targetE0EEEvT1_
    .private_segment_fixed_size: 0
    .sgpr_count:     0
    .sgpr_spill_count: 0
    .symbol:         _ZN7rocprim17ROCPRIM_400000_NS6detail17trampoline_kernelINS0_14default_configENS1_35adjacent_difference_config_selectorILb1EtEEZNS1_24adjacent_difference_implIS3_Lb1ELb0EPtN6thrust23THRUST_200600_302600_NS16discard_iteratorINS9_11use_defaultEEENS9_5minusItEEEE10hipError_tPvRmT2_T3_mT4_P12ihipStream_tbEUlT_E_NS1_11comp_targetILNS1_3genE5ELNS1_11target_archE942ELNS1_3gpuE9ELNS1_3repE0EEENS1_30default_config_static_selectorELNS0_4arch9wavefront6targetE0EEEvT1_.kd
    .uniform_work_group_size: 1
    .uses_dynamic_stack: false
    .vgpr_count:     0
    .vgpr_spill_count: 0
    .wavefront_size: 32
    .workgroup_processor_mode: 1
  - .args:
      - .offset:         0
        .size:           64
        .value_kind:     by_value
    .group_segment_fixed_size: 0
    .kernarg_segment_align: 8
    .kernarg_segment_size: 64
    .language:       OpenCL C
    .language_version:
      - 2
      - 0
    .max_flat_workgroup_size: 64
    .name:           _ZN7rocprim17ROCPRIM_400000_NS6detail17trampoline_kernelINS0_14default_configENS1_35adjacent_difference_config_selectorILb1EtEEZNS1_24adjacent_difference_implIS3_Lb1ELb0EPtN6thrust23THRUST_200600_302600_NS16discard_iteratorINS9_11use_defaultEEENS9_5minusItEEEE10hipError_tPvRmT2_T3_mT4_P12ihipStream_tbEUlT_E_NS1_11comp_targetILNS1_3genE4ELNS1_11target_archE910ELNS1_3gpuE8ELNS1_3repE0EEENS1_30default_config_static_selectorELNS0_4arch9wavefront6targetE0EEEvT1_
    .private_segment_fixed_size: 0
    .sgpr_count:     0
    .sgpr_spill_count: 0
    .symbol:         _ZN7rocprim17ROCPRIM_400000_NS6detail17trampoline_kernelINS0_14default_configENS1_35adjacent_difference_config_selectorILb1EtEEZNS1_24adjacent_difference_implIS3_Lb1ELb0EPtN6thrust23THRUST_200600_302600_NS16discard_iteratorINS9_11use_defaultEEENS9_5minusItEEEE10hipError_tPvRmT2_T3_mT4_P12ihipStream_tbEUlT_E_NS1_11comp_targetILNS1_3genE4ELNS1_11target_archE910ELNS1_3gpuE8ELNS1_3repE0EEENS1_30default_config_static_selectorELNS0_4arch9wavefront6targetE0EEEvT1_.kd
    .uniform_work_group_size: 1
    .uses_dynamic_stack: false
    .vgpr_count:     0
    .vgpr_spill_count: 0
    .wavefront_size: 32
    .workgroup_processor_mode: 1
  - .args:
      - .offset:         0
        .size:           64
        .value_kind:     by_value
    .group_segment_fixed_size: 0
    .kernarg_segment_align: 8
    .kernarg_segment_size: 64
    .language:       OpenCL C
    .language_version:
      - 2
      - 0
    .max_flat_workgroup_size: 32
    .name:           _ZN7rocprim17ROCPRIM_400000_NS6detail17trampoline_kernelINS0_14default_configENS1_35adjacent_difference_config_selectorILb1EtEEZNS1_24adjacent_difference_implIS3_Lb1ELb0EPtN6thrust23THRUST_200600_302600_NS16discard_iteratorINS9_11use_defaultEEENS9_5minusItEEEE10hipError_tPvRmT2_T3_mT4_P12ihipStream_tbEUlT_E_NS1_11comp_targetILNS1_3genE3ELNS1_11target_archE908ELNS1_3gpuE7ELNS1_3repE0EEENS1_30default_config_static_selectorELNS0_4arch9wavefront6targetE0EEEvT1_
    .private_segment_fixed_size: 0
    .sgpr_count:     0
    .sgpr_spill_count: 0
    .symbol:         _ZN7rocprim17ROCPRIM_400000_NS6detail17trampoline_kernelINS0_14default_configENS1_35adjacent_difference_config_selectorILb1EtEEZNS1_24adjacent_difference_implIS3_Lb1ELb0EPtN6thrust23THRUST_200600_302600_NS16discard_iteratorINS9_11use_defaultEEENS9_5minusItEEEE10hipError_tPvRmT2_T3_mT4_P12ihipStream_tbEUlT_E_NS1_11comp_targetILNS1_3genE3ELNS1_11target_archE908ELNS1_3gpuE7ELNS1_3repE0EEENS1_30default_config_static_selectorELNS0_4arch9wavefront6targetE0EEEvT1_.kd
    .uniform_work_group_size: 1
    .uses_dynamic_stack: false
    .vgpr_count:     0
    .vgpr_spill_count: 0
    .wavefront_size: 32
    .workgroup_processor_mode: 1
  - .args:
      - .offset:         0
        .size:           64
        .value_kind:     by_value
    .group_segment_fixed_size: 0
    .kernarg_segment_align: 8
    .kernarg_segment_size: 64
    .language:       OpenCL C
    .language_version:
      - 2
      - 0
    .max_flat_workgroup_size: 64
    .name:           _ZN7rocprim17ROCPRIM_400000_NS6detail17trampoline_kernelINS0_14default_configENS1_35adjacent_difference_config_selectorILb1EtEEZNS1_24adjacent_difference_implIS3_Lb1ELb0EPtN6thrust23THRUST_200600_302600_NS16discard_iteratorINS9_11use_defaultEEENS9_5minusItEEEE10hipError_tPvRmT2_T3_mT4_P12ihipStream_tbEUlT_E_NS1_11comp_targetILNS1_3genE2ELNS1_11target_archE906ELNS1_3gpuE6ELNS1_3repE0EEENS1_30default_config_static_selectorELNS0_4arch9wavefront6targetE0EEEvT1_
    .private_segment_fixed_size: 0
    .sgpr_count:     0
    .sgpr_spill_count: 0
    .symbol:         _ZN7rocprim17ROCPRIM_400000_NS6detail17trampoline_kernelINS0_14default_configENS1_35adjacent_difference_config_selectorILb1EtEEZNS1_24adjacent_difference_implIS3_Lb1ELb0EPtN6thrust23THRUST_200600_302600_NS16discard_iteratorINS9_11use_defaultEEENS9_5minusItEEEE10hipError_tPvRmT2_T3_mT4_P12ihipStream_tbEUlT_E_NS1_11comp_targetILNS1_3genE2ELNS1_11target_archE906ELNS1_3gpuE6ELNS1_3repE0EEENS1_30default_config_static_selectorELNS0_4arch9wavefront6targetE0EEEvT1_.kd
    .uniform_work_group_size: 1
    .uses_dynamic_stack: false
    .vgpr_count:     0
    .vgpr_spill_count: 0
    .wavefront_size: 32
    .workgroup_processor_mode: 1
  - .args:
      - .offset:         0
        .size:           64
        .value_kind:     by_value
    .group_segment_fixed_size: 5888
    .kernarg_segment_align: 8
    .kernarg_segment_size: 64
    .language:       OpenCL C
    .language_version:
      - 2
      - 0
    .max_flat_workgroup_size: 128
    .name:           _ZN7rocprim17ROCPRIM_400000_NS6detail17trampoline_kernelINS0_14default_configENS1_35adjacent_difference_config_selectorILb1EtEEZNS1_24adjacent_difference_implIS3_Lb1ELb0EPtN6thrust23THRUST_200600_302600_NS16discard_iteratorINS9_11use_defaultEEENS9_5minusItEEEE10hipError_tPvRmT2_T3_mT4_P12ihipStream_tbEUlT_E_NS1_11comp_targetILNS1_3genE9ELNS1_11target_archE1100ELNS1_3gpuE3ELNS1_3repE0EEENS1_30default_config_static_selectorELNS0_4arch9wavefront6targetE0EEEvT1_
    .private_segment_fixed_size: 0
    .sgpr_count:     24
    .sgpr_spill_count: 0
    .symbol:         _ZN7rocprim17ROCPRIM_400000_NS6detail17trampoline_kernelINS0_14default_configENS1_35adjacent_difference_config_selectorILb1EtEEZNS1_24adjacent_difference_implIS3_Lb1ELb0EPtN6thrust23THRUST_200600_302600_NS16discard_iteratorINS9_11use_defaultEEENS9_5minusItEEEE10hipError_tPvRmT2_T3_mT4_P12ihipStream_tbEUlT_E_NS1_11comp_targetILNS1_3genE9ELNS1_11target_archE1100ELNS1_3gpuE3ELNS1_3repE0EEENS1_30default_config_static_selectorELNS0_4arch9wavefront6targetE0EEEvT1_.kd
    .uniform_work_group_size: 1
    .uses_dynamic_stack: false
    .vgpr_count:     49
    .vgpr_spill_count: 0
    .wavefront_size: 32
    .workgroup_processor_mode: 1
  - .args:
      - .offset:         0
        .size:           64
        .value_kind:     by_value
    .group_segment_fixed_size: 0
    .kernarg_segment_align: 8
    .kernarg_segment_size: 64
    .language:       OpenCL C
    .language_version:
      - 2
      - 0
    .max_flat_workgroup_size: 512
    .name:           _ZN7rocprim17ROCPRIM_400000_NS6detail17trampoline_kernelINS0_14default_configENS1_35adjacent_difference_config_selectorILb1EtEEZNS1_24adjacent_difference_implIS3_Lb1ELb0EPtN6thrust23THRUST_200600_302600_NS16discard_iteratorINS9_11use_defaultEEENS9_5minusItEEEE10hipError_tPvRmT2_T3_mT4_P12ihipStream_tbEUlT_E_NS1_11comp_targetILNS1_3genE8ELNS1_11target_archE1030ELNS1_3gpuE2ELNS1_3repE0EEENS1_30default_config_static_selectorELNS0_4arch9wavefront6targetE0EEEvT1_
    .private_segment_fixed_size: 0
    .sgpr_count:     0
    .sgpr_spill_count: 0
    .symbol:         _ZN7rocprim17ROCPRIM_400000_NS6detail17trampoline_kernelINS0_14default_configENS1_35adjacent_difference_config_selectorILb1EtEEZNS1_24adjacent_difference_implIS3_Lb1ELb0EPtN6thrust23THRUST_200600_302600_NS16discard_iteratorINS9_11use_defaultEEENS9_5minusItEEEE10hipError_tPvRmT2_T3_mT4_P12ihipStream_tbEUlT_E_NS1_11comp_targetILNS1_3genE8ELNS1_11target_archE1030ELNS1_3gpuE2ELNS1_3repE0EEENS1_30default_config_static_selectorELNS0_4arch9wavefront6targetE0EEEvT1_.kd
    .uniform_work_group_size: 1
    .uses_dynamic_stack: false
    .vgpr_count:     0
    .vgpr_spill_count: 0
    .wavefront_size: 32
    .workgroup_processor_mode: 1
  - .args:
      - .offset:         0
        .size:           56
        .value_kind:     by_value
    .group_segment_fixed_size: 0
    .kernarg_segment_align: 8
    .kernarg_segment_size: 56
    .language:       OpenCL C
    .language_version:
      - 2
      - 0
    .max_flat_workgroup_size: 128
    .name:           _ZN7rocprim17ROCPRIM_400000_NS6detail17trampoline_kernelINS0_14default_configENS1_25transform_config_selectorIxLb0EEEZNS1_14transform_implILb0ES3_S5_NS0_18transform_iteratorINS0_17counting_iteratorImlEEZNS1_24adjacent_difference_implIS3_Lb1ELb0EPxN6thrust23THRUST_200600_302600_NS16discard_iteratorINSD_11use_defaultEEENSD_5minusIxEEEE10hipError_tPvRmT2_T3_mT4_P12ihipStream_tbEUlmE_xEESB_NS0_8identityIvEEEESJ_SM_SN_mSO_SQ_bEUlT_E_NS1_11comp_targetILNS1_3genE0ELNS1_11target_archE4294967295ELNS1_3gpuE0ELNS1_3repE0EEENS1_30default_config_static_selectorELNS0_4arch9wavefront6targetE0EEEvT1_
    .private_segment_fixed_size: 0
    .sgpr_count:     0
    .sgpr_spill_count: 0
    .symbol:         _ZN7rocprim17ROCPRIM_400000_NS6detail17trampoline_kernelINS0_14default_configENS1_25transform_config_selectorIxLb0EEEZNS1_14transform_implILb0ES3_S5_NS0_18transform_iteratorINS0_17counting_iteratorImlEEZNS1_24adjacent_difference_implIS3_Lb1ELb0EPxN6thrust23THRUST_200600_302600_NS16discard_iteratorINSD_11use_defaultEEENSD_5minusIxEEEE10hipError_tPvRmT2_T3_mT4_P12ihipStream_tbEUlmE_xEESB_NS0_8identityIvEEEESJ_SM_SN_mSO_SQ_bEUlT_E_NS1_11comp_targetILNS1_3genE0ELNS1_11target_archE4294967295ELNS1_3gpuE0ELNS1_3repE0EEENS1_30default_config_static_selectorELNS0_4arch9wavefront6targetE0EEEvT1_.kd
    .uniform_work_group_size: 1
    .uses_dynamic_stack: false
    .vgpr_count:     0
    .vgpr_spill_count: 0
    .wavefront_size: 32
    .workgroup_processor_mode: 1
  - .args:
      - .offset:         0
        .size:           56
        .value_kind:     by_value
    .group_segment_fixed_size: 0
    .kernarg_segment_align: 8
    .kernarg_segment_size: 56
    .language:       OpenCL C
    .language_version:
      - 2
      - 0
    .max_flat_workgroup_size: 512
    .name:           _ZN7rocprim17ROCPRIM_400000_NS6detail17trampoline_kernelINS0_14default_configENS1_25transform_config_selectorIxLb0EEEZNS1_14transform_implILb0ES3_S5_NS0_18transform_iteratorINS0_17counting_iteratorImlEEZNS1_24adjacent_difference_implIS3_Lb1ELb0EPxN6thrust23THRUST_200600_302600_NS16discard_iteratorINSD_11use_defaultEEENSD_5minusIxEEEE10hipError_tPvRmT2_T3_mT4_P12ihipStream_tbEUlmE_xEESB_NS0_8identityIvEEEESJ_SM_SN_mSO_SQ_bEUlT_E_NS1_11comp_targetILNS1_3genE5ELNS1_11target_archE942ELNS1_3gpuE9ELNS1_3repE0EEENS1_30default_config_static_selectorELNS0_4arch9wavefront6targetE0EEEvT1_
    .private_segment_fixed_size: 0
    .sgpr_count:     0
    .sgpr_spill_count: 0
    .symbol:         _ZN7rocprim17ROCPRIM_400000_NS6detail17trampoline_kernelINS0_14default_configENS1_25transform_config_selectorIxLb0EEEZNS1_14transform_implILb0ES3_S5_NS0_18transform_iteratorINS0_17counting_iteratorImlEEZNS1_24adjacent_difference_implIS3_Lb1ELb0EPxN6thrust23THRUST_200600_302600_NS16discard_iteratorINSD_11use_defaultEEENSD_5minusIxEEEE10hipError_tPvRmT2_T3_mT4_P12ihipStream_tbEUlmE_xEESB_NS0_8identityIvEEEESJ_SM_SN_mSO_SQ_bEUlT_E_NS1_11comp_targetILNS1_3genE5ELNS1_11target_archE942ELNS1_3gpuE9ELNS1_3repE0EEENS1_30default_config_static_selectorELNS0_4arch9wavefront6targetE0EEEvT1_.kd
    .uniform_work_group_size: 1
    .uses_dynamic_stack: false
    .vgpr_count:     0
    .vgpr_spill_count: 0
    .wavefront_size: 32
    .workgroup_processor_mode: 1
  - .args:
      - .offset:         0
        .size:           56
        .value_kind:     by_value
    .group_segment_fixed_size: 0
    .kernarg_segment_align: 8
    .kernarg_segment_size: 56
    .language:       OpenCL C
    .language_version:
      - 2
      - 0
    .max_flat_workgroup_size: 256
    .name:           _ZN7rocprim17ROCPRIM_400000_NS6detail17trampoline_kernelINS0_14default_configENS1_25transform_config_selectorIxLb0EEEZNS1_14transform_implILb0ES3_S5_NS0_18transform_iteratorINS0_17counting_iteratorImlEEZNS1_24adjacent_difference_implIS3_Lb1ELb0EPxN6thrust23THRUST_200600_302600_NS16discard_iteratorINSD_11use_defaultEEENSD_5minusIxEEEE10hipError_tPvRmT2_T3_mT4_P12ihipStream_tbEUlmE_xEESB_NS0_8identityIvEEEESJ_SM_SN_mSO_SQ_bEUlT_E_NS1_11comp_targetILNS1_3genE4ELNS1_11target_archE910ELNS1_3gpuE8ELNS1_3repE0EEENS1_30default_config_static_selectorELNS0_4arch9wavefront6targetE0EEEvT1_
    .private_segment_fixed_size: 0
    .sgpr_count:     0
    .sgpr_spill_count: 0
    .symbol:         _ZN7rocprim17ROCPRIM_400000_NS6detail17trampoline_kernelINS0_14default_configENS1_25transform_config_selectorIxLb0EEEZNS1_14transform_implILb0ES3_S5_NS0_18transform_iteratorINS0_17counting_iteratorImlEEZNS1_24adjacent_difference_implIS3_Lb1ELb0EPxN6thrust23THRUST_200600_302600_NS16discard_iteratorINSD_11use_defaultEEENSD_5minusIxEEEE10hipError_tPvRmT2_T3_mT4_P12ihipStream_tbEUlmE_xEESB_NS0_8identityIvEEEESJ_SM_SN_mSO_SQ_bEUlT_E_NS1_11comp_targetILNS1_3genE4ELNS1_11target_archE910ELNS1_3gpuE8ELNS1_3repE0EEENS1_30default_config_static_selectorELNS0_4arch9wavefront6targetE0EEEvT1_.kd
    .uniform_work_group_size: 1
    .uses_dynamic_stack: false
    .vgpr_count:     0
    .vgpr_spill_count: 0
    .wavefront_size: 32
    .workgroup_processor_mode: 1
  - .args:
      - .offset:         0
        .size:           56
        .value_kind:     by_value
    .group_segment_fixed_size: 0
    .kernarg_segment_align: 8
    .kernarg_segment_size: 56
    .language:       OpenCL C
    .language_version:
      - 2
      - 0
    .max_flat_workgroup_size: 128
    .name:           _ZN7rocprim17ROCPRIM_400000_NS6detail17trampoline_kernelINS0_14default_configENS1_25transform_config_selectorIxLb0EEEZNS1_14transform_implILb0ES3_S5_NS0_18transform_iteratorINS0_17counting_iteratorImlEEZNS1_24adjacent_difference_implIS3_Lb1ELb0EPxN6thrust23THRUST_200600_302600_NS16discard_iteratorINSD_11use_defaultEEENSD_5minusIxEEEE10hipError_tPvRmT2_T3_mT4_P12ihipStream_tbEUlmE_xEESB_NS0_8identityIvEEEESJ_SM_SN_mSO_SQ_bEUlT_E_NS1_11comp_targetILNS1_3genE3ELNS1_11target_archE908ELNS1_3gpuE7ELNS1_3repE0EEENS1_30default_config_static_selectorELNS0_4arch9wavefront6targetE0EEEvT1_
    .private_segment_fixed_size: 0
    .sgpr_count:     0
    .sgpr_spill_count: 0
    .symbol:         _ZN7rocprim17ROCPRIM_400000_NS6detail17trampoline_kernelINS0_14default_configENS1_25transform_config_selectorIxLb0EEEZNS1_14transform_implILb0ES3_S5_NS0_18transform_iteratorINS0_17counting_iteratorImlEEZNS1_24adjacent_difference_implIS3_Lb1ELb0EPxN6thrust23THRUST_200600_302600_NS16discard_iteratorINSD_11use_defaultEEENSD_5minusIxEEEE10hipError_tPvRmT2_T3_mT4_P12ihipStream_tbEUlmE_xEESB_NS0_8identityIvEEEESJ_SM_SN_mSO_SQ_bEUlT_E_NS1_11comp_targetILNS1_3genE3ELNS1_11target_archE908ELNS1_3gpuE7ELNS1_3repE0EEENS1_30default_config_static_selectorELNS0_4arch9wavefront6targetE0EEEvT1_.kd
    .uniform_work_group_size: 1
    .uses_dynamic_stack: false
    .vgpr_count:     0
    .vgpr_spill_count: 0
    .wavefront_size: 32
    .workgroup_processor_mode: 1
  - .args:
      - .offset:         0
        .size:           56
        .value_kind:     by_value
    .group_segment_fixed_size: 0
    .kernarg_segment_align: 8
    .kernarg_segment_size: 56
    .language:       OpenCL C
    .language_version:
      - 2
      - 0
    .max_flat_workgroup_size: 512
    .name:           _ZN7rocprim17ROCPRIM_400000_NS6detail17trampoline_kernelINS0_14default_configENS1_25transform_config_selectorIxLb0EEEZNS1_14transform_implILb0ES3_S5_NS0_18transform_iteratorINS0_17counting_iteratorImlEEZNS1_24adjacent_difference_implIS3_Lb1ELb0EPxN6thrust23THRUST_200600_302600_NS16discard_iteratorINSD_11use_defaultEEENSD_5minusIxEEEE10hipError_tPvRmT2_T3_mT4_P12ihipStream_tbEUlmE_xEESB_NS0_8identityIvEEEESJ_SM_SN_mSO_SQ_bEUlT_E_NS1_11comp_targetILNS1_3genE2ELNS1_11target_archE906ELNS1_3gpuE6ELNS1_3repE0EEENS1_30default_config_static_selectorELNS0_4arch9wavefront6targetE0EEEvT1_
    .private_segment_fixed_size: 0
    .sgpr_count:     0
    .sgpr_spill_count: 0
    .symbol:         _ZN7rocprim17ROCPRIM_400000_NS6detail17trampoline_kernelINS0_14default_configENS1_25transform_config_selectorIxLb0EEEZNS1_14transform_implILb0ES3_S5_NS0_18transform_iteratorINS0_17counting_iteratorImlEEZNS1_24adjacent_difference_implIS3_Lb1ELb0EPxN6thrust23THRUST_200600_302600_NS16discard_iteratorINSD_11use_defaultEEENSD_5minusIxEEEE10hipError_tPvRmT2_T3_mT4_P12ihipStream_tbEUlmE_xEESB_NS0_8identityIvEEEESJ_SM_SN_mSO_SQ_bEUlT_E_NS1_11comp_targetILNS1_3genE2ELNS1_11target_archE906ELNS1_3gpuE6ELNS1_3repE0EEENS1_30default_config_static_selectorELNS0_4arch9wavefront6targetE0EEEvT1_.kd
    .uniform_work_group_size: 1
    .uses_dynamic_stack: false
    .vgpr_count:     0
    .vgpr_spill_count: 0
    .wavefront_size: 32
    .workgroup_processor_mode: 1
  - .args:
      - .offset:         0
        .size:           56
        .value_kind:     by_value
    .group_segment_fixed_size: 0
    .kernarg_segment_align: 8
    .kernarg_segment_size: 56
    .language:       OpenCL C
    .language_version:
      - 2
      - 0
    .max_flat_workgroup_size: 1024
    .name:           _ZN7rocprim17ROCPRIM_400000_NS6detail17trampoline_kernelINS0_14default_configENS1_25transform_config_selectorIxLb0EEEZNS1_14transform_implILb0ES3_S5_NS0_18transform_iteratorINS0_17counting_iteratorImlEEZNS1_24adjacent_difference_implIS3_Lb1ELb0EPxN6thrust23THRUST_200600_302600_NS16discard_iteratorINSD_11use_defaultEEENSD_5minusIxEEEE10hipError_tPvRmT2_T3_mT4_P12ihipStream_tbEUlmE_xEESB_NS0_8identityIvEEEESJ_SM_SN_mSO_SQ_bEUlT_E_NS1_11comp_targetILNS1_3genE10ELNS1_11target_archE1201ELNS1_3gpuE5ELNS1_3repE0EEENS1_30default_config_static_selectorELNS0_4arch9wavefront6targetE0EEEvT1_
    .private_segment_fixed_size: 0
    .sgpr_count:     0
    .sgpr_spill_count: 0
    .symbol:         _ZN7rocprim17ROCPRIM_400000_NS6detail17trampoline_kernelINS0_14default_configENS1_25transform_config_selectorIxLb0EEEZNS1_14transform_implILb0ES3_S5_NS0_18transform_iteratorINS0_17counting_iteratorImlEEZNS1_24adjacent_difference_implIS3_Lb1ELb0EPxN6thrust23THRUST_200600_302600_NS16discard_iteratorINSD_11use_defaultEEENSD_5minusIxEEEE10hipError_tPvRmT2_T3_mT4_P12ihipStream_tbEUlmE_xEESB_NS0_8identityIvEEEESJ_SM_SN_mSO_SQ_bEUlT_E_NS1_11comp_targetILNS1_3genE10ELNS1_11target_archE1201ELNS1_3gpuE5ELNS1_3repE0EEENS1_30default_config_static_selectorELNS0_4arch9wavefront6targetE0EEEvT1_.kd
    .uniform_work_group_size: 1
    .uses_dynamic_stack: false
    .vgpr_count:     0
    .vgpr_spill_count: 0
    .wavefront_size: 32
    .workgroup_processor_mode: 1
  - .args:
      - .offset:         0
        .size:           56
        .value_kind:     by_value
    .group_segment_fixed_size: 0
    .kernarg_segment_align: 8
    .kernarg_segment_size: 56
    .language:       OpenCL C
    .language_version:
      - 2
      - 0
    .max_flat_workgroup_size: 512
    .name:           _ZN7rocprim17ROCPRIM_400000_NS6detail17trampoline_kernelINS0_14default_configENS1_25transform_config_selectorIxLb0EEEZNS1_14transform_implILb0ES3_S5_NS0_18transform_iteratorINS0_17counting_iteratorImlEEZNS1_24adjacent_difference_implIS3_Lb1ELb0EPxN6thrust23THRUST_200600_302600_NS16discard_iteratorINSD_11use_defaultEEENSD_5minusIxEEEE10hipError_tPvRmT2_T3_mT4_P12ihipStream_tbEUlmE_xEESB_NS0_8identityIvEEEESJ_SM_SN_mSO_SQ_bEUlT_E_NS1_11comp_targetILNS1_3genE10ELNS1_11target_archE1200ELNS1_3gpuE4ELNS1_3repE0EEENS1_30default_config_static_selectorELNS0_4arch9wavefront6targetE0EEEvT1_
    .private_segment_fixed_size: 0
    .sgpr_count:     0
    .sgpr_spill_count: 0
    .symbol:         _ZN7rocprim17ROCPRIM_400000_NS6detail17trampoline_kernelINS0_14default_configENS1_25transform_config_selectorIxLb0EEEZNS1_14transform_implILb0ES3_S5_NS0_18transform_iteratorINS0_17counting_iteratorImlEEZNS1_24adjacent_difference_implIS3_Lb1ELb0EPxN6thrust23THRUST_200600_302600_NS16discard_iteratorINSD_11use_defaultEEENSD_5minusIxEEEE10hipError_tPvRmT2_T3_mT4_P12ihipStream_tbEUlmE_xEESB_NS0_8identityIvEEEESJ_SM_SN_mSO_SQ_bEUlT_E_NS1_11comp_targetILNS1_3genE10ELNS1_11target_archE1200ELNS1_3gpuE4ELNS1_3repE0EEENS1_30default_config_static_selectorELNS0_4arch9wavefront6targetE0EEEvT1_.kd
    .uniform_work_group_size: 1
    .uses_dynamic_stack: false
    .vgpr_count:     0
    .vgpr_spill_count: 0
    .wavefront_size: 32
    .workgroup_processor_mode: 1
  - .args:
      - .offset:         0
        .size:           56
        .value_kind:     by_value
      - .offset:         56
        .size:           4
        .value_kind:     hidden_block_count_x
      - .offset:         60
        .size:           4
        .value_kind:     hidden_block_count_y
      - .offset:         64
        .size:           4
        .value_kind:     hidden_block_count_z
      - .offset:         68
        .size:           2
        .value_kind:     hidden_group_size_x
      - .offset:         70
        .size:           2
        .value_kind:     hidden_group_size_y
      - .offset:         72
        .size:           2
        .value_kind:     hidden_group_size_z
      - .offset:         74
        .size:           2
        .value_kind:     hidden_remainder_x
      - .offset:         76
        .size:           2
        .value_kind:     hidden_remainder_y
      - .offset:         78
        .size:           2
        .value_kind:     hidden_remainder_z
      - .offset:         96
        .size:           8
        .value_kind:     hidden_global_offset_x
      - .offset:         104
        .size:           8
        .value_kind:     hidden_global_offset_y
      - .offset:         112
        .size:           8
        .value_kind:     hidden_global_offset_z
      - .offset:         120
        .size:           2
        .value_kind:     hidden_grid_dims
    .group_segment_fixed_size: 0
    .kernarg_segment_align: 8
    .kernarg_segment_size: 312
    .language:       OpenCL C
    .language_version:
      - 2
      - 0
    .max_flat_workgroup_size: 512
    .name:           _ZN7rocprim17ROCPRIM_400000_NS6detail17trampoline_kernelINS0_14default_configENS1_25transform_config_selectorIxLb0EEEZNS1_14transform_implILb0ES3_S5_NS0_18transform_iteratorINS0_17counting_iteratorImlEEZNS1_24adjacent_difference_implIS3_Lb1ELb0EPxN6thrust23THRUST_200600_302600_NS16discard_iteratorINSD_11use_defaultEEENSD_5minusIxEEEE10hipError_tPvRmT2_T3_mT4_P12ihipStream_tbEUlmE_xEESB_NS0_8identityIvEEEESJ_SM_SN_mSO_SQ_bEUlT_E_NS1_11comp_targetILNS1_3genE9ELNS1_11target_archE1100ELNS1_3gpuE3ELNS1_3repE0EEENS1_30default_config_static_selectorELNS0_4arch9wavefront6targetE0EEEvT1_
    .private_segment_fixed_size: 0
    .sgpr_count:     18
    .sgpr_spill_count: 0
    .symbol:         _ZN7rocprim17ROCPRIM_400000_NS6detail17trampoline_kernelINS0_14default_configENS1_25transform_config_selectorIxLb0EEEZNS1_14transform_implILb0ES3_S5_NS0_18transform_iteratorINS0_17counting_iteratorImlEEZNS1_24adjacent_difference_implIS3_Lb1ELb0EPxN6thrust23THRUST_200600_302600_NS16discard_iteratorINSD_11use_defaultEEENSD_5minusIxEEEE10hipError_tPvRmT2_T3_mT4_P12ihipStream_tbEUlmE_xEESB_NS0_8identityIvEEEESJ_SM_SN_mSO_SQ_bEUlT_E_NS1_11comp_targetILNS1_3genE9ELNS1_11target_archE1100ELNS1_3gpuE3ELNS1_3repE0EEENS1_30default_config_static_selectorELNS0_4arch9wavefront6targetE0EEEvT1_.kd
    .uniform_work_group_size: 1
    .uses_dynamic_stack: false
    .vgpr_count:     6
    .vgpr_spill_count: 0
    .wavefront_size: 32
    .workgroup_processor_mode: 1
  - .args:
      - .offset:         0
        .size:           56
        .value_kind:     by_value
    .group_segment_fixed_size: 0
    .kernarg_segment_align: 8
    .kernarg_segment_size: 56
    .language:       OpenCL C
    .language_version:
      - 2
      - 0
    .max_flat_workgroup_size: 512
    .name:           _ZN7rocprim17ROCPRIM_400000_NS6detail17trampoline_kernelINS0_14default_configENS1_25transform_config_selectorIxLb0EEEZNS1_14transform_implILb0ES3_S5_NS0_18transform_iteratorINS0_17counting_iteratorImlEEZNS1_24adjacent_difference_implIS3_Lb1ELb0EPxN6thrust23THRUST_200600_302600_NS16discard_iteratorINSD_11use_defaultEEENSD_5minusIxEEEE10hipError_tPvRmT2_T3_mT4_P12ihipStream_tbEUlmE_xEESB_NS0_8identityIvEEEESJ_SM_SN_mSO_SQ_bEUlT_E_NS1_11comp_targetILNS1_3genE8ELNS1_11target_archE1030ELNS1_3gpuE2ELNS1_3repE0EEENS1_30default_config_static_selectorELNS0_4arch9wavefront6targetE0EEEvT1_
    .private_segment_fixed_size: 0
    .sgpr_count:     0
    .sgpr_spill_count: 0
    .symbol:         _ZN7rocprim17ROCPRIM_400000_NS6detail17trampoline_kernelINS0_14default_configENS1_25transform_config_selectorIxLb0EEEZNS1_14transform_implILb0ES3_S5_NS0_18transform_iteratorINS0_17counting_iteratorImlEEZNS1_24adjacent_difference_implIS3_Lb1ELb0EPxN6thrust23THRUST_200600_302600_NS16discard_iteratorINSD_11use_defaultEEENSD_5minusIxEEEE10hipError_tPvRmT2_T3_mT4_P12ihipStream_tbEUlmE_xEESB_NS0_8identityIvEEEESJ_SM_SN_mSO_SQ_bEUlT_E_NS1_11comp_targetILNS1_3genE8ELNS1_11target_archE1030ELNS1_3gpuE2ELNS1_3repE0EEENS1_30default_config_static_selectorELNS0_4arch9wavefront6targetE0EEEvT1_.kd
    .uniform_work_group_size: 1
    .uses_dynamic_stack: false
    .vgpr_count:     0
    .vgpr_spill_count: 0
    .wavefront_size: 32
    .workgroup_processor_mode: 1
  - .args:
      - .offset:         0
        .size:           64
        .value_kind:     by_value
    .group_segment_fixed_size: 0
    .kernarg_segment_align: 8
    .kernarg_segment_size: 64
    .language:       OpenCL C
    .language_version:
      - 2
      - 0
    .max_flat_workgroup_size: 512
    .name:           _ZN7rocprim17ROCPRIM_400000_NS6detail17trampoline_kernelINS0_14default_configENS1_35adjacent_difference_config_selectorILb1ExEEZNS1_24adjacent_difference_implIS3_Lb1ELb0EPxN6thrust23THRUST_200600_302600_NS16discard_iteratorINS9_11use_defaultEEENS9_5minusIxEEEE10hipError_tPvRmT2_T3_mT4_P12ihipStream_tbEUlT_E_NS1_11comp_targetILNS1_3genE0ELNS1_11target_archE4294967295ELNS1_3gpuE0ELNS1_3repE0EEENS1_30default_config_static_selectorELNS0_4arch9wavefront6targetE0EEEvT1_
    .private_segment_fixed_size: 0
    .sgpr_count:     0
    .sgpr_spill_count: 0
    .symbol:         _ZN7rocprim17ROCPRIM_400000_NS6detail17trampoline_kernelINS0_14default_configENS1_35adjacent_difference_config_selectorILb1ExEEZNS1_24adjacent_difference_implIS3_Lb1ELb0EPxN6thrust23THRUST_200600_302600_NS16discard_iteratorINS9_11use_defaultEEENS9_5minusIxEEEE10hipError_tPvRmT2_T3_mT4_P12ihipStream_tbEUlT_E_NS1_11comp_targetILNS1_3genE0ELNS1_11target_archE4294967295ELNS1_3gpuE0ELNS1_3repE0EEENS1_30default_config_static_selectorELNS0_4arch9wavefront6targetE0EEEvT1_.kd
    .uniform_work_group_size: 1
    .uses_dynamic_stack: false
    .vgpr_count:     0
    .vgpr_spill_count: 0
    .wavefront_size: 32
    .workgroup_processor_mode: 1
  - .args:
      - .offset:         0
        .size:           64
        .value_kind:     by_value
    .group_segment_fixed_size: 0
    .kernarg_segment_align: 8
    .kernarg_segment_size: 64
    .language:       OpenCL C
    .language_version:
      - 2
      - 0
    .max_flat_workgroup_size: 32
    .name:           _ZN7rocprim17ROCPRIM_400000_NS6detail17trampoline_kernelINS0_14default_configENS1_35adjacent_difference_config_selectorILb1ExEEZNS1_24adjacent_difference_implIS3_Lb1ELb0EPxN6thrust23THRUST_200600_302600_NS16discard_iteratorINS9_11use_defaultEEENS9_5minusIxEEEE10hipError_tPvRmT2_T3_mT4_P12ihipStream_tbEUlT_E_NS1_11comp_targetILNS1_3genE10ELNS1_11target_archE1201ELNS1_3gpuE5ELNS1_3repE0EEENS1_30default_config_static_selectorELNS0_4arch9wavefront6targetE0EEEvT1_
    .private_segment_fixed_size: 0
    .sgpr_count:     0
    .sgpr_spill_count: 0
    .symbol:         _ZN7rocprim17ROCPRIM_400000_NS6detail17trampoline_kernelINS0_14default_configENS1_35adjacent_difference_config_selectorILb1ExEEZNS1_24adjacent_difference_implIS3_Lb1ELb0EPxN6thrust23THRUST_200600_302600_NS16discard_iteratorINS9_11use_defaultEEENS9_5minusIxEEEE10hipError_tPvRmT2_T3_mT4_P12ihipStream_tbEUlT_E_NS1_11comp_targetILNS1_3genE10ELNS1_11target_archE1201ELNS1_3gpuE5ELNS1_3repE0EEENS1_30default_config_static_selectorELNS0_4arch9wavefront6targetE0EEEvT1_.kd
    .uniform_work_group_size: 1
    .uses_dynamic_stack: false
    .vgpr_count:     0
    .vgpr_spill_count: 0
    .wavefront_size: 32
    .workgroup_processor_mode: 1
  - .args:
      - .offset:         0
        .size:           64
        .value_kind:     by_value
    .group_segment_fixed_size: 0
    .kernarg_segment_align: 8
    .kernarg_segment_size: 64
    .language:       OpenCL C
    .language_version:
      - 2
      - 0
    .max_flat_workgroup_size: 256
    .name:           _ZN7rocprim17ROCPRIM_400000_NS6detail17trampoline_kernelINS0_14default_configENS1_35adjacent_difference_config_selectorILb1ExEEZNS1_24adjacent_difference_implIS3_Lb1ELb0EPxN6thrust23THRUST_200600_302600_NS16discard_iteratorINS9_11use_defaultEEENS9_5minusIxEEEE10hipError_tPvRmT2_T3_mT4_P12ihipStream_tbEUlT_E_NS1_11comp_targetILNS1_3genE5ELNS1_11target_archE942ELNS1_3gpuE9ELNS1_3repE0EEENS1_30default_config_static_selectorELNS0_4arch9wavefront6targetE0EEEvT1_
    .private_segment_fixed_size: 0
    .sgpr_count:     0
    .sgpr_spill_count: 0
    .symbol:         _ZN7rocprim17ROCPRIM_400000_NS6detail17trampoline_kernelINS0_14default_configENS1_35adjacent_difference_config_selectorILb1ExEEZNS1_24adjacent_difference_implIS3_Lb1ELb0EPxN6thrust23THRUST_200600_302600_NS16discard_iteratorINS9_11use_defaultEEENS9_5minusIxEEEE10hipError_tPvRmT2_T3_mT4_P12ihipStream_tbEUlT_E_NS1_11comp_targetILNS1_3genE5ELNS1_11target_archE942ELNS1_3gpuE9ELNS1_3repE0EEENS1_30default_config_static_selectorELNS0_4arch9wavefront6targetE0EEEvT1_.kd
    .uniform_work_group_size: 1
    .uses_dynamic_stack: false
    .vgpr_count:     0
    .vgpr_spill_count: 0
    .wavefront_size: 32
    .workgroup_processor_mode: 1
  - .args:
      - .offset:         0
        .size:           64
        .value_kind:     by_value
    .group_segment_fixed_size: 0
    .kernarg_segment_align: 8
    .kernarg_segment_size: 64
    .language:       OpenCL C
    .language_version:
      - 2
      - 0
    .max_flat_workgroup_size: 512
    .name:           _ZN7rocprim17ROCPRIM_400000_NS6detail17trampoline_kernelINS0_14default_configENS1_35adjacent_difference_config_selectorILb1ExEEZNS1_24adjacent_difference_implIS3_Lb1ELb0EPxN6thrust23THRUST_200600_302600_NS16discard_iteratorINS9_11use_defaultEEENS9_5minusIxEEEE10hipError_tPvRmT2_T3_mT4_P12ihipStream_tbEUlT_E_NS1_11comp_targetILNS1_3genE4ELNS1_11target_archE910ELNS1_3gpuE8ELNS1_3repE0EEENS1_30default_config_static_selectorELNS0_4arch9wavefront6targetE0EEEvT1_
    .private_segment_fixed_size: 0
    .sgpr_count:     0
    .sgpr_spill_count: 0
    .symbol:         _ZN7rocprim17ROCPRIM_400000_NS6detail17trampoline_kernelINS0_14default_configENS1_35adjacent_difference_config_selectorILb1ExEEZNS1_24adjacent_difference_implIS3_Lb1ELb0EPxN6thrust23THRUST_200600_302600_NS16discard_iteratorINS9_11use_defaultEEENS9_5minusIxEEEE10hipError_tPvRmT2_T3_mT4_P12ihipStream_tbEUlT_E_NS1_11comp_targetILNS1_3genE4ELNS1_11target_archE910ELNS1_3gpuE8ELNS1_3repE0EEENS1_30default_config_static_selectorELNS0_4arch9wavefront6targetE0EEEvT1_.kd
    .uniform_work_group_size: 1
    .uses_dynamic_stack: false
    .vgpr_count:     0
    .vgpr_spill_count: 0
    .wavefront_size: 32
    .workgroup_processor_mode: 1
  - .args:
      - .offset:         0
        .size:           64
        .value_kind:     by_value
    .group_segment_fixed_size: 0
    .kernarg_segment_align: 8
    .kernarg_segment_size: 64
    .language:       OpenCL C
    .language_version:
      - 2
      - 0
    .max_flat_workgroup_size: 512
    .name:           _ZN7rocprim17ROCPRIM_400000_NS6detail17trampoline_kernelINS0_14default_configENS1_35adjacent_difference_config_selectorILb1ExEEZNS1_24adjacent_difference_implIS3_Lb1ELb0EPxN6thrust23THRUST_200600_302600_NS16discard_iteratorINS9_11use_defaultEEENS9_5minusIxEEEE10hipError_tPvRmT2_T3_mT4_P12ihipStream_tbEUlT_E_NS1_11comp_targetILNS1_3genE3ELNS1_11target_archE908ELNS1_3gpuE7ELNS1_3repE0EEENS1_30default_config_static_selectorELNS0_4arch9wavefront6targetE0EEEvT1_
    .private_segment_fixed_size: 0
    .sgpr_count:     0
    .sgpr_spill_count: 0
    .symbol:         _ZN7rocprim17ROCPRIM_400000_NS6detail17trampoline_kernelINS0_14default_configENS1_35adjacent_difference_config_selectorILb1ExEEZNS1_24adjacent_difference_implIS3_Lb1ELb0EPxN6thrust23THRUST_200600_302600_NS16discard_iteratorINS9_11use_defaultEEENS9_5minusIxEEEE10hipError_tPvRmT2_T3_mT4_P12ihipStream_tbEUlT_E_NS1_11comp_targetILNS1_3genE3ELNS1_11target_archE908ELNS1_3gpuE7ELNS1_3repE0EEENS1_30default_config_static_selectorELNS0_4arch9wavefront6targetE0EEEvT1_.kd
    .uniform_work_group_size: 1
    .uses_dynamic_stack: false
    .vgpr_count:     0
    .vgpr_spill_count: 0
    .wavefront_size: 32
    .workgroup_processor_mode: 1
  - .args:
      - .offset:         0
        .size:           64
        .value_kind:     by_value
    .group_segment_fixed_size: 0
    .kernarg_segment_align: 8
    .kernarg_segment_size: 64
    .language:       OpenCL C
    .language_version:
      - 2
      - 0
    .max_flat_workgroup_size: 128
    .name:           _ZN7rocprim17ROCPRIM_400000_NS6detail17trampoline_kernelINS0_14default_configENS1_35adjacent_difference_config_selectorILb1ExEEZNS1_24adjacent_difference_implIS3_Lb1ELb0EPxN6thrust23THRUST_200600_302600_NS16discard_iteratorINS9_11use_defaultEEENS9_5minusIxEEEE10hipError_tPvRmT2_T3_mT4_P12ihipStream_tbEUlT_E_NS1_11comp_targetILNS1_3genE2ELNS1_11target_archE906ELNS1_3gpuE6ELNS1_3repE0EEENS1_30default_config_static_selectorELNS0_4arch9wavefront6targetE0EEEvT1_
    .private_segment_fixed_size: 0
    .sgpr_count:     0
    .sgpr_spill_count: 0
    .symbol:         _ZN7rocprim17ROCPRIM_400000_NS6detail17trampoline_kernelINS0_14default_configENS1_35adjacent_difference_config_selectorILb1ExEEZNS1_24adjacent_difference_implIS3_Lb1ELb0EPxN6thrust23THRUST_200600_302600_NS16discard_iteratorINS9_11use_defaultEEENS9_5minusIxEEEE10hipError_tPvRmT2_T3_mT4_P12ihipStream_tbEUlT_E_NS1_11comp_targetILNS1_3genE2ELNS1_11target_archE906ELNS1_3gpuE6ELNS1_3repE0EEENS1_30default_config_static_selectorELNS0_4arch9wavefront6targetE0EEEvT1_.kd
    .uniform_work_group_size: 1
    .uses_dynamic_stack: false
    .vgpr_count:     0
    .vgpr_spill_count: 0
    .wavefront_size: 32
    .workgroup_processor_mode: 1
  - .args:
      - .offset:         0
        .size:           64
        .value_kind:     by_value
    .group_segment_fixed_size: 29696
    .kernarg_segment_align: 8
    .kernarg_segment_size: 64
    .language:       OpenCL C
    .language_version:
      - 2
      - 0
    .max_flat_workgroup_size: 128
    .name:           _ZN7rocprim17ROCPRIM_400000_NS6detail17trampoline_kernelINS0_14default_configENS1_35adjacent_difference_config_selectorILb1ExEEZNS1_24adjacent_difference_implIS3_Lb1ELb0EPxN6thrust23THRUST_200600_302600_NS16discard_iteratorINS9_11use_defaultEEENS9_5minusIxEEEE10hipError_tPvRmT2_T3_mT4_P12ihipStream_tbEUlT_E_NS1_11comp_targetILNS1_3genE9ELNS1_11target_archE1100ELNS1_3gpuE3ELNS1_3repE0EEENS1_30default_config_static_selectorELNS0_4arch9wavefront6targetE0EEEvT1_
    .private_segment_fixed_size: 0
    .sgpr_count:     20
    .sgpr_spill_count: 0
    .symbol:         _ZN7rocprim17ROCPRIM_400000_NS6detail17trampoline_kernelINS0_14default_configENS1_35adjacent_difference_config_selectorILb1ExEEZNS1_24adjacent_difference_implIS3_Lb1ELb0EPxN6thrust23THRUST_200600_302600_NS16discard_iteratorINS9_11use_defaultEEENS9_5minusIxEEEE10hipError_tPvRmT2_T3_mT4_P12ihipStream_tbEUlT_E_NS1_11comp_targetILNS1_3genE9ELNS1_11target_archE1100ELNS1_3gpuE3ELNS1_3repE0EEENS1_30default_config_static_selectorELNS0_4arch9wavefront6targetE0EEEvT1_.kd
    .uniform_work_group_size: 1
    .uses_dynamic_stack: false
    .vgpr_count:     120
    .vgpr_spill_count: 0
    .wavefront_size: 32
    .workgroup_processor_mode: 1
  - .args:
      - .offset:         0
        .size:           64
        .value_kind:     by_value
    .group_segment_fixed_size: 0
    .kernarg_segment_align: 8
    .kernarg_segment_size: 64
    .language:       OpenCL C
    .language_version:
      - 2
      - 0
    .max_flat_workgroup_size: 32
    .name:           _ZN7rocprim17ROCPRIM_400000_NS6detail17trampoline_kernelINS0_14default_configENS1_35adjacent_difference_config_selectorILb1ExEEZNS1_24adjacent_difference_implIS3_Lb1ELb0EPxN6thrust23THRUST_200600_302600_NS16discard_iteratorINS9_11use_defaultEEENS9_5minusIxEEEE10hipError_tPvRmT2_T3_mT4_P12ihipStream_tbEUlT_E_NS1_11comp_targetILNS1_3genE8ELNS1_11target_archE1030ELNS1_3gpuE2ELNS1_3repE0EEENS1_30default_config_static_selectorELNS0_4arch9wavefront6targetE0EEEvT1_
    .private_segment_fixed_size: 0
    .sgpr_count:     0
    .sgpr_spill_count: 0
    .symbol:         _ZN7rocprim17ROCPRIM_400000_NS6detail17trampoline_kernelINS0_14default_configENS1_35adjacent_difference_config_selectorILb1ExEEZNS1_24adjacent_difference_implIS3_Lb1ELb0EPxN6thrust23THRUST_200600_302600_NS16discard_iteratorINS9_11use_defaultEEENS9_5minusIxEEEE10hipError_tPvRmT2_T3_mT4_P12ihipStream_tbEUlT_E_NS1_11comp_targetILNS1_3genE8ELNS1_11target_archE1030ELNS1_3gpuE2ELNS1_3repE0EEENS1_30default_config_static_selectorELNS0_4arch9wavefront6targetE0EEEvT1_.kd
    .uniform_work_group_size: 1
    .uses_dynamic_stack: false
    .vgpr_count:     0
    .vgpr_spill_count: 0
    .wavefront_size: 32
    .workgroup_processor_mode: 1
  - .args:
      - .offset:         0
        .size:           56
        .value_kind:     by_value
    .group_segment_fixed_size: 0
    .kernarg_segment_align: 8
    .kernarg_segment_size: 56
    .language:       OpenCL C
    .language_version:
      - 2
      - 0
    .max_flat_workgroup_size: 128
    .name:           _ZN7rocprim17ROCPRIM_400000_NS6detail17trampoline_kernelINS0_14default_configENS1_25transform_config_selectorIiLb0EEEZNS1_14transform_implILb0ES3_S5_NS0_18transform_iteratorINS0_17counting_iteratorImlEEZNS1_24adjacent_difference_implIS3_Lb1ELb0EPiN6thrust23THRUST_200600_302600_NS16discard_iteratorINSD_11use_defaultEEENSD_5minusIiEEEE10hipError_tPvRmT2_T3_mT4_P12ihipStream_tbEUlmE_iEESB_NS0_8identityIvEEEESJ_SM_SN_mSO_SQ_bEUlT_E_NS1_11comp_targetILNS1_3genE0ELNS1_11target_archE4294967295ELNS1_3gpuE0ELNS1_3repE0EEENS1_30default_config_static_selectorELNS0_4arch9wavefront6targetE0EEEvT1_
    .private_segment_fixed_size: 0
    .sgpr_count:     0
    .sgpr_spill_count: 0
    .symbol:         _ZN7rocprim17ROCPRIM_400000_NS6detail17trampoline_kernelINS0_14default_configENS1_25transform_config_selectorIiLb0EEEZNS1_14transform_implILb0ES3_S5_NS0_18transform_iteratorINS0_17counting_iteratorImlEEZNS1_24adjacent_difference_implIS3_Lb1ELb0EPiN6thrust23THRUST_200600_302600_NS16discard_iteratorINSD_11use_defaultEEENSD_5minusIiEEEE10hipError_tPvRmT2_T3_mT4_P12ihipStream_tbEUlmE_iEESB_NS0_8identityIvEEEESJ_SM_SN_mSO_SQ_bEUlT_E_NS1_11comp_targetILNS1_3genE0ELNS1_11target_archE4294967295ELNS1_3gpuE0ELNS1_3repE0EEENS1_30default_config_static_selectorELNS0_4arch9wavefront6targetE0EEEvT1_.kd
    .uniform_work_group_size: 1
    .uses_dynamic_stack: false
    .vgpr_count:     0
    .vgpr_spill_count: 0
    .wavefront_size: 32
    .workgroup_processor_mode: 1
  - .args:
      - .offset:         0
        .size:           56
        .value_kind:     by_value
    .group_segment_fixed_size: 0
    .kernarg_segment_align: 8
    .kernarg_segment_size: 56
    .language:       OpenCL C
    .language_version:
      - 2
      - 0
    .max_flat_workgroup_size: 512
    .name:           _ZN7rocprim17ROCPRIM_400000_NS6detail17trampoline_kernelINS0_14default_configENS1_25transform_config_selectorIiLb0EEEZNS1_14transform_implILb0ES3_S5_NS0_18transform_iteratorINS0_17counting_iteratorImlEEZNS1_24adjacent_difference_implIS3_Lb1ELb0EPiN6thrust23THRUST_200600_302600_NS16discard_iteratorINSD_11use_defaultEEENSD_5minusIiEEEE10hipError_tPvRmT2_T3_mT4_P12ihipStream_tbEUlmE_iEESB_NS0_8identityIvEEEESJ_SM_SN_mSO_SQ_bEUlT_E_NS1_11comp_targetILNS1_3genE5ELNS1_11target_archE942ELNS1_3gpuE9ELNS1_3repE0EEENS1_30default_config_static_selectorELNS0_4arch9wavefront6targetE0EEEvT1_
    .private_segment_fixed_size: 0
    .sgpr_count:     0
    .sgpr_spill_count: 0
    .symbol:         _ZN7rocprim17ROCPRIM_400000_NS6detail17trampoline_kernelINS0_14default_configENS1_25transform_config_selectorIiLb0EEEZNS1_14transform_implILb0ES3_S5_NS0_18transform_iteratorINS0_17counting_iteratorImlEEZNS1_24adjacent_difference_implIS3_Lb1ELb0EPiN6thrust23THRUST_200600_302600_NS16discard_iteratorINSD_11use_defaultEEENSD_5minusIiEEEE10hipError_tPvRmT2_T3_mT4_P12ihipStream_tbEUlmE_iEESB_NS0_8identityIvEEEESJ_SM_SN_mSO_SQ_bEUlT_E_NS1_11comp_targetILNS1_3genE5ELNS1_11target_archE942ELNS1_3gpuE9ELNS1_3repE0EEENS1_30default_config_static_selectorELNS0_4arch9wavefront6targetE0EEEvT1_.kd
    .uniform_work_group_size: 1
    .uses_dynamic_stack: false
    .vgpr_count:     0
    .vgpr_spill_count: 0
    .wavefront_size: 32
    .workgroup_processor_mode: 1
  - .args:
      - .offset:         0
        .size:           56
        .value_kind:     by_value
    .group_segment_fixed_size: 0
    .kernarg_segment_align: 8
    .kernarg_segment_size: 56
    .language:       OpenCL C
    .language_version:
      - 2
      - 0
    .max_flat_workgroup_size: 1024
    .name:           _ZN7rocprim17ROCPRIM_400000_NS6detail17trampoline_kernelINS0_14default_configENS1_25transform_config_selectorIiLb0EEEZNS1_14transform_implILb0ES3_S5_NS0_18transform_iteratorINS0_17counting_iteratorImlEEZNS1_24adjacent_difference_implIS3_Lb1ELb0EPiN6thrust23THRUST_200600_302600_NS16discard_iteratorINSD_11use_defaultEEENSD_5minusIiEEEE10hipError_tPvRmT2_T3_mT4_P12ihipStream_tbEUlmE_iEESB_NS0_8identityIvEEEESJ_SM_SN_mSO_SQ_bEUlT_E_NS1_11comp_targetILNS1_3genE4ELNS1_11target_archE910ELNS1_3gpuE8ELNS1_3repE0EEENS1_30default_config_static_selectorELNS0_4arch9wavefront6targetE0EEEvT1_
    .private_segment_fixed_size: 0
    .sgpr_count:     0
    .sgpr_spill_count: 0
    .symbol:         _ZN7rocprim17ROCPRIM_400000_NS6detail17trampoline_kernelINS0_14default_configENS1_25transform_config_selectorIiLb0EEEZNS1_14transform_implILb0ES3_S5_NS0_18transform_iteratorINS0_17counting_iteratorImlEEZNS1_24adjacent_difference_implIS3_Lb1ELb0EPiN6thrust23THRUST_200600_302600_NS16discard_iteratorINSD_11use_defaultEEENSD_5minusIiEEEE10hipError_tPvRmT2_T3_mT4_P12ihipStream_tbEUlmE_iEESB_NS0_8identityIvEEEESJ_SM_SN_mSO_SQ_bEUlT_E_NS1_11comp_targetILNS1_3genE4ELNS1_11target_archE910ELNS1_3gpuE8ELNS1_3repE0EEENS1_30default_config_static_selectorELNS0_4arch9wavefront6targetE0EEEvT1_.kd
    .uniform_work_group_size: 1
    .uses_dynamic_stack: false
    .vgpr_count:     0
    .vgpr_spill_count: 0
    .wavefront_size: 32
    .workgroup_processor_mode: 1
  - .args:
      - .offset:         0
        .size:           56
        .value_kind:     by_value
    .group_segment_fixed_size: 0
    .kernarg_segment_align: 8
    .kernarg_segment_size: 56
    .language:       OpenCL C
    .language_version:
      - 2
      - 0
    .max_flat_workgroup_size: 128
    .name:           _ZN7rocprim17ROCPRIM_400000_NS6detail17trampoline_kernelINS0_14default_configENS1_25transform_config_selectorIiLb0EEEZNS1_14transform_implILb0ES3_S5_NS0_18transform_iteratorINS0_17counting_iteratorImlEEZNS1_24adjacent_difference_implIS3_Lb1ELb0EPiN6thrust23THRUST_200600_302600_NS16discard_iteratorINSD_11use_defaultEEENSD_5minusIiEEEE10hipError_tPvRmT2_T3_mT4_P12ihipStream_tbEUlmE_iEESB_NS0_8identityIvEEEESJ_SM_SN_mSO_SQ_bEUlT_E_NS1_11comp_targetILNS1_3genE3ELNS1_11target_archE908ELNS1_3gpuE7ELNS1_3repE0EEENS1_30default_config_static_selectorELNS0_4arch9wavefront6targetE0EEEvT1_
    .private_segment_fixed_size: 0
    .sgpr_count:     0
    .sgpr_spill_count: 0
    .symbol:         _ZN7rocprim17ROCPRIM_400000_NS6detail17trampoline_kernelINS0_14default_configENS1_25transform_config_selectorIiLb0EEEZNS1_14transform_implILb0ES3_S5_NS0_18transform_iteratorINS0_17counting_iteratorImlEEZNS1_24adjacent_difference_implIS3_Lb1ELb0EPiN6thrust23THRUST_200600_302600_NS16discard_iteratorINSD_11use_defaultEEENSD_5minusIiEEEE10hipError_tPvRmT2_T3_mT4_P12ihipStream_tbEUlmE_iEESB_NS0_8identityIvEEEESJ_SM_SN_mSO_SQ_bEUlT_E_NS1_11comp_targetILNS1_3genE3ELNS1_11target_archE908ELNS1_3gpuE7ELNS1_3repE0EEENS1_30default_config_static_selectorELNS0_4arch9wavefront6targetE0EEEvT1_.kd
    .uniform_work_group_size: 1
    .uses_dynamic_stack: false
    .vgpr_count:     0
    .vgpr_spill_count: 0
    .wavefront_size: 32
    .workgroup_processor_mode: 1
  - .args:
      - .offset:         0
        .size:           56
        .value_kind:     by_value
    .group_segment_fixed_size: 0
    .kernarg_segment_align: 8
    .kernarg_segment_size: 56
    .language:       OpenCL C
    .language_version:
      - 2
      - 0
    .max_flat_workgroup_size: 1024
    .name:           _ZN7rocprim17ROCPRIM_400000_NS6detail17trampoline_kernelINS0_14default_configENS1_25transform_config_selectorIiLb0EEEZNS1_14transform_implILb0ES3_S5_NS0_18transform_iteratorINS0_17counting_iteratorImlEEZNS1_24adjacent_difference_implIS3_Lb1ELb0EPiN6thrust23THRUST_200600_302600_NS16discard_iteratorINSD_11use_defaultEEENSD_5minusIiEEEE10hipError_tPvRmT2_T3_mT4_P12ihipStream_tbEUlmE_iEESB_NS0_8identityIvEEEESJ_SM_SN_mSO_SQ_bEUlT_E_NS1_11comp_targetILNS1_3genE2ELNS1_11target_archE906ELNS1_3gpuE6ELNS1_3repE0EEENS1_30default_config_static_selectorELNS0_4arch9wavefront6targetE0EEEvT1_
    .private_segment_fixed_size: 0
    .sgpr_count:     0
    .sgpr_spill_count: 0
    .symbol:         _ZN7rocprim17ROCPRIM_400000_NS6detail17trampoline_kernelINS0_14default_configENS1_25transform_config_selectorIiLb0EEEZNS1_14transform_implILb0ES3_S5_NS0_18transform_iteratorINS0_17counting_iteratorImlEEZNS1_24adjacent_difference_implIS3_Lb1ELb0EPiN6thrust23THRUST_200600_302600_NS16discard_iteratorINSD_11use_defaultEEENSD_5minusIiEEEE10hipError_tPvRmT2_T3_mT4_P12ihipStream_tbEUlmE_iEESB_NS0_8identityIvEEEESJ_SM_SN_mSO_SQ_bEUlT_E_NS1_11comp_targetILNS1_3genE2ELNS1_11target_archE906ELNS1_3gpuE6ELNS1_3repE0EEENS1_30default_config_static_selectorELNS0_4arch9wavefront6targetE0EEEvT1_.kd
    .uniform_work_group_size: 1
    .uses_dynamic_stack: false
    .vgpr_count:     0
    .vgpr_spill_count: 0
    .wavefront_size: 32
    .workgroup_processor_mode: 1
  - .args:
      - .offset:         0
        .size:           56
        .value_kind:     by_value
    .group_segment_fixed_size: 0
    .kernarg_segment_align: 8
    .kernarg_segment_size: 56
    .language:       OpenCL C
    .language_version:
      - 2
      - 0
    .max_flat_workgroup_size: 1024
    .name:           _ZN7rocprim17ROCPRIM_400000_NS6detail17trampoline_kernelINS0_14default_configENS1_25transform_config_selectorIiLb0EEEZNS1_14transform_implILb0ES3_S5_NS0_18transform_iteratorINS0_17counting_iteratorImlEEZNS1_24adjacent_difference_implIS3_Lb1ELb0EPiN6thrust23THRUST_200600_302600_NS16discard_iteratorINSD_11use_defaultEEENSD_5minusIiEEEE10hipError_tPvRmT2_T3_mT4_P12ihipStream_tbEUlmE_iEESB_NS0_8identityIvEEEESJ_SM_SN_mSO_SQ_bEUlT_E_NS1_11comp_targetILNS1_3genE10ELNS1_11target_archE1201ELNS1_3gpuE5ELNS1_3repE0EEENS1_30default_config_static_selectorELNS0_4arch9wavefront6targetE0EEEvT1_
    .private_segment_fixed_size: 0
    .sgpr_count:     0
    .sgpr_spill_count: 0
    .symbol:         _ZN7rocprim17ROCPRIM_400000_NS6detail17trampoline_kernelINS0_14default_configENS1_25transform_config_selectorIiLb0EEEZNS1_14transform_implILb0ES3_S5_NS0_18transform_iteratorINS0_17counting_iteratorImlEEZNS1_24adjacent_difference_implIS3_Lb1ELb0EPiN6thrust23THRUST_200600_302600_NS16discard_iteratorINSD_11use_defaultEEENSD_5minusIiEEEE10hipError_tPvRmT2_T3_mT4_P12ihipStream_tbEUlmE_iEESB_NS0_8identityIvEEEESJ_SM_SN_mSO_SQ_bEUlT_E_NS1_11comp_targetILNS1_3genE10ELNS1_11target_archE1201ELNS1_3gpuE5ELNS1_3repE0EEENS1_30default_config_static_selectorELNS0_4arch9wavefront6targetE0EEEvT1_.kd
    .uniform_work_group_size: 1
    .uses_dynamic_stack: false
    .vgpr_count:     0
    .vgpr_spill_count: 0
    .wavefront_size: 32
    .workgroup_processor_mode: 1
  - .args:
      - .offset:         0
        .size:           56
        .value_kind:     by_value
    .group_segment_fixed_size: 0
    .kernarg_segment_align: 8
    .kernarg_segment_size: 56
    .language:       OpenCL C
    .language_version:
      - 2
      - 0
    .max_flat_workgroup_size: 512
    .name:           _ZN7rocprim17ROCPRIM_400000_NS6detail17trampoline_kernelINS0_14default_configENS1_25transform_config_selectorIiLb0EEEZNS1_14transform_implILb0ES3_S5_NS0_18transform_iteratorINS0_17counting_iteratorImlEEZNS1_24adjacent_difference_implIS3_Lb1ELb0EPiN6thrust23THRUST_200600_302600_NS16discard_iteratorINSD_11use_defaultEEENSD_5minusIiEEEE10hipError_tPvRmT2_T3_mT4_P12ihipStream_tbEUlmE_iEESB_NS0_8identityIvEEEESJ_SM_SN_mSO_SQ_bEUlT_E_NS1_11comp_targetILNS1_3genE10ELNS1_11target_archE1200ELNS1_3gpuE4ELNS1_3repE0EEENS1_30default_config_static_selectorELNS0_4arch9wavefront6targetE0EEEvT1_
    .private_segment_fixed_size: 0
    .sgpr_count:     0
    .sgpr_spill_count: 0
    .symbol:         _ZN7rocprim17ROCPRIM_400000_NS6detail17trampoline_kernelINS0_14default_configENS1_25transform_config_selectorIiLb0EEEZNS1_14transform_implILb0ES3_S5_NS0_18transform_iteratorINS0_17counting_iteratorImlEEZNS1_24adjacent_difference_implIS3_Lb1ELb0EPiN6thrust23THRUST_200600_302600_NS16discard_iteratorINSD_11use_defaultEEENSD_5minusIiEEEE10hipError_tPvRmT2_T3_mT4_P12ihipStream_tbEUlmE_iEESB_NS0_8identityIvEEEESJ_SM_SN_mSO_SQ_bEUlT_E_NS1_11comp_targetILNS1_3genE10ELNS1_11target_archE1200ELNS1_3gpuE4ELNS1_3repE0EEENS1_30default_config_static_selectorELNS0_4arch9wavefront6targetE0EEEvT1_.kd
    .uniform_work_group_size: 1
    .uses_dynamic_stack: false
    .vgpr_count:     0
    .vgpr_spill_count: 0
    .wavefront_size: 32
    .workgroup_processor_mode: 1
  - .args:
      - .offset:         0
        .size:           56
        .value_kind:     by_value
      - .offset:         56
        .size:           4
        .value_kind:     hidden_block_count_x
      - .offset:         60
        .size:           4
        .value_kind:     hidden_block_count_y
      - .offset:         64
        .size:           4
        .value_kind:     hidden_block_count_z
      - .offset:         68
        .size:           2
        .value_kind:     hidden_group_size_x
      - .offset:         70
        .size:           2
        .value_kind:     hidden_group_size_y
      - .offset:         72
        .size:           2
        .value_kind:     hidden_group_size_z
      - .offset:         74
        .size:           2
        .value_kind:     hidden_remainder_x
      - .offset:         76
        .size:           2
        .value_kind:     hidden_remainder_y
      - .offset:         78
        .size:           2
        .value_kind:     hidden_remainder_z
      - .offset:         96
        .size:           8
        .value_kind:     hidden_global_offset_x
      - .offset:         104
        .size:           8
        .value_kind:     hidden_global_offset_y
      - .offset:         112
        .size:           8
        .value_kind:     hidden_global_offset_z
      - .offset:         120
        .size:           2
        .value_kind:     hidden_grid_dims
    .group_segment_fixed_size: 0
    .kernarg_segment_align: 8
    .kernarg_segment_size: 312
    .language:       OpenCL C
    .language_version:
      - 2
      - 0
    .max_flat_workgroup_size: 64
    .name:           _ZN7rocprim17ROCPRIM_400000_NS6detail17trampoline_kernelINS0_14default_configENS1_25transform_config_selectorIiLb0EEEZNS1_14transform_implILb0ES3_S5_NS0_18transform_iteratorINS0_17counting_iteratorImlEEZNS1_24adjacent_difference_implIS3_Lb1ELb0EPiN6thrust23THRUST_200600_302600_NS16discard_iteratorINSD_11use_defaultEEENSD_5minusIiEEEE10hipError_tPvRmT2_T3_mT4_P12ihipStream_tbEUlmE_iEESB_NS0_8identityIvEEEESJ_SM_SN_mSO_SQ_bEUlT_E_NS1_11comp_targetILNS1_3genE9ELNS1_11target_archE1100ELNS1_3gpuE3ELNS1_3repE0EEENS1_30default_config_static_selectorELNS0_4arch9wavefront6targetE0EEEvT1_
    .private_segment_fixed_size: 0
    .sgpr_count:     18
    .sgpr_spill_count: 0
    .symbol:         _ZN7rocprim17ROCPRIM_400000_NS6detail17trampoline_kernelINS0_14default_configENS1_25transform_config_selectorIiLb0EEEZNS1_14transform_implILb0ES3_S5_NS0_18transform_iteratorINS0_17counting_iteratorImlEEZNS1_24adjacent_difference_implIS3_Lb1ELb0EPiN6thrust23THRUST_200600_302600_NS16discard_iteratorINSD_11use_defaultEEENSD_5minusIiEEEE10hipError_tPvRmT2_T3_mT4_P12ihipStream_tbEUlmE_iEESB_NS0_8identityIvEEEESJ_SM_SN_mSO_SQ_bEUlT_E_NS1_11comp_targetILNS1_3genE9ELNS1_11target_archE1100ELNS1_3gpuE3ELNS1_3repE0EEENS1_30default_config_static_selectorELNS0_4arch9wavefront6targetE0EEEvT1_.kd
    .uniform_work_group_size: 1
    .uses_dynamic_stack: false
    .vgpr_count:     6
    .vgpr_spill_count: 0
    .wavefront_size: 32
    .workgroup_processor_mode: 1
  - .args:
      - .offset:         0
        .size:           56
        .value_kind:     by_value
    .group_segment_fixed_size: 0
    .kernarg_segment_align: 8
    .kernarg_segment_size: 56
    .language:       OpenCL C
    .language_version:
      - 2
      - 0
    .max_flat_workgroup_size: 256
    .name:           _ZN7rocprim17ROCPRIM_400000_NS6detail17trampoline_kernelINS0_14default_configENS1_25transform_config_selectorIiLb0EEEZNS1_14transform_implILb0ES3_S5_NS0_18transform_iteratorINS0_17counting_iteratorImlEEZNS1_24adjacent_difference_implIS3_Lb1ELb0EPiN6thrust23THRUST_200600_302600_NS16discard_iteratorINSD_11use_defaultEEENSD_5minusIiEEEE10hipError_tPvRmT2_T3_mT4_P12ihipStream_tbEUlmE_iEESB_NS0_8identityIvEEEESJ_SM_SN_mSO_SQ_bEUlT_E_NS1_11comp_targetILNS1_3genE8ELNS1_11target_archE1030ELNS1_3gpuE2ELNS1_3repE0EEENS1_30default_config_static_selectorELNS0_4arch9wavefront6targetE0EEEvT1_
    .private_segment_fixed_size: 0
    .sgpr_count:     0
    .sgpr_spill_count: 0
    .symbol:         _ZN7rocprim17ROCPRIM_400000_NS6detail17trampoline_kernelINS0_14default_configENS1_25transform_config_selectorIiLb0EEEZNS1_14transform_implILb0ES3_S5_NS0_18transform_iteratorINS0_17counting_iteratorImlEEZNS1_24adjacent_difference_implIS3_Lb1ELb0EPiN6thrust23THRUST_200600_302600_NS16discard_iteratorINSD_11use_defaultEEENSD_5minusIiEEEE10hipError_tPvRmT2_T3_mT4_P12ihipStream_tbEUlmE_iEESB_NS0_8identityIvEEEESJ_SM_SN_mSO_SQ_bEUlT_E_NS1_11comp_targetILNS1_3genE8ELNS1_11target_archE1030ELNS1_3gpuE2ELNS1_3repE0EEENS1_30default_config_static_selectorELNS0_4arch9wavefront6targetE0EEEvT1_.kd
    .uniform_work_group_size: 1
    .uses_dynamic_stack: false
    .vgpr_count:     0
    .vgpr_spill_count: 0
    .wavefront_size: 32
    .workgroup_processor_mode: 1
  - .args:
      - .offset:         0
        .size:           64
        .value_kind:     by_value
    .group_segment_fixed_size: 0
    .kernarg_segment_align: 8
    .kernarg_segment_size: 64
    .language:       OpenCL C
    .language_version:
      - 2
      - 0
    .max_flat_workgroup_size: 1024
    .name:           _ZN7rocprim17ROCPRIM_400000_NS6detail17trampoline_kernelINS0_14default_configENS1_35adjacent_difference_config_selectorILb1EiEEZNS1_24adjacent_difference_implIS3_Lb1ELb0EPiN6thrust23THRUST_200600_302600_NS16discard_iteratorINS9_11use_defaultEEENS9_5minusIiEEEE10hipError_tPvRmT2_T3_mT4_P12ihipStream_tbEUlT_E_NS1_11comp_targetILNS1_3genE0ELNS1_11target_archE4294967295ELNS1_3gpuE0ELNS1_3repE0EEENS1_30default_config_static_selectorELNS0_4arch9wavefront6targetE0EEEvT1_
    .private_segment_fixed_size: 0
    .sgpr_count:     0
    .sgpr_spill_count: 0
    .symbol:         _ZN7rocprim17ROCPRIM_400000_NS6detail17trampoline_kernelINS0_14default_configENS1_35adjacent_difference_config_selectorILb1EiEEZNS1_24adjacent_difference_implIS3_Lb1ELb0EPiN6thrust23THRUST_200600_302600_NS16discard_iteratorINS9_11use_defaultEEENS9_5minusIiEEEE10hipError_tPvRmT2_T3_mT4_P12ihipStream_tbEUlT_E_NS1_11comp_targetILNS1_3genE0ELNS1_11target_archE4294967295ELNS1_3gpuE0ELNS1_3repE0EEENS1_30default_config_static_selectorELNS0_4arch9wavefront6targetE0EEEvT1_.kd
    .uniform_work_group_size: 1
    .uses_dynamic_stack: false
    .vgpr_count:     0
    .vgpr_spill_count: 0
    .wavefront_size: 32
    .workgroup_processor_mode: 1
  - .args:
      - .offset:         0
        .size:           64
        .value_kind:     by_value
    .group_segment_fixed_size: 0
    .kernarg_segment_align: 8
    .kernarg_segment_size: 64
    .language:       OpenCL C
    .language_version:
      - 2
      - 0
    .max_flat_workgroup_size: 32
    .name:           _ZN7rocprim17ROCPRIM_400000_NS6detail17trampoline_kernelINS0_14default_configENS1_35adjacent_difference_config_selectorILb1EiEEZNS1_24adjacent_difference_implIS3_Lb1ELb0EPiN6thrust23THRUST_200600_302600_NS16discard_iteratorINS9_11use_defaultEEENS9_5minusIiEEEE10hipError_tPvRmT2_T3_mT4_P12ihipStream_tbEUlT_E_NS1_11comp_targetILNS1_3genE10ELNS1_11target_archE1201ELNS1_3gpuE5ELNS1_3repE0EEENS1_30default_config_static_selectorELNS0_4arch9wavefront6targetE0EEEvT1_
    .private_segment_fixed_size: 0
    .sgpr_count:     0
    .sgpr_spill_count: 0
    .symbol:         _ZN7rocprim17ROCPRIM_400000_NS6detail17trampoline_kernelINS0_14default_configENS1_35adjacent_difference_config_selectorILb1EiEEZNS1_24adjacent_difference_implIS3_Lb1ELb0EPiN6thrust23THRUST_200600_302600_NS16discard_iteratorINS9_11use_defaultEEENS9_5minusIiEEEE10hipError_tPvRmT2_T3_mT4_P12ihipStream_tbEUlT_E_NS1_11comp_targetILNS1_3genE10ELNS1_11target_archE1201ELNS1_3gpuE5ELNS1_3repE0EEENS1_30default_config_static_selectorELNS0_4arch9wavefront6targetE0EEEvT1_.kd
    .uniform_work_group_size: 1
    .uses_dynamic_stack: false
    .vgpr_count:     0
    .vgpr_spill_count: 0
    .wavefront_size: 32
    .workgroup_processor_mode: 1
  - .args:
      - .offset:         0
        .size:           64
        .value_kind:     by_value
    .group_segment_fixed_size: 0
    .kernarg_segment_align: 8
    .kernarg_segment_size: 64
    .language:       OpenCL C
    .language_version:
      - 2
      - 0
    .max_flat_workgroup_size: 512
    .name:           _ZN7rocprim17ROCPRIM_400000_NS6detail17trampoline_kernelINS0_14default_configENS1_35adjacent_difference_config_selectorILb1EiEEZNS1_24adjacent_difference_implIS3_Lb1ELb0EPiN6thrust23THRUST_200600_302600_NS16discard_iteratorINS9_11use_defaultEEENS9_5minusIiEEEE10hipError_tPvRmT2_T3_mT4_P12ihipStream_tbEUlT_E_NS1_11comp_targetILNS1_3genE5ELNS1_11target_archE942ELNS1_3gpuE9ELNS1_3repE0EEENS1_30default_config_static_selectorELNS0_4arch9wavefront6targetE0EEEvT1_
    .private_segment_fixed_size: 0
    .sgpr_count:     0
    .sgpr_spill_count: 0
    .symbol:         _ZN7rocprim17ROCPRIM_400000_NS6detail17trampoline_kernelINS0_14default_configENS1_35adjacent_difference_config_selectorILb1EiEEZNS1_24adjacent_difference_implIS3_Lb1ELb0EPiN6thrust23THRUST_200600_302600_NS16discard_iteratorINS9_11use_defaultEEENS9_5minusIiEEEE10hipError_tPvRmT2_T3_mT4_P12ihipStream_tbEUlT_E_NS1_11comp_targetILNS1_3genE5ELNS1_11target_archE942ELNS1_3gpuE9ELNS1_3repE0EEENS1_30default_config_static_selectorELNS0_4arch9wavefront6targetE0EEEvT1_.kd
    .uniform_work_group_size: 1
    .uses_dynamic_stack: false
    .vgpr_count:     0
    .vgpr_spill_count: 0
    .wavefront_size: 32
    .workgroup_processor_mode: 1
  - .args:
      - .offset:         0
        .size:           64
        .value_kind:     by_value
    .group_segment_fixed_size: 0
    .kernarg_segment_align: 8
    .kernarg_segment_size: 64
    .language:       OpenCL C
    .language_version:
      - 2
      - 0
    .max_flat_workgroup_size: 512
    .name:           _ZN7rocprim17ROCPRIM_400000_NS6detail17trampoline_kernelINS0_14default_configENS1_35adjacent_difference_config_selectorILb1EiEEZNS1_24adjacent_difference_implIS3_Lb1ELb0EPiN6thrust23THRUST_200600_302600_NS16discard_iteratorINS9_11use_defaultEEENS9_5minusIiEEEE10hipError_tPvRmT2_T3_mT4_P12ihipStream_tbEUlT_E_NS1_11comp_targetILNS1_3genE4ELNS1_11target_archE910ELNS1_3gpuE8ELNS1_3repE0EEENS1_30default_config_static_selectorELNS0_4arch9wavefront6targetE0EEEvT1_
    .private_segment_fixed_size: 0
    .sgpr_count:     0
    .sgpr_spill_count: 0
    .symbol:         _ZN7rocprim17ROCPRIM_400000_NS6detail17trampoline_kernelINS0_14default_configENS1_35adjacent_difference_config_selectorILb1EiEEZNS1_24adjacent_difference_implIS3_Lb1ELb0EPiN6thrust23THRUST_200600_302600_NS16discard_iteratorINS9_11use_defaultEEENS9_5minusIiEEEE10hipError_tPvRmT2_T3_mT4_P12ihipStream_tbEUlT_E_NS1_11comp_targetILNS1_3genE4ELNS1_11target_archE910ELNS1_3gpuE8ELNS1_3repE0EEENS1_30default_config_static_selectorELNS0_4arch9wavefront6targetE0EEEvT1_.kd
    .uniform_work_group_size: 1
    .uses_dynamic_stack: false
    .vgpr_count:     0
    .vgpr_spill_count: 0
    .wavefront_size: 32
    .workgroup_processor_mode: 1
  - .args:
      - .offset:         0
        .size:           64
        .value_kind:     by_value
    .group_segment_fixed_size: 0
    .kernarg_segment_align: 8
    .kernarg_segment_size: 64
    .language:       OpenCL C
    .language_version:
      - 2
      - 0
    .max_flat_workgroup_size: 1024
    .name:           _ZN7rocprim17ROCPRIM_400000_NS6detail17trampoline_kernelINS0_14default_configENS1_35adjacent_difference_config_selectorILb1EiEEZNS1_24adjacent_difference_implIS3_Lb1ELb0EPiN6thrust23THRUST_200600_302600_NS16discard_iteratorINS9_11use_defaultEEENS9_5minusIiEEEE10hipError_tPvRmT2_T3_mT4_P12ihipStream_tbEUlT_E_NS1_11comp_targetILNS1_3genE3ELNS1_11target_archE908ELNS1_3gpuE7ELNS1_3repE0EEENS1_30default_config_static_selectorELNS0_4arch9wavefront6targetE0EEEvT1_
    .private_segment_fixed_size: 0
    .sgpr_count:     0
    .sgpr_spill_count: 0
    .symbol:         _ZN7rocprim17ROCPRIM_400000_NS6detail17trampoline_kernelINS0_14default_configENS1_35adjacent_difference_config_selectorILb1EiEEZNS1_24adjacent_difference_implIS3_Lb1ELb0EPiN6thrust23THRUST_200600_302600_NS16discard_iteratorINS9_11use_defaultEEENS9_5minusIiEEEE10hipError_tPvRmT2_T3_mT4_P12ihipStream_tbEUlT_E_NS1_11comp_targetILNS1_3genE3ELNS1_11target_archE908ELNS1_3gpuE7ELNS1_3repE0EEENS1_30default_config_static_selectorELNS0_4arch9wavefront6targetE0EEEvT1_.kd
    .uniform_work_group_size: 1
    .uses_dynamic_stack: false
    .vgpr_count:     0
    .vgpr_spill_count: 0
    .wavefront_size: 32
    .workgroup_processor_mode: 1
  - .args:
      - .offset:         0
        .size:           64
        .value_kind:     by_value
    .group_segment_fixed_size: 0
    .kernarg_segment_align: 8
    .kernarg_segment_size: 64
    .language:       OpenCL C
    .language_version:
      - 2
      - 0
    .max_flat_workgroup_size: 256
    .name:           _ZN7rocprim17ROCPRIM_400000_NS6detail17trampoline_kernelINS0_14default_configENS1_35adjacent_difference_config_selectorILb1EiEEZNS1_24adjacent_difference_implIS3_Lb1ELb0EPiN6thrust23THRUST_200600_302600_NS16discard_iteratorINS9_11use_defaultEEENS9_5minusIiEEEE10hipError_tPvRmT2_T3_mT4_P12ihipStream_tbEUlT_E_NS1_11comp_targetILNS1_3genE2ELNS1_11target_archE906ELNS1_3gpuE6ELNS1_3repE0EEENS1_30default_config_static_selectorELNS0_4arch9wavefront6targetE0EEEvT1_
    .private_segment_fixed_size: 0
    .sgpr_count:     0
    .sgpr_spill_count: 0
    .symbol:         _ZN7rocprim17ROCPRIM_400000_NS6detail17trampoline_kernelINS0_14default_configENS1_35adjacent_difference_config_selectorILb1EiEEZNS1_24adjacent_difference_implIS3_Lb1ELb0EPiN6thrust23THRUST_200600_302600_NS16discard_iteratorINS9_11use_defaultEEENS9_5minusIiEEEE10hipError_tPvRmT2_T3_mT4_P12ihipStream_tbEUlT_E_NS1_11comp_targetILNS1_3genE2ELNS1_11target_archE906ELNS1_3gpuE6ELNS1_3repE0EEENS1_30default_config_static_selectorELNS0_4arch9wavefront6targetE0EEEvT1_.kd
    .uniform_work_group_size: 1
    .uses_dynamic_stack: false
    .vgpr_count:     0
    .vgpr_spill_count: 0
    .wavefront_size: 32
    .workgroup_processor_mode: 1
  - .args:
      - .offset:         0
        .size:           64
        .value_kind:     by_value
    .group_segment_fixed_size: 14848
    .kernarg_segment_align: 8
    .kernarg_segment_size: 64
    .language:       OpenCL C
    .language_version:
      - 2
      - 0
    .max_flat_workgroup_size: 128
    .name:           _ZN7rocprim17ROCPRIM_400000_NS6detail17trampoline_kernelINS0_14default_configENS1_35adjacent_difference_config_selectorILb1EiEEZNS1_24adjacent_difference_implIS3_Lb1ELb0EPiN6thrust23THRUST_200600_302600_NS16discard_iteratorINS9_11use_defaultEEENS9_5minusIiEEEE10hipError_tPvRmT2_T3_mT4_P12ihipStream_tbEUlT_E_NS1_11comp_targetILNS1_3genE9ELNS1_11target_archE1100ELNS1_3gpuE3ELNS1_3repE0EEENS1_30default_config_static_selectorELNS0_4arch9wavefront6targetE0EEEvT1_
    .private_segment_fixed_size: 0
    .sgpr_count:     34
    .sgpr_spill_count: 0
    .symbol:         _ZN7rocprim17ROCPRIM_400000_NS6detail17trampoline_kernelINS0_14default_configENS1_35adjacent_difference_config_selectorILb1EiEEZNS1_24adjacent_difference_implIS3_Lb1ELb0EPiN6thrust23THRUST_200600_302600_NS16discard_iteratorINS9_11use_defaultEEENS9_5minusIiEEEE10hipError_tPvRmT2_T3_mT4_P12ihipStream_tbEUlT_E_NS1_11comp_targetILNS1_3genE9ELNS1_11target_archE1100ELNS1_3gpuE3ELNS1_3repE0EEENS1_30default_config_static_selectorELNS0_4arch9wavefront6targetE0EEEvT1_.kd
    .uniform_work_group_size: 1
    .uses_dynamic_stack: false
    .vgpr_count:     63
    .vgpr_spill_count: 0
    .wavefront_size: 32
    .workgroup_processor_mode: 1
  - .args:
      - .offset:         0
        .size:           64
        .value_kind:     by_value
    .group_segment_fixed_size: 0
    .kernarg_segment_align: 8
    .kernarg_segment_size: 64
    .language:       OpenCL C
    .language_version:
      - 2
      - 0
    .max_flat_workgroup_size: 32
    .name:           _ZN7rocprim17ROCPRIM_400000_NS6detail17trampoline_kernelINS0_14default_configENS1_35adjacent_difference_config_selectorILb1EiEEZNS1_24adjacent_difference_implIS3_Lb1ELb0EPiN6thrust23THRUST_200600_302600_NS16discard_iteratorINS9_11use_defaultEEENS9_5minusIiEEEE10hipError_tPvRmT2_T3_mT4_P12ihipStream_tbEUlT_E_NS1_11comp_targetILNS1_3genE8ELNS1_11target_archE1030ELNS1_3gpuE2ELNS1_3repE0EEENS1_30default_config_static_selectorELNS0_4arch9wavefront6targetE0EEEvT1_
    .private_segment_fixed_size: 0
    .sgpr_count:     0
    .sgpr_spill_count: 0
    .symbol:         _ZN7rocprim17ROCPRIM_400000_NS6detail17trampoline_kernelINS0_14default_configENS1_35adjacent_difference_config_selectorILb1EiEEZNS1_24adjacent_difference_implIS3_Lb1ELb0EPiN6thrust23THRUST_200600_302600_NS16discard_iteratorINS9_11use_defaultEEENS9_5minusIiEEEE10hipError_tPvRmT2_T3_mT4_P12ihipStream_tbEUlT_E_NS1_11comp_targetILNS1_3genE8ELNS1_11target_archE1030ELNS1_3gpuE2ELNS1_3repE0EEENS1_30default_config_static_selectorELNS0_4arch9wavefront6targetE0EEEvT1_.kd
    .uniform_work_group_size: 1
    .uses_dynamic_stack: false
    .vgpr_count:     0
    .vgpr_spill_count: 0
    .wavefront_size: 32
    .workgroup_processor_mode: 1
  - .args:
      - .offset:         0
        .size:           56
        .value_kind:     by_value
    .group_segment_fixed_size: 0
    .kernarg_segment_align: 8
    .kernarg_segment_size: 56
    .language:       OpenCL C
    .language_version:
      - 2
      - 0
    .max_flat_workgroup_size: 128
    .name:           _ZN7rocprim17ROCPRIM_400000_NS6detail17trampoline_kernelINS0_14default_configENS1_25transform_config_selectorIsLb0EEEZNS1_14transform_implILb0ES3_S5_NS0_18transform_iteratorINS0_17counting_iteratorImlEEZNS1_24adjacent_difference_implIS3_Lb1ELb0EPsN6thrust23THRUST_200600_302600_NS16discard_iteratorINSD_11use_defaultEEENSD_5minusIsEEEE10hipError_tPvRmT2_T3_mT4_P12ihipStream_tbEUlmE_sEESB_NS0_8identityIvEEEESJ_SM_SN_mSO_SQ_bEUlT_E_NS1_11comp_targetILNS1_3genE0ELNS1_11target_archE4294967295ELNS1_3gpuE0ELNS1_3repE0EEENS1_30default_config_static_selectorELNS0_4arch9wavefront6targetE0EEEvT1_
    .private_segment_fixed_size: 0
    .sgpr_count:     0
    .sgpr_spill_count: 0
    .symbol:         _ZN7rocprim17ROCPRIM_400000_NS6detail17trampoline_kernelINS0_14default_configENS1_25transform_config_selectorIsLb0EEEZNS1_14transform_implILb0ES3_S5_NS0_18transform_iteratorINS0_17counting_iteratorImlEEZNS1_24adjacent_difference_implIS3_Lb1ELb0EPsN6thrust23THRUST_200600_302600_NS16discard_iteratorINSD_11use_defaultEEENSD_5minusIsEEEE10hipError_tPvRmT2_T3_mT4_P12ihipStream_tbEUlmE_sEESB_NS0_8identityIvEEEESJ_SM_SN_mSO_SQ_bEUlT_E_NS1_11comp_targetILNS1_3genE0ELNS1_11target_archE4294967295ELNS1_3gpuE0ELNS1_3repE0EEENS1_30default_config_static_selectorELNS0_4arch9wavefront6targetE0EEEvT1_.kd
    .uniform_work_group_size: 1
    .uses_dynamic_stack: false
    .vgpr_count:     0
    .vgpr_spill_count: 0
    .wavefront_size: 32
    .workgroup_processor_mode: 1
  - .args:
      - .offset:         0
        .size:           56
        .value_kind:     by_value
    .group_segment_fixed_size: 0
    .kernarg_segment_align: 8
    .kernarg_segment_size: 56
    .language:       OpenCL C
    .language_version:
      - 2
      - 0
    .max_flat_workgroup_size: 256
    .name:           _ZN7rocprim17ROCPRIM_400000_NS6detail17trampoline_kernelINS0_14default_configENS1_25transform_config_selectorIsLb0EEEZNS1_14transform_implILb0ES3_S5_NS0_18transform_iteratorINS0_17counting_iteratorImlEEZNS1_24adjacent_difference_implIS3_Lb1ELb0EPsN6thrust23THRUST_200600_302600_NS16discard_iteratorINSD_11use_defaultEEENSD_5minusIsEEEE10hipError_tPvRmT2_T3_mT4_P12ihipStream_tbEUlmE_sEESB_NS0_8identityIvEEEESJ_SM_SN_mSO_SQ_bEUlT_E_NS1_11comp_targetILNS1_3genE5ELNS1_11target_archE942ELNS1_3gpuE9ELNS1_3repE0EEENS1_30default_config_static_selectorELNS0_4arch9wavefront6targetE0EEEvT1_
    .private_segment_fixed_size: 0
    .sgpr_count:     0
    .sgpr_spill_count: 0
    .symbol:         _ZN7rocprim17ROCPRIM_400000_NS6detail17trampoline_kernelINS0_14default_configENS1_25transform_config_selectorIsLb0EEEZNS1_14transform_implILb0ES3_S5_NS0_18transform_iteratorINS0_17counting_iteratorImlEEZNS1_24adjacent_difference_implIS3_Lb1ELb0EPsN6thrust23THRUST_200600_302600_NS16discard_iteratorINSD_11use_defaultEEENSD_5minusIsEEEE10hipError_tPvRmT2_T3_mT4_P12ihipStream_tbEUlmE_sEESB_NS0_8identityIvEEEESJ_SM_SN_mSO_SQ_bEUlT_E_NS1_11comp_targetILNS1_3genE5ELNS1_11target_archE942ELNS1_3gpuE9ELNS1_3repE0EEENS1_30default_config_static_selectorELNS0_4arch9wavefront6targetE0EEEvT1_.kd
    .uniform_work_group_size: 1
    .uses_dynamic_stack: false
    .vgpr_count:     0
    .vgpr_spill_count: 0
    .wavefront_size: 32
    .workgroup_processor_mode: 1
  - .args:
      - .offset:         0
        .size:           56
        .value_kind:     by_value
    .group_segment_fixed_size: 0
    .kernarg_segment_align: 8
    .kernarg_segment_size: 56
    .language:       OpenCL C
    .language_version:
      - 2
      - 0
    .max_flat_workgroup_size: 64
    .name:           _ZN7rocprim17ROCPRIM_400000_NS6detail17trampoline_kernelINS0_14default_configENS1_25transform_config_selectorIsLb0EEEZNS1_14transform_implILb0ES3_S5_NS0_18transform_iteratorINS0_17counting_iteratorImlEEZNS1_24adjacent_difference_implIS3_Lb1ELb0EPsN6thrust23THRUST_200600_302600_NS16discard_iteratorINSD_11use_defaultEEENSD_5minusIsEEEE10hipError_tPvRmT2_T3_mT4_P12ihipStream_tbEUlmE_sEESB_NS0_8identityIvEEEESJ_SM_SN_mSO_SQ_bEUlT_E_NS1_11comp_targetILNS1_3genE4ELNS1_11target_archE910ELNS1_3gpuE8ELNS1_3repE0EEENS1_30default_config_static_selectorELNS0_4arch9wavefront6targetE0EEEvT1_
    .private_segment_fixed_size: 0
    .sgpr_count:     0
    .sgpr_spill_count: 0
    .symbol:         _ZN7rocprim17ROCPRIM_400000_NS6detail17trampoline_kernelINS0_14default_configENS1_25transform_config_selectorIsLb0EEEZNS1_14transform_implILb0ES3_S5_NS0_18transform_iteratorINS0_17counting_iteratorImlEEZNS1_24adjacent_difference_implIS3_Lb1ELb0EPsN6thrust23THRUST_200600_302600_NS16discard_iteratorINSD_11use_defaultEEENSD_5minusIsEEEE10hipError_tPvRmT2_T3_mT4_P12ihipStream_tbEUlmE_sEESB_NS0_8identityIvEEEESJ_SM_SN_mSO_SQ_bEUlT_E_NS1_11comp_targetILNS1_3genE4ELNS1_11target_archE910ELNS1_3gpuE8ELNS1_3repE0EEENS1_30default_config_static_selectorELNS0_4arch9wavefront6targetE0EEEvT1_.kd
    .uniform_work_group_size: 1
    .uses_dynamic_stack: false
    .vgpr_count:     0
    .vgpr_spill_count: 0
    .wavefront_size: 32
    .workgroup_processor_mode: 1
  - .args:
      - .offset:         0
        .size:           56
        .value_kind:     by_value
    .group_segment_fixed_size: 0
    .kernarg_segment_align: 8
    .kernarg_segment_size: 56
    .language:       OpenCL C
    .language_version:
      - 2
      - 0
    .max_flat_workgroup_size: 128
    .name:           _ZN7rocprim17ROCPRIM_400000_NS6detail17trampoline_kernelINS0_14default_configENS1_25transform_config_selectorIsLb0EEEZNS1_14transform_implILb0ES3_S5_NS0_18transform_iteratorINS0_17counting_iteratorImlEEZNS1_24adjacent_difference_implIS3_Lb1ELb0EPsN6thrust23THRUST_200600_302600_NS16discard_iteratorINSD_11use_defaultEEENSD_5minusIsEEEE10hipError_tPvRmT2_T3_mT4_P12ihipStream_tbEUlmE_sEESB_NS0_8identityIvEEEESJ_SM_SN_mSO_SQ_bEUlT_E_NS1_11comp_targetILNS1_3genE3ELNS1_11target_archE908ELNS1_3gpuE7ELNS1_3repE0EEENS1_30default_config_static_selectorELNS0_4arch9wavefront6targetE0EEEvT1_
    .private_segment_fixed_size: 0
    .sgpr_count:     0
    .sgpr_spill_count: 0
    .symbol:         _ZN7rocprim17ROCPRIM_400000_NS6detail17trampoline_kernelINS0_14default_configENS1_25transform_config_selectorIsLb0EEEZNS1_14transform_implILb0ES3_S5_NS0_18transform_iteratorINS0_17counting_iteratorImlEEZNS1_24adjacent_difference_implIS3_Lb1ELb0EPsN6thrust23THRUST_200600_302600_NS16discard_iteratorINSD_11use_defaultEEENSD_5minusIsEEEE10hipError_tPvRmT2_T3_mT4_P12ihipStream_tbEUlmE_sEESB_NS0_8identityIvEEEESJ_SM_SN_mSO_SQ_bEUlT_E_NS1_11comp_targetILNS1_3genE3ELNS1_11target_archE908ELNS1_3gpuE7ELNS1_3repE0EEENS1_30default_config_static_selectorELNS0_4arch9wavefront6targetE0EEEvT1_.kd
    .uniform_work_group_size: 1
    .uses_dynamic_stack: false
    .vgpr_count:     0
    .vgpr_spill_count: 0
    .wavefront_size: 32
    .workgroup_processor_mode: 1
  - .args:
      - .offset:         0
        .size:           56
        .value_kind:     by_value
    .group_segment_fixed_size: 0
    .kernarg_segment_align: 8
    .kernarg_segment_size: 56
    .language:       OpenCL C
    .language_version:
      - 2
      - 0
    .max_flat_workgroup_size: 512
    .name:           _ZN7rocprim17ROCPRIM_400000_NS6detail17trampoline_kernelINS0_14default_configENS1_25transform_config_selectorIsLb0EEEZNS1_14transform_implILb0ES3_S5_NS0_18transform_iteratorINS0_17counting_iteratorImlEEZNS1_24adjacent_difference_implIS3_Lb1ELb0EPsN6thrust23THRUST_200600_302600_NS16discard_iteratorINSD_11use_defaultEEENSD_5minusIsEEEE10hipError_tPvRmT2_T3_mT4_P12ihipStream_tbEUlmE_sEESB_NS0_8identityIvEEEESJ_SM_SN_mSO_SQ_bEUlT_E_NS1_11comp_targetILNS1_3genE2ELNS1_11target_archE906ELNS1_3gpuE6ELNS1_3repE0EEENS1_30default_config_static_selectorELNS0_4arch9wavefront6targetE0EEEvT1_
    .private_segment_fixed_size: 0
    .sgpr_count:     0
    .sgpr_spill_count: 0
    .symbol:         _ZN7rocprim17ROCPRIM_400000_NS6detail17trampoline_kernelINS0_14default_configENS1_25transform_config_selectorIsLb0EEEZNS1_14transform_implILb0ES3_S5_NS0_18transform_iteratorINS0_17counting_iteratorImlEEZNS1_24adjacent_difference_implIS3_Lb1ELb0EPsN6thrust23THRUST_200600_302600_NS16discard_iteratorINSD_11use_defaultEEENSD_5minusIsEEEE10hipError_tPvRmT2_T3_mT4_P12ihipStream_tbEUlmE_sEESB_NS0_8identityIvEEEESJ_SM_SN_mSO_SQ_bEUlT_E_NS1_11comp_targetILNS1_3genE2ELNS1_11target_archE906ELNS1_3gpuE6ELNS1_3repE0EEENS1_30default_config_static_selectorELNS0_4arch9wavefront6targetE0EEEvT1_.kd
    .uniform_work_group_size: 1
    .uses_dynamic_stack: false
    .vgpr_count:     0
    .vgpr_spill_count: 0
    .wavefront_size: 32
    .workgroup_processor_mode: 1
  - .args:
      - .offset:         0
        .size:           56
        .value_kind:     by_value
    .group_segment_fixed_size: 0
    .kernarg_segment_align: 8
    .kernarg_segment_size: 56
    .language:       OpenCL C
    .language_version:
      - 2
      - 0
    .max_flat_workgroup_size: 1024
    .name:           _ZN7rocprim17ROCPRIM_400000_NS6detail17trampoline_kernelINS0_14default_configENS1_25transform_config_selectorIsLb0EEEZNS1_14transform_implILb0ES3_S5_NS0_18transform_iteratorINS0_17counting_iteratorImlEEZNS1_24adjacent_difference_implIS3_Lb1ELb0EPsN6thrust23THRUST_200600_302600_NS16discard_iteratorINSD_11use_defaultEEENSD_5minusIsEEEE10hipError_tPvRmT2_T3_mT4_P12ihipStream_tbEUlmE_sEESB_NS0_8identityIvEEEESJ_SM_SN_mSO_SQ_bEUlT_E_NS1_11comp_targetILNS1_3genE10ELNS1_11target_archE1201ELNS1_3gpuE5ELNS1_3repE0EEENS1_30default_config_static_selectorELNS0_4arch9wavefront6targetE0EEEvT1_
    .private_segment_fixed_size: 0
    .sgpr_count:     0
    .sgpr_spill_count: 0
    .symbol:         _ZN7rocprim17ROCPRIM_400000_NS6detail17trampoline_kernelINS0_14default_configENS1_25transform_config_selectorIsLb0EEEZNS1_14transform_implILb0ES3_S5_NS0_18transform_iteratorINS0_17counting_iteratorImlEEZNS1_24adjacent_difference_implIS3_Lb1ELb0EPsN6thrust23THRUST_200600_302600_NS16discard_iteratorINSD_11use_defaultEEENSD_5minusIsEEEE10hipError_tPvRmT2_T3_mT4_P12ihipStream_tbEUlmE_sEESB_NS0_8identityIvEEEESJ_SM_SN_mSO_SQ_bEUlT_E_NS1_11comp_targetILNS1_3genE10ELNS1_11target_archE1201ELNS1_3gpuE5ELNS1_3repE0EEENS1_30default_config_static_selectorELNS0_4arch9wavefront6targetE0EEEvT1_.kd
    .uniform_work_group_size: 1
    .uses_dynamic_stack: false
    .vgpr_count:     0
    .vgpr_spill_count: 0
    .wavefront_size: 32
    .workgroup_processor_mode: 1
  - .args:
      - .offset:         0
        .size:           56
        .value_kind:     by_value
    .group_segment_fixed_size: 0
    .kernarg_segment_align: 8
    .kernarg_segment_size: 56
    .language:       OpenCL C
    .language_version:
      - 2
      - 0
    .max_flat_workgroup_size: 512
    .name:           _ZN7rocprim17ROCPRIM_400000_NS6detail17trampoline_kernelINS0_14default_configENS1_25transform_config_selectorIsLb0EEEZNS1_14transform_implILb0ES3_S5_NS0_18transform_iteratorINS0_17counting_iteratorImlEEZNS1_24adjacent_difference_implIS3_Lb1ELb0EPsN6thrust23THRUST_200600_302600_NS16discard_iteratorINSD_11use_defaultEEENSD_5minusIsEEEE10hipError_tPvRmT2_T3_mT4_P12ihipStream_tbEUlmE_sEESB_NS0_8identityIvEEEESJ_SM_SN_mSO_SQ_bEUlT_E_NS1_11comp_targetILNS1_3genE10ELNS1_11target_archE1200ELNS1_3gpuE4ELNS1_3repE0EEENS1_30default_config_static_selectorELNS0_4arch9wavefront6targetE0EEEvT1_
    .private_segment_fixed_size: 0
    .sgpr_count:     0
    .sgpr_spill_count: 0
    .symbol:         _ZN7rocprim17ROCPRIM_400000_NS6detail17trampoline_kernelINS0_14default_configENS1_25transform_config_selectorIsLb0EEEZNS1_14transform_implILb0ES3_S5_NS0_18transform_iteratorINS0_17counting_iteratorImlEEZNS1_24adjacent_difference_implIS3_Lb1ELb0EPsN6thrust23THRUST_200600_302600_NS16discard_iteratorINSD_11use_defaultEEENSD_5minusIsEEEE10hipError_tPvRmT2_T3_mT4_P12ihipStream_tbEUlmE_sEESB_NS0_8identityIvEEEESJ_SM_SN_mSO_SQ_bEUlT_E_NS1_11comp_targetILNS1_3genE10ELNS1_11target_archE1200ELNS1_3gpuE4ELNS1_3repE0EEENS1_30default_config_static_selectorELNS0_4arch9wavefront6targetE0EEEvT1_.kd
    .uniform_work_group_size: 1
    .uses_dynamic_stack: false
    .vgpr_count:     0
    .vgpr_spill_count: 0
    .wavefront_size: 32
    .workgroup_processor_mode: 1
  - .args:
      - .offset:         0
        .size:           56
        .value_kind:     by_value
      - .offset:         56
        .size:           4
        .value_kind:     hidden_block_count_x
      - .offset:         60
        .size:           4
        .value_kind:     hidden_block_count_y
      - .offset:         64
        .size:           4
        .value_kind:     hidden_block_count_z
      - .offset:         68
        .size:           2
        .value_kind:     hidden_group_size_x
      - .offset:         70
        .size:           2
        .value_kind:     hidden_group_size_y
      - .offset:         72
        .size:           2
        .value_kind:     hidden_group_size_z
      - .offset:         74
        .size:           2
        .value_kind:     hidden_remainder_x
      - .offset:         76
        .size:           2
        .value_kind:     hidden_remainder_y
      - .offset:         78
        .size:           2
        .value_kind:     hidden_remainder_z
      - .offset:         96
        .size:           8
        .value_kind:     hidden_global_offset_x
      - .offset:         104
        .size:           8
        .value_kind:     hidden_global_offset_y
      - .offset:         112
        .size:           8
        .value_kind:     hidden_global_offset_z
      - .offset:         120
        .size:           2
        .value_kind:     hidden_grid_dims
    .group_segment_fixed_size: 0
    .kernarg_segment_align: 8
    .kernarg_segment_size: 312
    .language:       OpenCL C
    .language_version:
      - 2
      - 0
    .max_flat_workgroup_size: 1024
    .name:           _ZN7rocprim17ROCPRIM_400000_NS6detail17trampoline_kernelINS0_14default_configENS1_25transform_config_selectorIsLb0EEEZNS1_14transform_implILb0ES3_S5_NS0_18transform_iteratorINS0_17counting_iteratorImlEEZNS1_24adjacent_difference_implIS3_Lb1ELb0EPsN6thrust23THRUST_200600_302600_NS16discard_iteratorINSD_11use_defaultEEENSD_5minusIsEEEE10hipError_tPvRmT2_T3_mT4_P12ihipStream_tbEUlmE_sEESB_NS0_8identityIvEEEESJ_SM_SN_mSO_SQ_bEUlT_E_NS1_11comp_targetILNS1_3genE9ELNS1_11target_archE1100ELNS1_3gpuE3ELNS1_3repE0EEENS1_30default_config_static_selectorELNS0_4arch9wavefront6targetE0EEEvT1_
    .private_segment_fixed_size: 0
    .sgpr_count:     20
    .sgpr_spill_count: 0
    .symbol:         _ZN7rocprim17ROCPRIM_400000_NS6detail17trampoline_kernelINS0_14default_configENS1_25transform_config_selectorIsLb0EEEZNS1_14transform_implILb0ES3_S5_NS0_18transform_iteratorINS0_17counting_iteratorImlEEZNS1_24adjacent_difference_implIS3_Lb1ELb0EPsN6thrust23THRUST_200600_302600_NS16discard_iteratorINSD_11use_defaultEEENSD_5minusIsEEEE10hipError_tPvRmT2_T3_mT4_P12ihipStream_tbEUlmE_sEESB_NS0_8identityIvEEEESJ_SM_SN_mSO_SQ_bEUlT_E_NS1_11comp_targetILNS1_3genE9ELNS1_11target_archE1100ELNS1_3gpuE3ELNS1_3repE0EEENS1_30default_config_static_selectorELNS0_4arch9wavefront6targetE0EEEvT1_.kd
    .uniform_work_group_size: 1
    .uses_dynamic_stack: false
    .vgpr_count:     8
    .vgpr_spill_count: 0
    .wavefront_size: 32
    .workgroup_processor_mode: 1
  - .args:
      - .offset:         0
        .size:           56
        .value_kind:     by_value
    .group_segment_fixed_size: 0
    .kernarg_segment_align: 8
    .kernarg_segment_size: 56
    .language:       OpenCL C
    .language_version:
      - 2
      - 0
    .max_flat_workgroup_size: 1024
    .name:           _ZN7rocprim17ROCPRIM_400000_NS6detail17trampoline_kernelINS0_14default_configENS1_25transform_config_selectorIsLb0EEEZNS1_14transform_implILb0ES3_S5_NS0_18transform_iteratorINS0_17counting_iteratorImlEEZNS1_24adjacent_difference_implIS3_Lb1ELb0EPsN6thrust23THRUST_200600_302600_NS16discard_iteratorINSD_11use_defaultEEENSD_5minusIsEEEE10hipError_tPvRmT2_T3_mT4_P12ihipStream_tbEUlmE_sEESB_NS0_8identityIvEEEESJ_SM_SN_mSO_SQ_bEUlT_E_NS1_11comp_targetILNS1_3genE8ELNS1_11target_archE1030ELNS1_3gpuE2ELNS1_3repE0EEENS1_30default_config_static_selectorELNS0_4arch9wavefront6targetE0EEEvT1_
    .private_segment_fixed_size: 0
    .sgpr_count:     0
    .sgpr_spill_count: 0
    .symbol:         _ZN7rocprim17ROCPRIM_400000_NS6detail17trampoline_kernelINS0_14default_configENS1_25transform_config_selectorIsLb0EEEZNS1_14transform_implILb0ES3_S5_NS0_18transform_iteratorINS0_17counting_iteratorImlEEZNS1_24adjacent_difference_implIS3_Lb1ELb0EPsN6thrust23THRUST_200600_302600_NS16discard_iteratorINSD_11use_defaultEEENSD_5minusIsEEEE10hipError_tPvRmT2_T3_mT4_P12ihipStream_tbEUlmE_sEESB_NS0_8identityIvEEEESJ_SM_SN_mSO_SQ_bEUlT_E_NS1_11comp_targetILNS1_3genE8ELNS1_11target_archE1030ELNS1_3gpuE2ELNS1_3repE0EEENS1_30default_config_static_selectorELNS0_4arch9wavefront6targetE0EEEvT1_.kd
    .uniform_work_group_size: 1
    .uses_dynamic_stack: false
    .vgpr_count:     0
    .vgpr_spill_count: 0
    .wavefront_size: 32
    .workgroup_processor_mode: 1
  - .args:
      - .offset:         0
        .size:           64
        .value_kind:     by_value
    .group_segment_fixed_size: 0
    .kernarg_segment_align: 8
    .kernarg_segment_size: 64
    .language:       OpenCL C
    .language_version:
      - 2
      - 0
    .max_flat_workgroup_size: 32
    .name:           _ZN7rocprim17ROCPRIM_400000_NS6detail17trampoline_kernelINS0_14default_configENS1_35adjacent_difference_config_selectorILb1EsEEZNS1_24adjacent_difference_implIS3_Lb1ELb0EPsN6thrust23THRUST_200600_302600_NS16discard_iteratorINS9_11use_defaultEEENS9_5minusIsEEEE10hipError_tPvRmT2_T3_mT4_P12ihipStream_tbEUlT_E_NS1_11comp_targetILNS1_3genE0ELNS1_11target_archE4294967295ELNS1_3gpuE0ELNS1_3repE0EEENS1_30default_config_static_selectorELNS0_4arch9wavefront6targetE0EEEvT1_
    .private_segment_fixed_size: 0
    .sgpr_count:     0
    .sgpr_spill_count: 0
    .symbol:         _ZN7rocprim17ROCPRIM_400000_NS6detail17trampoline_kernelINS0_14default_configENS1_35adjacent_difference_config_selectorILb1EsEEZNS1_24adjacent_difference_implIS3_Lb1ELb0EPsN6thrust23THRUST_200600_302600_NS16discard_iteratorINS9_11use_defaultEEENS9_5minusIsEEEE10hipError_tPvRmT2_T3_mT4_P12ihipStream_tbEUlT_E_NS1_11comp_targetILNS1_3genE0ELNS1_11target_archE4294967295ELNS1_3gpuE0ELNS1_3repE0EEENS1_30default_config_static_selectorELNS0_4arch9wavefront6targetE0EEEvT1_.kd
    .uniform_work_group_size: 1
    .uses_dynamic_stack: false
    .vgpr_count:     0
    .vgpr_spill_count: 0
    .wavefront_size: 32
    .workgroup_processor_mode: 1
  - .args:
      - .offset:         0
        .size:           64
        .value_kind:     by_value
    .group_segment_fixed_size: 0
    .kernarg_segment_align: 8
    .kernarg_segment_size: 64
    .language:       OpenCL C
    .language_version:
      - 2
      - 0
    .max_flat_workgroup_size: 512
    .name:           _ZN7rocprim17ROCPRIM_400000_NS6detail17trampoline_kernelINS0_14default_configENS1_35adjacent_difference_config_selectorILb1EsEEZNS1_24adjacent_difference_implIS3_Lb1ELb0EPsN6thrust23THRUST_200600_302600_NS16discard_iteratorINS9_11use_defaultEEENS9_5minusIsEEEE10hipError_tPvRmT2_T3_mT4_P12ihipStream_tbEUlT_E_NS1_11comp_targetILNS1_3genE10ELNS1_11target_archE1201ELNS1_3gpuE5ELNS1_3repE0EEENS1_30default_config_static_selectorELNS0_4arch9wavefront6targetE0EEEvT1_
    .private_segment_fixed_size: 0
    .sgpr_count:     0
    .sgpr_spill_count: 0
    .symbol:         _ZN7rocprim17ROCPRIM_400000_NS6detail17trampoline_kernelINS0_14default_configENS1_35adjacent_difference_config_selectorILb1EsEEZNS1_24adjacent_difference_implIS3_Lb1ELb0EPsN6thrust23THRUST_200600_302600_NS16discard_iteratorINS9_11use_defaultEEENS9_5minusIsEEEE10hipError_tPvRmT2_T3_mT4_P12ihipStream_tbEUlT_E_NS1_11comp_targetILNS1_3genE10ELNS1_11target_archE1201ELNS1_3gpuE5ELNS1_3repE0EEENS1_30default_config_static_selectorELNS0_4arch9wavefront6targetE0EEEvT1_.kd
    .uniform_work_group_size: 1
    .uses_dynamic_stack: false
    .vgpr_count:     0
    .vgpr_spill_count: 0
    .wavefront_size: 32
    .workgroup_processor_mode: 1
  - .args:
      - .offset:         0
        .size:           64
        .value_kind:     by_value
    .group_segment_fixed_size: 0
    .kernarg_segment_align: 8
    .kernarg_segment_size: 64
    .language:       OpenCL C
    .language_version:
      - 2
      - 0
    .max_flat_workgroup_size: 64
    .name:           _ZN7rocprim17ROCPRIM_400000_NS6detail17trampoline_kernelINS0_14default_configENS1_35adjacent_difference_config_selectorILb1EsEEZNS1_24adjacent_difference_implIS3_Lb1ELb0EPsN6thrust23THRUST_200600_302600_NS16discard_iteratorINS9_11use_defaultEEENS9_5minusIsEEEE10hipError_tPvRmT2_T3_mT4_P12ihipStream_tbEUlT_E_NS1_11comp_targetILNS1_3genE5ELNS1_11target_archE942ELNS1_3gpuE9ELNS1_3repE0EEENS1_30default_config_static_selectorELNS0_4arch9wavefront6targetE0EEEvT1_
    .private_segment_fixed_size: 0
    .sgpr_count:     0
    .sgpr_spill_count: 0
    .symbol:         _ZN7rocprim17ROCPRIM_400000_NS6detail17trampoline_kernelINS0_14default_configENS1_35adjacent_difference_config_selectorILb1EsEEZNS1_24adjacent_difference_implIS3_Lb1ELb0EPsN6thrust23THRUST_200600_302600_NS16discard_iteratorINS9_11use_defaultEEENS9_5minusIsEEEE10hipError_tPvRmT2_T3_mT4_P12ihipStream_tbEUlT_E_NS1_11comp_targetILNS1_3genE5ELNS1_11target_archE942ELNS1_3gpuE9ELNS1_3repE0EEENS1_30default_config_static_selectorELNS0_4arch9wavefront6targetE0EEEvT1_.kd
    .uniform_work_group_size: 1
    .uses_dynamic_stack: false
    .vgpr_count:     0
    .vgpr_spill_count: 0
    .wavefront_size: 32
    .workgroup_processor_mode: 1
  - .args:
      - .offset:         0
        .size:           64
        .value_kind:     by_value
    .group_segment_fixed_size: 0
    .kernarg_segment_align: 8
    .kernarg_segment_size: 64
    .language:       OpenCL C
    .language_version:
      - 2
      - 0
    .max_flat_workgroup_size: 64
    .name:           _ZN7rocprim17ROCPRIM_400000_NS6detail17trampoline_kernelINS0_14default_configENS1_35adjacent_difference_config_selectorILb1EsEEZNS1_24adjacent_difference_implIS3_Lb1ELb0EPsN6thrust23THRUST_200600_302600_NS16discard_iteratorINS9_11use_defaultEEENS9_5minusIsEEEE10hipError_tPvRmT2_T3_mT4_P12ihipStream_tbEUlT_E_NS1_11comp_targetILNS1_3genE4ELNS1_11target_archE910ELNS1_3gpuE8ELNS1_3repE0EEENS1_30default_config_static_selectorELNS0_4arch9wavefront6targetE0EEEvT1_
    .private_segment_fixed_size: 0
    .sgpr_count:     0
    .sgpr_spill_count: 0
    .symbol:         _ZN7rocprim17ROCPRIM_400000_NS6detail17trampoline_kernelINS0_14default_configENS1_35adjacent_difference_config_selectorILb1EsEEZNS1_24adjacent_difference_implIS3_Lb1ELb0EPsN6thrust23THRUST_200600_302600_NS16discard_iteratorINS9_11use_defaultEEENS9_5minusIsEEEE10hipError_tPvRmT2_T3_mT4_P12ihipStream_tbEUlT_E_NS1_11comp_targetILNS1_3genE4ELNS1_11target_archE910ELNS1_3gpuE8ELNS1_3repE0EEENS1_30default_config_static_selectorELNS0_4arch9wavefront6targetE0EEEvT1_.kd
    .uniform_work_group_size: 1
    .uses_dynamic_stack: false
    .vgpr_count:     0
    .vgpr_spill_count: 0
    .wavefront_size: 32
    .workgroup_processor_mode: 1
  - .args:
      - .offset:         0
        .size:           64
        .value_kind:     by_value
    .group_segment_fixed_size: 0
    .kernarg_segment_align: 8
    .kernarg_segment_size: 64
    .language:       OpenCL C
    .language_version:
      - 2
      - 0
    .max_flat_workgroup_size: 32
    .name:           _ZN7rocprim17ROCPRIM_400000_NS6detail17trampoline_kernelINS0_14default_configENS1_35adjacent_difference_config_selectorILb1EsEEZNS1_24adjacent_difference_implIS3_Lb1ELb0EPsN6thrust23THRUST_200600_302600_NS16discard_iteratorINS9_11use_defaultEEENS9_5minusIsEEEE10hipError_tPvRmT2_T3_mT4_P12ihipStream_tbEUlT_E_NS1_11comp_targetILNS1_3genE3ELNS1_11target_archE908ELNS1_3gpuE7ELNS1_3repE0EEENS1_30default_config_static_selectorELNS0_4arch9wavefront6targetE0EEEvT1_
    .private_segment_fixed_size: 0
    .sgpr_count:     0
    .sgpr_spill_count: 0
    .symbol:         _ZN7rocprim17ROCPRIM_400000_NS6detail17trampoline_kernelINS0_14default_configENS1_35adjacent_difference_config_selectorILb1EsEEZNS1_24adjacent_difference_implIS3_Lb1ELb0EPsN6thrust23THRUST_200600_302600_NS16discard_iteratorINS9_11use_defaultEEENS9_5minusIsEEEE10hipError_tPvRmT2_T3_mT4_P12ihipStream_tbEUlT_E_NS1_11comp_targetILNS1_3genE3ELNS1_11target_archE908ELNS1_3gpuE7ELNS1_3repE0EEENS1_30default_config_static_selectorELNS0_4arch9wavefront6targetE0EEEvT1_.kd
    .uniform_work_group_size: 1
    .uses_dynamic_stack: false
    .vgpr_count:     0
    .vgpr_spill_count: 0
    .wavefront_size: 32
    .workgroup_processor_mode: 1
  - .args:
      - .offset:         0
        .size:           64
        .value_kind:     by_value
    .group_segment_fixed_size: 0
    .kernarg_segment_align: 8
    .kernarg_segment_size: 64
    .language:       OpenCL C
    .language_version:
      - 2
      - 0
    .max_flat_workgroup_size: 64
    .name:           _ZN7rocprim17ROCPRIM_400000_NS6detail17trampoline_kernelINS0_14default_configENS1_35adjacent_difference_config_selectorILb1EsEEZNS1_24adjacent_difference_implIS3_Lb1ELb0EPsN6thrust23THRUST_200600_302600_NS16discard_iteratorINS9_11use_defaultEEENS9_5minusIsEEEE10hipError_tPvRmT2_T3_mT4_P12ihipStream_tbEUlT_E_NS1_11comp_targetILNS1_3genE2ELNS1_11target_archE906ELNS1_3gpuE6ELNS1_3repE0EEENS1_30default_config_static_selectorELNS0_4arch9wavefront6targetE0EEEvT1_
    .private_segment_fixed_size: 0
    .sgpr_count:     0
    .sgpr_spill_count: 0
    .symbol:         _ZN7rocprim17ROCPRIM_400000_NS6detail17trampoline_kernelINS0_14default_configENS1_35adjacent_difference_config_selectorILb1EsEEZNS1_24adjacent_difference_implIS3_Lb1ELb0EPsN6thrust23THRUST_200600_302600_NS16discard_iteratorINS9_11use_defaultEEENS9_5minusIsEEEE10hipError_tPvRmT2_T3_mT4_P12ihipStream_tbEUlT_E_NS1_11comp_targetILNS1_3genE2ELNS1_11target_archE906ELNS1_3gpuE6ELNS1_3repE0EEENS1_30default_config_static_selectorELNS0_4arch9wavefront6targetE0EEEvT1_.kd
    .uniform_work_group_size: 1
    .uses_dynamic_stack: false
    .vgpr_count:     0
    .vgpr_spill_count: 0
    .wavefront_size: 32
    .workgroup_processor_mode: 1
  - .args:
      - .offset:         0
        .size:           64
        .value_kind:     by_value
    .group_segment_fixed_size: 5888
    .kernarg_segment_align: 8
    .kernarg_segment_size: 64
    .language:       OpenCL C
    .language_version:
      - 2
      - 0
    .max_flat_workgroup_size: 128
    .name:           _ZN7rocprim17ROCPRIM_400000_NS6detail17trampoline_kernelINS0_14default_configENS1_35adjacent_difference_config_selectorILb1EsEEZNS1_24adjacent_difference_implIS3_Lb1ELb0EPsN6thrust23THRUST_200600_302600_NS16discard_iteratorINS9_11use_defaultEEENS9_5minusIsEEEE10hipError_tPvRmT2_T3_mT4_P12ihipStream_tbEUlT_E_NS1_11comp_targetILNS1_3genE9ELNS1_11target_archE1100ELNS1_3gpuE3ELNS1_3repE0EEENS1_30default_config_static_selectorELNS0_4arch9wavefront6targetE0EEEvT1_
    .private_segment_fixed_size: 0
    .sgpr_count:     24
    .sgpr_spill_count: 0
    .symbol:         _ZN7rocprim17ROCPRIM_400000_NS6detail17trampoline_kernelINS0_14default_configENS1_35adjacent_difference_config_selectorILb1EsEEZNS1_24adjacent_difference_implIS3_Lb1ELb0EPsN6thrust23THRUST_200600_302600_NS16discard_iteratorINS9_11use_defaultEEENS9_5minusIsEEEE10hipError_tPvRmT2_T3_mT4_P12ihipStream_tbEUlT_E_NS1_11comp_targetILNS1_3genE9ELNS1_11target_archE1100ELNS1_3gpuE3ELNS1_3repE0EEENS1_30default_config_static_selectorELNS0_4arch9wavefront6targetE0EEEvT1_.kd
    .uniform_work_group_size: 1
    .uses_dynamic_stack: false
    .vgpr_count:     49
    .vgpr_spill_count: 0
    .wavefront_size: 32
    .workgroup_processor_mode: 1
  - .args:
      - .offset:         0
        .size:           64
        .value_kind:     by_value
    .group_segment_fixed_size: 0
    .kernarg_segment_align: 8
    .kernarg_segment_size: 64
    .language:       OpenCL C
    .language_version:
      - 2
      - 0
    .max_flat_workgroup_size: 512
    .name:           _ZN7rocprim17ROCPRIM_400000_NS6detail17trampoline_kernelINS0_14default_configENS1_35adjacent_difference_config_selectorILb1EsEEZNS1_24adjacent_difference_implIS3_Lb1ELb0EPsN6thrust23THRUST_200600_302600_NS16discard_iteratorINS9_11use_defaultEEENS9_5minusIsEEEE10hipError_tPvRmT2_T3_mT4_P12ihipStream_tbEUlT_E_NS1_11comp_targetILNS1_3genE8ELNS1_11target_archE1030ELNS1_3gpuE2ELNS1_3repE0EEENS1_30default_config_static_selectorELNS0_4arch9wavefront6targetE0EEEvT1_
    .private_segment_fixed_size: 0
    .sgpr_count:     0
    .sgpr_spill_count: 0
    .symbol:         _ZN7rocprim17ROCPRIM_400000_NS6detail17trampoline_kernelINS0_14default_configENS1_35adjacent_difference_config_selectorILb1EsEEZNS1_24adjacent_difference_implIS3_Lb1ELb0EPsN6thrust23THRUST_200600_302600_NS16discard_iteratorINS9_11use_defaultEEENS9_5minusIsEEEE10hipError_tPvRmT2_T3_mT4_P12ihipStream_tbEUlT_E_NS1_11comp_targetILNS1_3genE8ELNS1_11target_archE1030ELNS1_3gpuE2ELNS1_3repE0EEENS1_30default_config_static_selectorELNS0_4arch9wavefront6targetE0EEEvT1_.kd
    .uniform_work_group_size: 1
    .uses_dynamic_stack: false
    .vgpr_count:     0
    .vgpr_spill_count: 0
    .wavefront_size: 32
    .workgroup_processor_mode: 1
  - .args:
      - .offset:         0
        .size:           16
        .value_kind:     by_value
      - .offset:         16
        .size:           8
        .value_kind:     by_value
      - .offset:         24
        .size:           8
        .value_kind:     by_value
    .group_segment_fixed_size: 0
    .kernarg_segment_align: 8
    .kernarg_segment_size: 32
    .language:       OpenCL C
    .language_version:
      - 2
      - 0
    .max_flat_workgroup_size: 256
    .name:           _ZN6thrust23THRUST_200600_302600_NS11hip_rocprim14__parallel_for6kernelILj256ENS1_20__uninitialized_fill7functorINS0_10device_ptrIiEEiEEmLj1EEEvT0_T1_SA_
    .private_segment_fixed_size: 0
    .sgpr_count:     18
    .sgpr_spill_count: 0
    .symbol:         _ZN6thrust23THRUST_200600_302600_NS11hip_rocprim14__parallel_for6kernelILj256ENS1_20__uninitialized_fill7functorINS0_10device_ptrIiEEiEEmLj1EEEvT0_T1_SA_.kd
    .uniform_work_group_size: 1
    .uses_dynamic_stack: false
    .vgpr_count:     3
    .vgpr_spill_count: 0
    .wavefront_size: 32
    .workgroup_processor_mode: 1
amdhsa.target:   amdgcn-amd-amdhsa--gfx1100
amdhsa.version:
  - 1
  - 2
...

	.end_amdgpu_metadata
